;; amdgpu-corpus repo=ROCm/rccl kind=compiled arch=gfx906 opt=O3
	.amdgcn_target "amdgcn-amd-amdhsa--gfx906"
	.amdhsa_code_object_version 6
	.text
	.p2align	2                               ; -- Begin function __ockl_fprintf_append_string_n
	.type	__ockl_fprintf_append_string_n,@function
__ockl_fprintf_append_string_n:         ; @__ockl_fprintf_append_string_n
; %bb.0:
	s_waitcnt vmcnt(0) expcnt(0) lgkmcnt(0)
	v_or_b32_e32 v2, 2, v0
	v_cmp_eq_u32_e32 vcc, 0, v6
	s_getpc_b64 s[4:5]
	s_add_u32 s4, s4, .str.3@rel32@lo+4
	s_addc_u32 s5, s5, .str.3@rel32@hi+12
	s_mov_b32 s20, 0
	v_cndmask_b32_e32 v36, v2, v0, vcc
	s_mov_b64 s[6:7], 0
	s_cmp_lg_u64 s[4:5], 0
	v_mbcnt_lo_u32_b32 v37, -1, 0
	s_cbranch_scc0 .LBB0_112
; %bb.1:
	s_load_dwordx2 s[10:11], s[8:9], 0x50
	s_getpc_b64 s[4:5]
	s_add_u32 s4, s4, .str.3@rel32@lo+4
	s_addc_u32 s5, s5, .str.3@rel32@hi+12
	v_and_b32_e32 v0, -3, v36
	v_mov_b32_e32 v31, s5
	v_mov_b32_e32 v11, v1
	v_and_b32_e32 v38, 2, v36
	v_mov_b32_e32 v3, 0
	v_mbcnt_hi_u32_b32 v39, -1, v37
	v_mov_b32_e32 v30, s4
	s_movk_i32 s21, 0x1e0
	v_mov_b32_e32 v8, 2
	v_mov_b32_e32 v9, 1
	;; [unrolled: 1-line block ×3, first 2 shown]
	s_branch .LBB0_3
.LBB0_2:                                ;   in Loop: Header=BB0_3 Depth=1
	s_or_b64 exec, exec, s[14:15]
	v_sub_co_u32_e32 v4, vcc, v4, v32
	v_subb_co_u32_e32 v5, vcc, v5, v33, vcc
	v_cmp_eq_u64_e32 vcc, 0, v[4:5]
	s_or_b64 s[6:7], vcc, s[6:7]
	v_add_co_u32_e32 v30, vcc, v30, v32
	v_addc_co_u32_e32 v31, vcc, v31, v33, vcc
	s_andn2_b64 exec, exec, s[6:7]
	s_cbranch_execz .LBB0_85
.LBB0_3:                                ; =>This Loop Header: Depth=1
                                        ;     Child Loop BB0_6 Depth 2
                                        ;     Child Loop BB0_14 Depth 2
	;; [unrolled: 1-line block ×11, first 2 shown]
	v_cmp_gt_u64_e32 vcc, 56, v[4:5]
	v_add_co_u32_e64 v16, s[4:5], 8, v30
	v_cndmask_b32_e32 v33, 0, v5, vcc
	v_cndmask_b32_e32 v32, 56, v4, vcc
	v_cmp_gt_u64_e32 vcc, 8, v[4:5]
	v_addc_co_u32_e64 v17, s[4:5], 0, v31, s[4:5]
	s_and_saveexec_b64 s[4:5], vcc
	s_xor_b64 s[4:5], exec, s[4:5]
	s_cbranch_execz .LBB0_9
; %bb.4:                                ;   in Loop: Header=BB0_3 Depth=1
	s_waitcnt vmcnt(0)
	v_mov_b32_e32 v12, 0
	v_cmp_ne_u64_e32 vcc, 0, v[4:5]
	v_mov_b32_e32 v13, 0
	s_and_saveexec_b64 s[12:13], vcc
	s_cbranch_execz .LBB0_8
; %bb.5:                                ;   in Loop: Header=BB0_3 Depth=1
	v_lshlrev_b64 v[6:7], 3, v[32:33]
	v_mov_b32_e32 v12, 0
	v_mov_b32_e32 v14, v30
	s_mov_b64 s[14:15], 0
	v_mov_b32_e32 v13, 0
	v_mov_b32_e32 v15, v31
	s_mov_b64 s[16:17], 0
.LBB0_6:                                ;   Parent Loop BB0_3 Depth=1
                                        ; =>  This Inner Loop Header: Depth=2
	global_load_ubyte v0, v[14:15], off
	v_mov_b32_e32 v17, s20
	v_add_co_u32_e32 v14, vcc, 1, v14
	v_addc_co_u32_e32 v15, vcc, 0, v15, vcc
	s_waitcnt vmcnt(0)
	v_and_b32_e32 v16, 0xffff, v0
	v_lshlrev_b64 v[16:17], s16, v[16:17]
	s_add_u32 s16, s16, 8
	s_addc_u32 s17, s17, 0
	v_cmp_eq_u32_e32 vcc, s16, v6
	v_or_b32_e32 v13, v17, v13
	s_or_b64 s[14:15], vcc, s[14:15]
	v_or_b32_e32 v12, v16, v12
	s_andn2_b64 exec, exec, s[14:15]
	s_cbranch_execnz .LBB0_6
; %bb.7:                                ;   in Loop: Header=BB0_3 Depth=1
	s_or_b64 exec, exec, s[14:15]
.LBB0_8:                                ;   in Loop: Header=BB0_3 Depth=1
	s_or_b64 exec, exec, s[12:13]
	v_mov_b32_e32 v16, v30
	v_mov_b32_e32 v17, v31
.LBB0_9:                                ;   in Loop: Header=BB0_3 Depth=1
	s_or_saveexec_b64 s[4:5], s[4:5]
	v_mov_b32_e32 v0, 0
	s_xor_b64 exec, exec, s[4:5]
	s_cbranch_execz .LBB0_11
; %bb.10:                               ;   in Loop: Header=BB0_3 Depth=1
	global_load_dwordx2 v[12:13], v[30:31], off
	v_add_u32_e32 v0, -8, v32
.LBB0_11:                               ;   in Loop: Header=BB0_3 Depth=1
	s_or_b64 exec, exec, s[4:5]
	v_add_co_u32_e64 v6, s[4:5], 8, v16
	v_cmp_gt_u32_e32 vcc, 8, v0
	v_addc_co_u32_e64 v7, s[4:5], 0, v17, s[4:5]
                                        ; implicit-def: $vgpr14_vgpr15
	s_and_saveexec_b64 s[4:5], vcc
	s_xor_b64 s[4:5], exec, s[4:5]
	s_cbranch_execz .LBB0_17
; %bb.12:                               ;   in Loop: Header=BB0_3 Depth=1
	v_mov_b32_e32 v14, 0
	v_mov_b32_e32 v15, 0
	v_cmp_ne_u32_e32 vcc, 0, v0
	s_and_saveexec_b64 s[12:13], vcc
	s_cbranch_execz .LBB0_16
; %bb.13:                               ;   in Loop: Header=BB0_3 Depth=1
	v_mov_b32_e32 v14, 0
	s_mov_b64 s[14:15], 0
	v_mov_b32_e32 v15, 0
	s_mov_b64 s[16:17], 0
	s_mov_b64 s[18:19], 0
.LBB0_14:                               ;   Parent Loop BB0_3 Depth=1
                                        ; =>  This Inner Loop Header: Depth=2
	v_mov_b32_e32 v2, s19
	v_add_co_u32_e32 v6, vcc, s18, v16
	v_addc_co_u32_e32 v7, vcc, v17, v2, vcc
	global_load_ubyte v2, v[6:7], off
	s_add_u32 s18, s18, 1
	v_mov_b32_e32 v7, s20
	s_addc_u32 s19, s19, 0
	v_cmp_eq_u32_e32 vcc, s18, v0
	s_waitcnt vmcnt(0)
	v_and_b32_e32 v6, 0xffff, v2
	v_lshlrev_b64 v[6:7], s16, v[6:7]
	s_add_u32 s16, s16, 8
	s_addc_u32 s17, s17, 0
	v_or_b32_e32 v15, v7, v15
	s_or_b64 s[14:15], vcc, s[14:15]
	v_or_b32_e32 v14, v6, v14
	s_andn2_b64 exec, exec, s[14:15]
	s_cbranch_execnz .LBB0_14
; %bb.15:                               ;   in Loop: Header=BB0_3 Depth=1
	s_or_b64 exec, exec, s[14:15]
.LBB0_16:                               ;   in Loop: Header=BB0_3 Depth=1
	s_or_b64 exec, exec, s[12:13]
	v_mov_b32_e32 v6, v16
	v_mov_b32_e32 v7, v17
                                        ; implicit-def: $vgpr0
.LBB0_17:                               ;   in Loop: Header=BB0_3 Depth=1
	s_or_saveexec_b64 s[4:5], s[4:5]
	v_mov_b32_e32 v2, 0
	s_xor_b64 exec, exec, s[4:5]
	s_cbranch_execz .LBB0_19
; %bb.18:                               ;   in Loop: Header=BB0_3 Depth=1
	global_load_dwordx2 v[14:15], v[16:17], off
	v_add_u32_e32 v2, -8, v0
.LBB0_19:                               ;   in Loop: Header=BB0_3 Depth=1
	s_or_b64 exec, exec, s[4:5]
	v_add_co_u32_e64 v20, s[4:5], 8, v6
	v_cmp_gt_u32_e32 vcc, 8, v2
	v_addc_co_u32_e64 v21, s[4:5], 0, v7, s[4:5]
	s_and_saveexec_b64 s[4:5], vcc
	s_xor_b64 s[4:5], exec, s[4:5]
	s_cbranch_execz .LBB0_25
; %bb.20:                               ;   in Loop: Header=BB0_3 Depth=1
	v_mov_b32_e32 v16, 0
	v_mov_b32_e32 v17, 0
	v_cmp_ne_u32_e32 vcc, 0, v2
	s_and_saveexec_b64 s[12:13], vcc
	s_cbranch_execz .LBB0_24
; %bb.21:                               ;   in Loop: Header=BB0_3 Depth=1
	v_mov_b32_e32 v16, 0
	s_mov_b64 s[14:15], 0
	v_mov_b32_e32 v17, 0
	s_mov_b64 s[16:17], 0
	s_mov_b64 s[18:19], 0
.LBB0_22:                               ;   Parent Loop BB0_3 Depth=1
                                        ; =>  This Inner Loop Header: Depth=2
	v_mov_b32_e32 v0, s19
	v_add_co_u32_e32 v18, vcc, s18, v6
	v_addc_co_u32_e32 v19, vcc, v7, v0, vcc
	global_load_ubyte v0, v[18:19], off
	s_add_u32 s18, s18, 1
	v_mov_b32_e32 v19, s20
	s_addc_u32 s19, s19, 0
	v_cmp_eq_u32_e32 vcc, s18, v2
	s_waitcnt vmcnt(0)
	v_and_b32_e32 v18, 0xffff, v0
	v_lshlrev_b64 v[18:19], s16, v[18:19]
	s_add_u32 s16, s16, 8
	s_addc_u32 s17, s17, 0
	v_or_b32_e32 v17, v19, v17
	s_or_b64 s[14:15], vcc, s[14:15]
	v_or_b32_e32 v16, v18, v16
	s_andn2_b64 exec, exec, s[14:15]
	s_cbranch_execnz .LBB0_22
; %bb.23:                               ;   in Loop: Header=BB0_3 Depth=1
	s_or_b64 exec, exec, s[14:15]
.LBB0_24:                               ;   in Loop: Header=BB0_3 Depth=1
	s_or_b64 exec, exec, s[12:13]
	v_mov_b32_e32 v21, v7
	v_mov_b32_e32 v20, v6
                                        ; implicit-def: $vgpr2
.LBB0_25:                               ;   in Loop: Header=BB0_3 Depth=1
	s_or_saveexec_b64 s[4:5], s[4:5]
	v_mov_b32_e32 v0, 0
	s_xor_b64 exec, exec, s[4:5]
	s_cbranch_execz .LBB0_27
; %bb.26:                               ;   in Loop: Header=BB0_3 Depth=1
	global_load_dwordx2 v[16:17], v[6:7], off
	v_add_u32_e32 v0, -8, v2
.LBB0_27:                               ;   in Loop: Header=BB0_3 Depth=1
	s_or_b64 exec, exec, s[4:5]
	v_add_co_u32_e64 v6, s[4:5], 8, v20
	v_cmp_gt_u32_e32 vcc, 8, v0
	v_addc_co_u32_e64 v7, s[4:5], 0, v21, s[4:5]
                                        ; implicit-def: $vgpr18_vgpr19
	s_and_saveexec_b64 s[4:5], vcc
	s_xor_b64 s[4:5], exec, s[4:5]
	s_cbranch_execz .LBB0_33
; %bb.28:                               ;   in Loop: Header=BB0_3 Depth=1
	v_mov_b32_e32 v18, 0
	v_mov_b32_e32 v19, 0
	v_cmp_ne_u32_e32 vcc, 0, v0
	s_and_saveexec_b64 s[12:13], vcc
	s_cbranch_execz .LBB0_32
; %bb.29:                               ;   in Loop: Header=BB0_3 Depth=1
	v_mov_b32_e32 v18, 0
	s_mov_b64 s[14:15], 0
	v_mov_b32_e32 v19, 0
	s_mov_b64 s[16:17], 0
	s_mov_b64 s[18:19], 0
.LBB0_30:                               ;   Parent Loop BB0_3 Depth=1
                                        ; =>  This Inner Loop Header: Depth=2
	v_mov_b32_e32 v2, s19
	v_add_co_u32_e32 v6, vcc, s18, v20
	v_addc_co_u32_e32 v7, vcc, v21, v2, vcc
	global_load_ubyte v2, v[6:7], off
	s_add_u32 s18, s18, 1
	v_mov_b32_e32 v7, s20
	s_addc_u32 s19, s19, 0
	v_cmp_eq_u32_e32 vcc, s18, v0
	s_waitcnt vmcnt(0)
	v_and_b32_e32 v6, 0xffff, v2
	v_lshlrev_b64 v[6:7], s16, v[6:7]
	s_add_u32 s16, s16, 8
	s_addc_u32 s17, s17, 0
	v_or_b32_e32 v19, v7, v19
	s_or_b64 s[14:15], vcc, s[14:15]
	v_or_b32_e32 v18, v6, v18
	s_andn2_b64 exec, exec, s[14:15]
	s_cbranch_execnz .LBB0_30
; %bb.31:                               ;   in Loop: Header=BB0_3 Depth=1
	s_or_b64 exec, exec, s[14:15]
.LBB0_32:                               ;   in Loop: Header=BB0_3 Depth=1
	s_or_b64 exec, exec, s[12:13]
	v_mov_b32_e32 v6, v20
	v_mov_b32_e32 v7, v21
                                        ; implicit-def: $vgpr0
.LBB0_33:                               ;   in Loop: Header=BB0_3 Depth=1
	s_or_saveexec_b64 s[4:5], s[4:5]
	v_mov_b32_e32 v2, 0
	s_xor_b64 exec, exec, s[4:5]
	s_cbranch_execz .LBB0_35
; %bb.34:                               ;   in Loop: Header=BB0_3 Depth=1
	global_load_dwordx2 v[18:19], v[20:21], off
	v_add_u32_e32 v2, -8, v0
.LBB0_35:                               ;   in Loop: Header=BB0_3 Depth=1
	s_or_b64 exec, exec, s[4:5]
	v_add_co_u32_e64 v24, s[4:5], 8, v6
	v_cmp_gt_u32_e32 vcc, 8, v2
	v_addc_co_u32_e64 v25, s[4:5], 0, v7, s[4:5]
	s_and_saveexec_b64 s[4:5], vcc
	s_xor_b64 s[4:5], exec, s[4:5]
	s_cbranch_execz .LBB0_41
; %bb.36:                               ;   in Loop: Header=BB0_3 Depth=1
	v_mov_b32_e32 v20, 0
	v_mov_b32_e32 v21, 0
	v_cmp_ne_u32_e32 vcc, 0, v2
	s_and_saveexec_b64 s[12:13], vcc
	s_cbranch_execz .LBB0_40
; %bb.37:                               ;   in Loop: Header=BB0_3 Depth=1
	v_mov_b32_e32 v20, 0
	s_mov_b64 s[14:15], 0
	v_mov_b32_e32 v21, 0
	s_mov_b64 s[16:17], 0
	s_mov_b64 s[18:19], 0
.LBB0_38:                               ;   Parent Loop BB0_3 Depth=1
                                        ; =>  This Inner Loop Header: Depth=2
	v_mov_b32_e32 v0, s19
	v_add_co_u32_e32 v22, vcc, s18, v6
	v_addc_co_u32_e32 v23, vcc, v7, v0, vcc
	global_load_ubyte v0, v[22:23], off
	s_add_u32 s18, s18, 1
	v_mov_b32_e32 v23, s20
	s_addc_u32 s19, s19, 0
	v_cmp_eq_u32_e32 vcc, s18, v2
	s_waitcnt vmcnt(0)
	v_and_b32_e32 v22, 0xffff, v0
	v_lshlrev_b64 v[22:23], s16, v[22:23]
	s_add_u32 s16, s16, 8
	s_addc_u32 s17, s17, 0
	v_or_b32_e32 v21, v23, v21
	s_or_b64 s[14:15], vcc, s[14:15]
	v_or_b32_e32 v20, v22, v20
	s_andn2_b64 exec, exec, s[14:15]
	s_cbranch_execnz .LBB0_38
; %bb.39:                               ;   in Loop: Header=BB0_3 Depth=1
	s_or_b64 exec, exec, s[14:15]
.LBB0_40:                               ;   in Loop: Header=BB0_3 Depth=1
	s_or_b64 exec, exec, s[12:13]
	v_mov_b32_e32 v25, v7
	v_mov_b32_e32 v24, v6
                                        ; implicit-def: $vgpr2
.LBB0_41:                               ;   in Loop: Header=BB0_3 Depth=1
	s_or_saveexec_b64 s[4:5], s[4:5]
	v_mov_b32_e32 v0, 0
	s_xor_b64 exec, exec, s[4:5]
	s_cbranch_execz .LBB0_43
; %bb.42:                               ;   in Loop: Header=BB0_3 Depth=1
	global_load_dwordx2 v[20:21], v[6:7], off
	v_add_u32_e32 v0, -8, v2
.LBB0_43:                               ;   in Loop: Header=BB0_3 Depth=1
	s_or_b64 exec, exec, s[4:5]
	v_add_co_u32_e64 v6, s[4:5], 8, v24
	v_cmp_gt_u32_e32 vcc, 8, v0
	v_addc_co_u32_e64 v7, s[4:5], 0, v25, s[4:5]
                                        ; implicit-def: $vgpr22_vgpr23
	s_and_saveexec_b64 s[4:5], vcc
	s_xor_b64 s[4:5], exec, s[4:5]
	s_cbranch_execz .LBB0_49
; %bb.44:                               ;   in Loop: Header=BB0_3 Depth=1
	v_mov_b32_e32 v22, 0
	v_mov_b32_e32 v23, 0
	v_cmp_ne_u32_e32 vcc, 0, v0
	s_and_saveexec_b64 s[12:13], vcc
	s_cbranch_execz .LBB0_48
; %bb.45:                               ;   in Loop: Header=BB0_3 Depth=1
	v_mov_b32_e32 v22, 0
	s_mov_b64 s[14:15], 0
	v_mov_b32_e32 v23, 0
	s_mov_b64 s[16:17], 0
	s_mov_b64 s[18:19], 0
.LBB0_46:                               ;   Parent Loop BB0_3 Depth=1
                                        ; =>  This Inner Loop Header: Depth=2
	v_mov_b32_e32 v2, s19
	v_add_co_u32_e32 v6, vcc, s18, v24
	v_addc_co_u32_e32 v7, vcc, v25, v2, vcc
	global_load_ubyte v2, v[6:7], off
	s_add_u32 s18, s18, 1
	v_mov_b32_e32 v7, s20
	s_addc_u32 s19, s19, 0
	v_cmp_eq_u32_e32 vcc, s18, v0
	s_waitcnt vmcnt(0)
	v_and_b32_e32 v6, 0xffff, v2
	v_lshlrev_b64 v[6:7], s16, v[6:7]
	s_add_u32 s16, s16, 8
	s_addc_u32 s17, s17, 0
	v_or_b32_e32 v23, v7, v23
	s_or_b64 s[14:15], vcc, s[14:15]
	v_or_b32_e32 v22, v6, v22
	s_andn2_b64 exec, exec, s[14:15]
	s_cbranch_execnz .LBB0_46
; %bb.47:                               ;   in Loop: Header=BB0_3 Depth=1
	s_or_b64 exec, exec, s[14:15]
.LBB0_48:                               ;   in Loop: Header=BB0_3 Depth=1
	s_or_b64 exec, exec, s[12:13]
	v_mov_b32_e32 v6, v24
	v_mov_b32_e32 v7, v25
                                        ; implicit-def: $vgpr0
.LBB0_49:                               ;   in Loop: Header=BB0_3 Depth=1
	s_or_saveexec_b64 s[4:5], s[4:5]
	v_mov_b32_e32 v2, 0
	s_xor_b64 exec, exec, s[4:5]
	s_cbranch_execz .LBB0_51
; %bb.50:                               ;   in Loop: Header=BB0_3 Depth=1
	global_load_dwordx2 v[22:23], v[24:25], off
	v_add_u32_e32 v2, -8, v0
.LBB0_51:                               ;   in Loop: Header=BB0_3 Depth=1
	s_or_b64 exec, exec, s[4:5]
	v_cmp_gt_u32_e32 vcc, 8, v2
	s_and_saveexec_b64 s[4:5], vcc
	s_xor_b64 s[4:5], exec, s[4:5]
	s_cbranch_execz .LBB0_57
; %bb.52:                               ;   in Loop: Header=BB0_3 Depth=1
	v_mov_b32_e32 v24, 0
	v_mov_b32_e32 v25, 0
	v_cmp_ne_u32_e32 vcc, 0, v2
	s_and_saveexec_b64 s[12:13], vcc
	s_cbranch_execz .LBB0_56
; %bb.53:                               ;   in Loop: Header=BB0_3 Depth=1
	v_mov_b32_e32 v24, 0
	s_mov_b64 s[14:15], 0
	v_mov_b32_e32 v25, 0
	s_mov_b64 s[16:17], 0
.LBB0_54:                               ;   Parent Loop BB0_3 Depth=1
                                        ; =>  This Inner Loop Header: Depth=2
	global_load_ubyte v0, v[6:7], off
	v_mov_b32_e32 v27, s20
	v_add_co_u32_e32 v6, vcc, 1, v6
	v_add_u32_e32 v2, -1, v2
	v_addc_co_u32_e32 v7, vcc, 0, v7, vcc
	v_cmp_eq_u32_e32 vcc, 0, v2
	s_waitcnt vmcnt(0)
	v_and_b32_e32 v26, 0xffff, v0
	v_lshlrev_b64 v[26:27], s16, v[26:27]
	s_add_u32 s16, s16, 8
	s_addc_u32 s17, s17, 0
	v_or_b32_e32 v25, v27, v25
	s_or_b64 s[14:15], vcc, s[14:15]
	v_or_b32_e32 v24, v26, v24
	s_andn2_b64 exec, exec, s[14:15]
	s_cbranch_execnz .LBB0_54
; %bb.55:                               ;   in Loop: Header=BB0_3 Depth=1
	s_or_b64 exec, exec, s[14:15]
.LBB0_56:                               ;   in Loop: Header=BB0_3 Depth=1
	s_or_b64 exec, exec, s[12:13]
                                        ; implicit-def: $vgpr6_vgpr7
.LBB0_57:                               ;   in Loop: Header=BB0_3 Depth=1
	s_andn2_saveexec_b64 s[4:5], s[4:5]
	s_cbranch_execz .LBB0_59
; %bb.58:                               ;   in Loop: Header=BB0_3 Depth=1
	global_load_dwordx2 v[24:25], v[6:7], off
.LBB0_59:                               ;   in Loop: Header=BB0_3 Depth=1
	s_or_b64 exec, exec, s[4:5]
	v_readfirstlane_b32 s4, v39
	v_mov_b32_e32 v6, 0
	v_mov_b32_e32 v7, 0
	v_cmp_eq_u32_e64 s[4:5], s4, v39
	s_and_saveexec_b64 s[12:13], s[4:5]
	s_cbranch_execz .LBB0_65
; %bb.60:                               ;   in Loop: Header=BB0_3 Depth=1
	s_waitcnt lgkmcnt(0)
	global_load_dwordx2 v[28:29], v3, s[10:11] offset:24 glc
	s_waitcnt vmcnt(0)
	buffer_wbinvl1_vol
	global_load_dwordx2 v[6:7], v3, s[10:11] offset:40
	global_load_dwordx2 v[26:27], v3, s[10:11]
	s_waitcnt vmcnt(1)
	v_and_b32_e32 v0, v6, v28
	v_and_b32_e32 v2, v7, v29
	v_mul_lo_u32 v2, v2, 24
	v_mul_hi_u32 v6, v0, 24
	v_mul_lo_u32 v0, v0, 24
	v_add_u32_e32 v2, v6, v2
	s_waitcnt vmcnt(0)
	v_add_co_u32_e32 v6, vcc, v26, v0
	v_addc_co_u32_e32 v7, vcc, v27, v2, vcc
	global_load_dwordx2 v[26:27], v[6:7], off glc
	s_waitcnt vmcnt(0)
	global_atomic_cmpswap_x2 v[6:7], v3, v[26:29], s[10:11] offset:24 glc
	s_waitcnt vmcnt(0)
	buffer_wbinvl1_vol
	v_cmp_ne_u64_e32 vcc, v[6:7], v[28:29]
	s_and_saveexec_b64 s[14:15], vcc
	s_cbranch_execz .LBB0_64
; %bb.61:                               ;   in Loop: Header=BB0_3 Depth=1
	s_mov_b64 s[16:17], 0
.LBB0_62:                               ;   Parent Loop BB0_3 Depth=1
                                        ; =>  This Inner Loop Header: Depth=2
	s_sleep 1
	global_load_dwordx2 v[26:27], v3, s[10:11] offset:40
	global_load_dwordx2 v[34:35], v3, s[10:11]
	v_mov_b32_e32 v29, v7
	v_mov_b32_e32 v28, v6
	s_waitcnt vmcnt(1)
	v_and_b32_e32 v0, v26, v28
	s_waitcnt vmcnt(0)
	v_mad_u64_u32 v[6:7], s[18:19], v0, 24, v[34:35]
	v_and_b32_e32 v2, v27, v29
	v_mov_b32_e32 v0, v7
	v_mad_u64_u32 v[26:27], s[18:19], v2, 24, v[0:1]
	v_mov_b32_e32 v7, v26
	global_load_dwordx2 v[26:27], v[6:7], off glc
	s_waitcnt vmcnt(0)
	global_atomic_cmpswap_x2 v[6:7], v3, v[26:29], s[10:11] offset:24 glc
	s_waitcnt vmcnt(0)
	buffer_wbinvl1_vol
	v_cmp_eq_u64_e32 vcc, v[6:7], v[28:29]
	s_or_b64 s[16:17], vcc, s[16:17]
	s_andn2_b64 exec, exec, s[16:17]
	s_cbranch_execnz .LBB0_62
; %bb.63:                               ;   in Loop: Header=BB0_3 Depth=1
	s_or_b64 exec, exec, s[16:17]
.LBB0_64:                               ;   in Loop: Header=BB0_3 Depth=1
	s_or_b64 exec, exec, s[14:15]
.LBB0_65:                               ;   in Loop: Header=BB0_3 Depth=1
	s_or_b64 exec, exec, s[12:13]
	s_waitcnt lgkmcnt(0)
	global_load_dwordx2 v[34:35], v3, s[10:11] offset:40
	global_load_dwordx4 v[26:29], v3, s[10:11]
	v_readfirstlane_b32 s13, v7
	v_readfirstlane_b32 s12, v6
	s_mov_b64 s[14:15], exec
	s_waitcnt vmcnt(1)
	v_readfirstlane_b32 s16, v34
	v_readfirstlane_b32 s17, v35
	s_and_b64 s[16:17], s[16:17], s[12:13]
	s_mul_i32 s18, s17, 24
	s_mul_hi_u32 s19, s16, 24
	s_mul_i32 s22, s16, 24
	s_add_i32 s18, s19, s18
	v_mov_b32_e32 v0, s18
	s_waitcnt vmcnt(0)
	v_add_co_u32_e32 v34, vcc, s22, v26
	v_addc_co_u32_e32 v35, vcc, v27, v0, vcc
	s_and_saveexec_b64 s[18:19], s[4:5]
	s_cbranch_execz .LBB0_67
; %bb.66:                               ;   in Loop: Header=BB0_3 Depth=1
	v_mov_b32_e32 v6, s14
	v_mov_b32_e32 v7, s15
	global_store_dwordx4 v[34:35], v[6:9], off offset:8
.LBB0_67:                               ;   in Loop: Header=BB0_3 Depth=1
	s_or_b64 exec, exec, s[18:19]
	s_lshl_b64 s[14:15], s[16:17], 12
	v_mov_b32_e32 v2, s15
	v_add_co_u32_e32 v0, vcc, s14, v28
	v_addc_co_u32_e32 v28, vcc, v29, v2, vcc
	v_cmp_gt_u64_e32 vcc, 57, v[4:5]
	v_and_b32_e32 v7, 0xffffff1f, v10
	v_cndmask_b32_e32 v2, 0, v38, vcc
	v_lshl_add_u32 v6, v32, 2, 28
	v_or_b32_e32 v2, v7, v2
	v_and_or_b32 v10, v6, s21, v2
	v_lshlrev_b32_e32 v29, 6, v39
	v_readfirstlane_b32 s14, v0
	v_readfirstlane_b32 s15, v28
	s_nop 4
	global_store_dwordx4 v29, v[10:13], s[14:15]
	global_store_dwordx4 v29, v[14:17], s[14:15] offset:16
	global_store_dwordx4 v29, v[18:21], s[14:15] offset:32
	;; [unrolled: 1-line block ×3, first 2 shown]
	s_and_saveexec_b64 s[14:15], s[4:5]
	s_cbranch_execz .LBB0_75
; %bb.68:                               ;   in Loop: Header=BB0_3 Depth=1
	global_load_dwordx2 v[14:15], v3, s[10:11] offset:32 glc
	global_load_dwordx2 v[6:7], v3, s[10:11] offset:40
	v_mov_b32_e32 v12, s12
	v_mov_b32_e32 v13, s13
	s_waitcnt vmcnt(0)
	v_readfirstlane_b32 s16, v6
	v_readfirstlane_b32 s17, v7
	s_and_b64 s[16:17], s[16:17], s[12:13]
	s_mul_i32 s17, s17, 24
	s_mul_hi_u32 s18, s16, 24
	s_mul_i32 s16, s16, 24
	s_add_i32 s17, s18, s17
	v_mov_b32_e32 v2, s17
	v_add_co_u32_e32 v6, vcc, s16, v26
	v_addc_co_u32_e32 v7, vcc, v27, v2, vcc
	global_store_dwordx2 v[6:7], v[14:15], off
	s_waitcnt vmcnt(0)
	global_atomic_cmpswap_x2 v[12:13], v3, v[12:15], s[10:11] offset:32 glc
	s_waitcnt vmcnt(0)
	v_cmp_ne_u64_e32 vcc, v[12:13], v[14:15]
	s_and_saveexec_b64 s[16:17], vcc
	s_cbranch_execz .LBB0_71
; %bb.69:                               ;   in Loop: Header=BB0_3 Depth=1
	s_mov_b64 s[18:19], 0
.LBB0_70:                               ;   Parent Loop BB0_3 Depth=1
                                        ; =>  This Inner Loop Header: Depth=2
	s_sleep 1
	global_store_dwordx2 v[6:7], v[12:13], off
	v_mov_b32_e32 v10, s12
	v_mov_b32_e32 v11, s13
	s_waitcnt vmcnt(0)
	global_atomic_cmpswap_x2 v[10:11], v3, v[10:13], s[10:11] offset:32 glc
	s_waitcnt vmcnt(0)
	v_cmp_eq_u64_e32 vcc, v[10:11], v[12:13]
	v_mov_b32_e32 v13, v11
	s_or_b64 s[18:19], vcc, s[18:19]
	v_mov_b32_e32 v12, v10
	s_andn2_b64 exec, exec, s[18:19]
	s_cbranch_execnz .LBB0_70
.LBB0_71:                               ;   in Loop: Header=BB0_3 Depth=1
	s_or_b64 exec, exec, s[16:17]
	global_load_dwordx2 v[6:7], v3, s[10:11] offset:16
	s_mov_b64 s[18:19], exec
	v_mbcnt_lo_u32_b32 v2, s18, 0
	v_mbcnt_hi_u32_b32 v2, s19, v2
	v_cmp_eq_u32_e32 vcc, 0, v2
	s_and_saveexec_b64 s[16:17], vcc
	s_cbranch_execz .LBB0_73
; %bb.72:                               ;   in Loop: Header=BB0_3 Depth=1
	s_bcnt1_i32_b64 s18, s[18:19]
	v_mov_b32_e32 v2, s18
	s_waitcnt vmcnt(0)
	global_atomic_add_x2 v[6:7], v[2:3], off offset:8
.LBB0_73:                               ;   in Loop: Header=BB0_3 Depth=1
	s_or_b64 exec, exec, s[16:17]
	s_waitcnt vmcnt(0)
	global_load_dwordx2 v[10:11], v[6:7], off offset:16
	s_waitcnt vmcnt(0)
	v_cmp_eq_u64_e32 vcc, 0, v[10:11]
	s_cbranch_vccnz .LBB0_75
; %bb.74:                               ;   in Loop: Header=BB0_3 Depth=1
	global_load_dword v2, v[6:7], off offset:24
	s_waitcnt vmcnt(0)
	v_readfirstlane_b32 s16, v2
	s_and_b32 m0, s16, 0xffffff
	global_store_dwordx2 v[10:11], v[2:3], off
	s_sendmsg sendmsg(MSG_INTERRUPT)
.LBB0_75:                               ;   in Loop: Header=BB0_3 Depth=1
	s_or_b64 exec, exec, s[14:15]
	v_add_co_u32_e32 v6, vcc, v0, v29
	v_addc_co_u32_e32 v7, vcc, 0, v28, vcc
	s_branch .LBB0_79
.LBB0_76:                               ;   in Loop: Header=BB0_79 Depth=2
	s_or_b64 exec, exec, s[14:15]
	v_readfirstlane_b32 s14, v0
	s_cmp_eq_u32 s14, 0
	s_cbranch_scc1 .LBB0_78
; %bb.77:                               ;   in Loop: Header=BB0_79 Depth=2
	s_sleep 1
	s_cbranch_execnz .LBB0_79
	s_branch .LBB0_81
.LBB0_78:                               ;   in Loop: Header=BB0_3 Depth=1
	s_branch .LBB0_81
.LBB0_79:                               ;   Parent Loop BB0_3 Depth=1
                                        ; =>  This Inner Loop Header: Depth=2
	v_mov_b32_e32 v0, 1
	s_and_saveexec_b64 s[14:15], s[4:5]
	s_cbranch_execz .LBB0_76
; %bb.80:                               ;   in Loop: Header=BB0_79 Depth=2
	global_load_dword v0, v[34:35], off offset:20 glc
	s_waitcnt vmcnt(0)
	buffer_wbinvl1_vol
	v_and_b32_e32 v0, 1, v0
	s_branch .LBB0_76
.LBB0_81:                               ;   in Loop: Header=BB0_3 Depth=1
	global_load_dwordx4 v[10:13], v[6:7], off
	s_and_saveexec_b64 s[14:15], s[4:5]
	s_cbranch_execz .LBB0_2
; %bb.82:                               ;   in Loop: Header=BB0_3 Depth=1
	global_load_dwordx2 v[6:7], v3, s[10:11] offset:40
	global_load_dwordx2 v[16:17], v3, s[10:11] offset:24 glc
	global_load_dwordx2 v[12:13], v3, s[10:11]
	s_waitcnt vmcnt(2)
	v_readfirstlane_b32 s16, v6
	v_readfirstlane_b32 s17, v7
	s_add_u32 s18, s16, 1
	s_addc_u32 s19, s17, 0
	s_add_u32 s4, s18, s12
	s_addc_u32 s5, s19, s13
	s_cmp_eq_u64 s[4:5], 0
	s_cselect_b32 s5, s19, s5
	s_cselect_b32 s4, s18, s4
	s_and_b64 s[12:13], s[4:5], s[16:17]
	s_mul_i32 s13, s13, 24
	s_mul_hi_u32 s16, s12, 24
	s_mul_i32 s12, s12, 24
	s_add_i32 s13, s16, s13
	v_mov_b32_e32 v0, s13
	s_waitcnt vmcnt(0)
	v_add_co_u32_e32 v6, vcc, s12, v12
	v_addc_co_u32_e32 v7, vcc, v13, v0, vcc
	v_mov_b32_e32 v14, s4
	global_store_dwordx2 v[6:7], v[16:17], off
	v_mov_b32_e32 v15, s5
	s_waitcnt vmcnt(0)
	global_atomic_cmpswap_x2 v[14:15], v3, v[14:17], s[10:11] offset:24 glc
	s_waitcnt vmcnt(0)
	v_cmp_ne_u64_e32 vcc, v[14:15], v[16:17]
	s_and_b64 exec, exec, vcc
	s_cbranch_execz .LBB0_2
; %bb.83:                               ;   in Loop: Header=BB0_3 Depth=1
	s_mov_b64 s[12:13], 0
.LBB0_84:                               ;   Parent Loop BB0_3 Depth=1
                                        ; =>  This Inner Loop Header: Depth=2
	s_sleep 1
	global_store_dwordx2 v[6:7], v[14:15], off
	v_mov_b32_e32 v12, s4
	v_mov_b32_e32 v13, s5
	s_waitcnt vmcnt(0)
	global_atomic_cmpswap_x2 v[12:13], v3, v[12:15], s[10:11] offset:24 glc
	s_waitcnt vmcnt(0)
	v_cmp_eq_u64_e32 vcc, v[12:13], v[14:15]
	v_mov_b32_e32 v15, v13
	s_or_b64 s[12:13], vcc, s[12:13]
	v_mov_b32_e32 v14, v12
	s_andn2_b64 exec, exec, s[12:13]
	s_cbranch_execnz .LBB0_84
	s_branch .LBB0_2
.LBB0_85:
	s_or_b64 exec, exec, s[6:7]
	s_branch .LBB0_113
.LBB0_86:
	s_load_dwordx2 s[6:7], s[8:9], 0x50
	v_mbcnt_hi_u32_b32 v3, -1, v37
	v_readfirstlane_b32 s4, v3
	v_mov_b32_e32 v8, 0
	v_mov_b32_e32 v9, 0
	v_cmp_eq_u32_e64 s[4:5], s4, v3
	s_and_saveexec_b64 s[8:9], s[4:5]
	s_cbranch_execz .LBB0_92
; %bb.87:
	v_mov_b32_e32 v0, 0
	s_waitcnt lgkmcnt(0)
	global_load_dwordx2 v[6:7], v0, s[6:7] offset:24 glc
	s_waitcnt vmcnt(0)
	buffer_wbinvl1_vol
	global_load_dwordx2 v[4:5], v0, s[6:7] offset:40
	global_load_dwordx2 v[8:9], v0, s[6:7]
	s_waitcnt vmcnt(1)
	v_and_b32_e32 v2, v4, v6
	v_and_b32_e32 v4, v5, v7
	v_mul_lo_u32 v4, v4, 24
	v_mul_hi_u32 v5, v2, 24
	v_mul_lo_u32 v2, v2, 24
	v_add_u32_e32 v5, v5, v4
	s_waitcnt vmcnt(0)
	v_add_co_u32_e32 v4, vcc, v8, v2
	v_addc_co_u32_e32 v5, vcc, v9, v5, vcc
	global_load_dwordx2 v[4:5], v[4:5], off glc
	s_waitcnt vmcnt(0)
	global_atomic_cmpswap_x2 v[8:9], v0, v[4:7], s[6:7] offset:24 glc
	s_waitcnt vmcnt(0)
	buffer_wbinvl1_vol
	v_cmp_ne_u64_e32 vcc, v[8:9], v[6:7]
	s_and_saveexec_b64 s[10:11], vcc
	s_cbranch_execz .LBB0_91
; %bb.88:
	s_mov_b64 s[12:13], 0
.LBB0_89:                               ; =>This Inner Loop Header: Depth=1
	s_sleep 1
	global_load_dwordx2 v[4:5], v0, s[6:7] offset:40
	global_load_dwordx2 v[10:11], v0, s[6:7]
	v_mov_b32_e32 v6, v8
	v_mov_b32_e32 v7, v9
	s_waitcnt vmcnt(1)
	v_and_b32_e32 v2, v4, v6
	s_waitcnt vmcnt(0)
	v_mad_u64_u32 v[8:9], s[14:15], v2, 24, v[10:11]
	v_and_b32_e32 v4, v5, v7
	v_mov_b32_e32 v2, v9
	v_mad_u64_u32 v[4:5], s[14:15], v4, 24, v[2:3]
	v_mov_b32_e32 v9, v4
	global_load_dwordx2 v[4:5], v[8:9], off glc
	s_waitcnt vmcnt(0)
	global_atomic_cmpswap_x2 v[8:9], v0, v[4:7], s[6:7] offset:24 glc
	s_waitcnt vmcnt(0)
	buffer_wbinvl1_vol
	v_cmp_eq_u64_e32 vcc, v[8:9], v[6:7]
	s_or_b64 s[12:13], vcc, s[12:13]
	s_andn2_b64 exec, exec, s[12:13]
	s_cbranch_execnz .LBB0_89
; %bb.90:
	s_or_b64 exec, exec, s[12:13]
.LBB0_91:
	s_or_b64 exec, exec, s[10:11]
.LBB0_92:
	s_or_b64 exec, exec, s[8:9]
	v_mov_b32_e32 v2, 0
	s_waitcnt lgkmcnt(0)
	global_load_dwordx2 v[10:11], v2, s[6:7] offset:40
	global_load_dwordx4 v[4:7], v2, s[6:7]
	v_readfirstlane_b32 s9, v9
	v_readfirstlane_b32 s8, v8
	s_mov_b64 s[10:11], exec
	s_waitcnt vmcnt(1)
	v_readfirstlane_b32 s12, v10
	v_readfirstlane_b32 s13, v11
	s_and_b64 s[12:13], s[12:13], s[8:9]
	s_mul_i32 s14, s13, 24
	s_mul_hi_u32 s15, s12, 24
	s_mul_i32 s16, s12, 24
	s_add_i32 s14, s15, s14
	v_mov_b32_e32 v0, s14
	s_waitcnt vmcnt(0)
	v_add_co_u32_e32 v8, vcc, s16, v4
	v_addc_co_u32_e32 v9, vcc, v5, v0, vcc
	s_and_saveexec_b64 s[14:15], s[4:5]
	s_cbranch_execz .LBB0_94
; %bb.93:
	v_mov_b32_e32 v10, s10
	v_mov_b32_e32 v11, s11
	;; [unrolled: 1-line block ×4, first 2 shown]
	global_store_dwordx4 v[8:9], v[10:13], off offset:8
.LBB0_94:
	s_or_b64 exec, exec, s[14:15]
	s_lshl_b64 s[10:11], s[12:13], 12
	v_mov_b32_e32 v0, s11
	v_add_co_u32_e32 v6, vcc, s10, v6
	v_addc_co_u32_e32 v7, vcc, v7, v0, vcc
	s_movk_i32 s10, 0xff1f
	v_and_or_b32 v0, v36, s10, 32
	v_lshlrev_b32_e32 v10, 6, v3
	s_mov_b32 s12, 0
	v_mov_b32_e32 v3, v2
	v_readfirstlane_b32 s10, v6
	v_readfirstlane_b32 s11, v7
	s_mov_b32 s13, s12
	s_mov_b32 s14, s12
	;; [unrolled: 1-line block ×3, first 2 shown]
	s_nop 1
	global_store_dwordx4 v10, v[0:3], s[10:11]
	s_nop 0
	v_mov_b32_e32 v0, s12
	v_mov_b32_e32 v1, s13
	;; [unrolled: 1-line block ×4, first 2 shown]
	global_store_dwordx4 v10, v[0:3], s[10:11] offset:16
	global_store_dwordx4 v10, v[0:3], s[10:11] offset:32
	;; [unrolled: 1-line block ×3, first 2 shown]
	s_and_saveexec_b64 s[10:11], s[4:5]
	s_cbranch_execz .LBB0_102
; %bb.95:
	v_mov_b32_e32 v6, 0
	global_load_dwordx2 v[12:13], v6, s[6:7] offset:32 glc
	global_load_dwordx2 v[0:1], v6, s[6:7] offset:40
	v_mov_b32_e32 v10, s8
	v_mov_b32_e32 v11, s9
	s_waitcnt vmcnt(0)
	v_and_b32_e32 v0, s8, v0
	v_and_b32_e32 v1, s9, v1
	v_mul_lo_u32 v1, v1, 24
	v_mul_hi_u32 v2, v0, 24
	v_mul_lo_u32 v0, v0, 24
	v_add_u32_e32 v1, v2, v1
	v_add_co_u32_e32 v4, vcc, v4, v0
	v_addc_co_u32_e32 v5, vcc, v5, v1, vcc
	global_store_dwordx2 v[4:5], v[12:13], off
	s_waitcnt vmcnt(0)
	global_atomic_cmpswap_x2 v[2:3], v6, v[10:13], s[6:7] offset:32 glc
	s_waitcnt vmcnt(0)
	v_cmp_ne_u64_e32 vcc, v[2:3], v[12:13]
	s_and_saveexec_b64 s[12:13], vcc
	s_cbranch_execz .LBB0_98
; %bb.96:
	s_mov_b64 s[14:15], 0
.LBB0_97:                               ; =>This Inner Loop Header: Depth=1
	s_sleep 1
	global_store_dwordx2 v[4:5], v[2:3], off
	v_mov_b32_e32 v0, s8
	v_mov_b32_e32 v1, s9
	s_waitcnt vmcnt(0)
	global_atomic_cmpswap_x2 v[0:1], v6, v[0:3], s[6:7] offset:32 glc
	s_waitcnt vmcnt(0)
	v_cmp_eq_u64_e32 vcc, v[0:1], v[2:3]
	v_mov_b32_e32 v3, v1
	s_or_b64 s[14:15], vcc, s[14:15]
	v_mov_b32_e32 v2, v0
	s_andn2_b64 exec, exec, s[14:15]
	s_cbranch_execnz .LBB0_97
.LBB0_98:
	s_or_b64 exec, exec, s[12:13]
	v_mov_b32_e32 v3, 0
	global_load_dwordx2 v[0:1], v3, s[6:7] offset:16
	s_mov_b64 s[12:13], exec
	v_mbcnt_lo_u32_b32 v2, s12, 0
	v_mbcnt_hi_u32_b32 v2, s13, v2
	v_cmp_eq_u32_e32 vcc, 0, v2
	s_and_saveexec_b64 s[14:15], vcc
	s_cbranch_execz .LBB0_100
; %bb.99:
	s_bcnt1_i32_b64 s12, s[12:13]
	v_mov_b32_e32 v2, s12
	s_waitcnt vmcnt(0)
	global_atomic_add_x2 v[0:1], v[2:3], off offset:8
.LBB0_100:
	s_or_b64 exec, exec, s[14:15]
	s_waitcnt vmcnt(0)
	global_load_dwordx2 v[2:3], v[0:1], off offset:16
	s_waitcnt vmcnt(0)
	v_cmp_eq_u64_e32 vcc, 0, v[2:3]
	s_cbranch_vccnz .LBB0_102
; %bb.101:
	global_load_dword v0, v[0:1], off offset:24
	v_mov_b32_e32 v1, 0
	s_waitcnt vmcnt(0)
	v_readfirstlane_b32 s12, v0
	s_and_b32 m0, s12, 0xffffff
	global_store_dwordx2 v[2:3], v[0:1], off
	s_sendmsg sendmsg(MSG_INTERRUPT)
.LBB0_102:
	s_or_b64 exec, exec, s[10:11]
	s_branch .LBB0_106
.LBB0_103:                              ;   in Loop: Header=BB0_106 Depth=1
	s_or_b64 exec, exec, s[10:11]
	v_readfirstlane_b32 s10, v0
	s_cmp_eq_u32 s10, 0
	s_cbranch_scc1 .LBB0_105
; %bb.104:                              ;   in Loop: Header=BB0_106 Depth=1
	s_sleep 1
	s_cbranch_execnz .LBB0_106
	s_branch .LBB0_108
.LBB0_105:
	s_branch .LBB0_108
.LBB0_106:                              ; =>This Inner Loop Header: Depth=1
	v_mov_b32_e32 v0, 1
	s_and_saveexec_b64 s[10:11], s[4:5]
	s_cbranch_execz .LBB0_103
; %bb.107:                              ;   in Loop: Header=BB0_106 Depth=1
	global_load_dword v0, v[8:9], off offset:20 glc
	s_waitcnt vmcnt(0)
	buffer_wbinvl1_vol
	v_and_b32_e32 v0, 1, v0
	s_branch .LBB0_103
.LBB0_108:
	s_and_saveexec_b64 s[10:11], s[4:5]
	s_cbranch_execz .LBB0_111
; %bb.109:
	v_mov_b32_e32 v6, 0
	global_load_dwordx2 v[0:1], v6, s[6:7] offset:40
	global_load_dwordx2 v[9:10], v6, s[6:7] offset:24 glc
	global_load_dwordx2 v[2:3], v6, s[6:7]
	s_waitcnt vmcnt(2)
	v_readfirstlane_b32 s12, v0
	v_readfirstlane_b32 s13, v1
	s_add_u32 s14, s12, 1
	s_addc_u32 s15, s13, 0
	s_add_u32 s4, s14, s8
	s_addc_u32 s5, s15, s9
	s_cmp_eq_u64 s[4:5], 0
	s_cselect_b32 s5, s15, s5
	s_cselect_b32 s4, s14, s4
	s_and_b64 s[8:9], s[4:5], s[12:13]
	s_mul_i32 s9, s9, 24
	s_mul_hi_u32 s12, s8, 24
	s_mul_i32 s8, s8, 24
	s_add_i32 s9, s12, s9
	v_mov_b32_e32 v0, s9
	s_waitcnt vmcnt(0)
	v_add_co_u32_e32 v4, vcc, s8, v2
	v_addc_co_u32_e32 v5, vcc, v3, v0, vcc
	v_mov_b32_e32 v7, s4
	global_store_dwordx2 v[4:5], v[9:10], off
	v_mov_b32_e32 v8, s5
	s_waitcnt vmcnt(0)
	global_atomic_cmpswap_x2 v[2:3], v6, v[7:10], s[6:7] offset:24 glc
	s_mov_b64 s[8:9], 0
	s_waitcnt vmcnt(0)
	v_cmp_ne_u64_e32 vcc, v[2:3], v[9:10]
	s_and_b64 exec, exec, vcc
	s_cbranch_execz .LBB0_111
.LBB0_110:                              ; =>This Inner Loop Header: Depth=1
	s_sleep 1
	global_store_dwordx2 v[4:5], v[2:3], off
	v_mov_b32_e32 v0, s4
	v_mov_b32_e32 v1, s5
	s_waitcnt vmcnt(0)
	global_atomic_cmpswap_x2 v[0:1], v6, v[0:3], s[6:7] offset:24 glc
	s_waitcnt vmcnt(0)
	v_cmp_eq_u64_e32 vcc, v[0:1], v[2:3]
	v_mov_b32_e32 v3, v1
	s_or_b64 s[8:9], vcc, s[8:9]
	v_mov_b32_e32 v2, v0
	s_andn2_b64 exec, exec, s[8:9]
	s_cbranch_execnz .LBB0_110
.LBB0_111:
	s_or_b64 exec, exec, s[10:11]
	s_waitcnt vmcnt(0) lgkmcnt(0)
	s_setpc_b64 s[30:31]
.LBB0_112:
	s_cbranch_execnz .LBB0_86
.LBB0_113:
	s_waitcnt vmcnt(0) lgkmcnt(0)
	s_setpc_b64 s[30:31]
.Lfunc_end0:
	.size	__ockl_fprintf_append_string_n, .Lfunc_end0-__ockl_fprintf_append_string_n
                                        ; -- End function
	.set .L__ockl_fprintf_append_string_n.num_vgpr, 40
	.set .L__ockl_fprintf_append_string_n.num_agpr, 0
	.set .L__ockl_fprintf_append_string_n.numbered_sgpr, 32
	.set .L__ockl_fprintf_append_string_n.num_named_barrier, 0
	.set .L__ockl_fprintf_append_string_n.private_seg_size, 0
	.set .L__ockl_fprintf_append_string_n.uses_vcc, 1
	.set .L__ockl_fprintf_append_string_n.uses_flat_scratch, 0
	.set .L__ockl_fprintf_append_string_n.has_dyn_sized_stack, 0
	.set .L__ockl_fprintf_append_string_n.has_recursion, 0
	.set .L__ockl_fprintf_append_string_n.has_indirect_call, 0
	.section	.AMDGPU.csdata,"",@progbits
; Function info:
; codeLenInByte = 3900
; TotalNumSgprs: 36
; NumVgprs: 40
; ScratchSize: 0
; MemoryBound: 0
	.text
	.p2align	2                               ; -- Begin function __assert_fail
	.type	__assert_fail,@function
__assert_fail:                          ; @__assert_fail
; %bb.0:
	s_waitcnt vmcnt(0) expcnt(0) lgkmcnt(0)
	s_mov_b32 s25, s33
	s_mov_b32 s33, s32
	s_or_saveexec_b64 s[4:5], -1
	buffer_store_dword v40, off, s[0:3], s33 offset:48 ; 4-byte Folded Spill
	s_mov_b64 exec, s[4:5]
	v_writelane_b32 v40, s30, 0
	s_addk_i32 s32, 0x1000
	v_writelane_b32 v40, s31, 1
	v_mov_b32_e32 v8, 0
	s_getpc_b64 s[4:5]
	s_add_u32 s4, s4, __const.__assert_fail.fmt@rel32@lo+35
	s_addc_u32 s5, s5, __const.__assert_fail.fmt@rel32@hi+43
	v_mov_b32_e32 v5, v1
	v_mov_b32_e32 v4, v0
	global_load_dwordx4 v[0:3], v8, s[4:5]
	s_getpc_b64 s[16:17]
	s_add_u32 s16, s16, __const.__assert_fail.fmt@rel32@lo+4
	s_addc_u32 s17, s17, __const.__assert_fail.fmt@rel32@hi+12
	s_getpc_b64 s[18:19]
	s_add_u32 s18, s18, __const.__assert_fail.fmt@rel32@lo+20
	s_addc_u32 s19, s19, __const.__assert_fail.fmt@rel32@hi+28
	v_mbcnt_lo_u32_b32 v9, -1, 0
	s_load_dwordx4 s[4:7], s[16:17], 0x0
	s_load_dwordx4 s[12:15], s[18:19], 0x0
	s_load_dwordx2 s[10:11], s[8:9], 0x50
	v_mbcnt_hi_u32_b32 v34, -1, v9
	v_mov_b32_e32 v6, 0
	v_readfirstlane_b32 s16, v34
	v_mov_b32_e32 v7, 0
	s_waitcnt lgkmcnt(0)
	v_mov_b32_e32 v9, s7
	v_mov_b32_e32 v11, s5
	;; [unrolled: 1-line block ×3, first 2 shown]
	v_cmp_eq_u32_e64 s[4:5], s16, v34
	v_mov_b32_e32 v10, s6
	v_mov_b32_e32 v13, s15
	;; [unrolled: 1-line block ×5, first 2 shown]
	buffer_store_dword v9, off, s[0:3], s33 offset:12
	buffer_store_dword v10, off, s[0:3], s33 offset:8
	buffer_store_dword v11, off, s[0:3], s33 offset:4
	buffer_store_dword v12, off, s[0:3], s33
	buffer_store_dword v13, off, s[0:3], s33 offset:28
	buffer_store_dword v14, off, s[0:3], s33 offset:24
	;; [unrolled: 1-line block ×4, first 2 shown]
	s_waitcnt vmcnt(8)
	buffer_store_dword v3, off, s[0:3], s33 offset:43
	buffer_store_dword v2, off, s[0:3], s33 offset:39
	;; [unrolled: 1-line block ×4, first 2 shown]
	s_and_saveexec_b64 s[6:7], s[4:5]
	s_cbranch_execz .LBB1_6
; %bb.1:
	global_load_dwordx2 v[2:3], v8, s[10:11] offset:24 glc
	s_waitcnt vmcnt(0)
	buffer_wbinvl1_vol
	global_load_dwordx2 v[0:1], v8, s[10:11] offset:40
	global_load_dwordx2 v[6:7], v8, s[10:11]
	s_waitcnt vmcnt(1)
	v_and_b32_e32 v0, v0, v2
	v_and_b32_e32 v1, v1, v3
	v_mul_lo_u32 v1, v1, 24
	v_mul_hi_u32 v9, v0, 24
	v_mul_lo_u32 v0, v0, 24
	v_add_u32_e32 v1, v9, v1
	s_waitcnt vmcnt(0)
	v_add_co_u32_e32 v0, vcc, v6, v0
	v_addc_co_u32_e32 v1, vcc, v7, v1, vcc
	global_load_dwordx2 v[0:1], v[0:1], off glc
	s_waitcnt vmcnt(0)
	global_atomic_cmpswap_x2 v[6:7], v8, v[0:3], s[10:11] offset:24 glc
	s_waitcnt vmcnt(0)
	buffer_wbinvl1_vol
	v_cmp_ne_u64_e32 vcc, v[6:7], v[2:3]
	s_and_saveexec_b64 s[12:13], vcc
	s_cbranch_execz .LBB1_5
; %bb.2:
	s_mov_b64 s[14:15], 0
	v_mov_b32_e32 v0, 0
.LBB1_3:                                ; =>This Inner Loop Header: Depth=1
	s_sleep 1
	global_load_dwordx2 v[1:2], v0, s[10:11] offset:40
	global_load_dwordx2 v[9:10], v0, s[10:11]
	v_mov_b32_e32 v12, v7
	v_mov_b32_e32 v11, v6
	s_waitcnt vmcnt(1)
	v_and_b32_e32 v1, v1, v11
	s_waitcnt vmcnt(0)
	v_mad_u64_u32 v[6:7], s[16:17], v1, 24, v[9:10]
	v_and_b32_e32 v2, v2, v12
	v_mov_b32_e32 v1, v7
	v_mad_u64_u32 v[1:2], s[16:17], v2, 24, v[1:2]
	v_mov_b32_e32 v7, v1
	global_load_dwordx2 v[9:10], v[6:7], off glc
	s_waitcnt vmcnt(0)
	global_atomic_cmpswap_x2 v[6:7], v0, v[9:12], s[10:11] offset:24 glc
	s_waitcnt vmcnt(0)
	buffer_wbinvl1_vol
	v_cmp_eq_u64_e32 vcc, v[6:7], v[11:12]
	s_or_b64 s[14:15], vcc, s[14:15]
	s_andn2_b64 exec, exec, s[14:15]
	s_cbranch_execnz .LBB1_3
; %bb.4:
	s_or_b64 exec, exec, s[14:15]
.LBB1_5:
	s_or_b64 exec, exec, s[12:13]
.LBB1_6:
	s_or_b64 exec, exec, s[6:7]
	global_load_dwordx2 v[9:10], v8, s[10:11] offset:40
	global_load_dwordx4 v[0:3], v8, s[10:11]
	v_readfirstlane_b32 s7, v7
	v_readfirstlane_b32 s6, v6
	s_mov_b64 s[12:13], exec
	s_waitcnt vmcnt(1)
	v_readfirstlane_b32 s14, v9
	v_readfirstlane_b32 s15, v10
	s_and_b64 s[14:15], s[14:15], s[6:7]
	s_mul_i32 s16, s15, 24
	s_mul_hi_u32 s17, s14, 24
	s_mul_i32 s18, s14, 24
	s_add_i32 s16, s17, s16
	v_mov_b32_e32 v6, s16
	s_waitcnt vmcnt(0)
	v_add_co_u32_e32 v10, vcc, s18, v0
	v_addc_co_u32_e32 v11, vcc, v1, v6, vcc
	s_and_saveexec_b64 s[16:17], s[4:5]
	s_cbranch_execz .LBB1_8
; %bb.7:
	v_mov_b32_e32 v6, s12
	v_mov_b32_e32 v7, s13
	;; [unrolled: 1-line block ×4, first 2 shown]
	global_store_dwordx4 v[10:11], v[6:9], off offset:8
.LBB1_8:
	s_or_b64 exec, exec, s[16:17]
	s_lshl_b64 s[12:13], s[14:15], 12
	v_mov_b32_e32 v6, s13
	v_add_co_u32_e32 v2, vcc, s12, v2
	s_mov_b32 s12, 0
	v_addc_co_u32_e32 v3, vcc, v3, v6, vcc
	v_lshlrev_b32_e32 v35, 6, v34
	s_mov_b32 s15, s12
	v_mov_b32_e32 v7, 0
	v_add_co_u32_e32 v12, vcc, v2, v35
	s_mov_b32 s13, s12
	s_mov_b32 s14, s12
	v_mov_b32_e32 v17, s15
	v_addc_co_u32_e32 v13, vcc, 0, v3, vcc
	v_mov_b32_e32 v6, 33
	v_mov_b32_e32 v8, 1
	;; [unrolled: 1-line block ×3, first 2 shown]
	v_readfirstlane_b32 s16, v2
	v_readfirstlane_b32 s17, v3
	v_mov_b32_e32 v16, s14
	v_mov_b32_e32 v15, s13
	;; [unrolled: 1-line block ×3, first 2 shown]
	s_nop 1
	global_store_dwordx4 v35, v[6:9], s[16:17]
	global_store_dwordx4 v35, v[14:17], s[16:17] offset:16
	global_store_dwordx4 v35, v[14:17], s[16:17] offset:32
	;; [unrolled: 1-line block ×3, first 2 shown]
	s_and_saveexec_b64 s[12:13], s[4:5]
	s_cbranch_execz .LBB1_16
; %bb.9:
	global_load_dwordx2 v[16:17], v7, s[10:11] offset:32 glc
	global_load_dwordx2 v[2:3], v7, s[10:11] offset:40
	v_mov_b32_e32 v14, s6
	v_mov_b32_e32 v15, s7
	s_waitcnt vmcnt(0)
	v_and_b32_e32 v2, s6, v2
	v_and_b32_e32 v3, s7, v3
	v_mul_lo_u32 v3, v3, 24
	v_mul_hi_u32 v6, v2, 24
	v_mul_lo_u32 v2, v2, 24
	v_add_u32_e32 v3, v6, v3
	v_add_co_u32_e32 v8, vcc, v0, v2
	v_addc_co_u32_e32 v9, vcc, v1, v3, vcc
	global_store_dwordx2 v[8:9], v[16:17], off
	s_waitcnt vmcnt(0)
	global_atomic_cmpswap_x2 v[2:3], v7, v[14:17], s[10:11] offset:32 glc
	s_waitcnt vmcnt(0)
	v_cmp_ne_u64_e32 vcc, v[2:3], v[16:17]
	s_and_saveexec_b64 s[14:15], vcc
	s_cbranch_execz .LBB1_12
; %bb.10:
	s_mov_b64 s[16:17], 0
	v_mov_b32_e32 v6, 0
.LBB1_11:                               ; =>This Inner Loop Header: Depth=1
	s_sleep 1
	global_store_dwordx2 v[8:9], v[2:3], off
	v_mov_b32_e32 v0, s6
	v_mov_b32_e32 v1, s7
	s_waitcnt vmcnt(0)
	global_atomic_cmpswap_x2 v[0:1], v6, v[0:3], s[10:11] offset:32 glc
	s_waitcnt vmcnt(0)
	v_cmp_eq_u64_e32 vcc, v[0:1], v[2:3]
	v_mov_b32_e32 v3, v1
	s_or_b64 s[16:17], vcc, s[16:17]
	v_mov_b32_e32 v2, v0
	s_andn2_b64 exec, exec, s[16:17]
	s_cbranch_execnz .LBB1_11
.LBB1_12:
	s_or_b64 exec, exec, s[14:15]
	v_mov_b32_e32 v3, 0
	global_load_dwordx2 v[0:1], v3, s[10:11] offset:16
	s_mov_b64 s[14:15], exec
	v_mbcnt_lo_u32_b32 v2, s14, 0
	v_mbcnt_hi_u32_b32 v2, s15, v2
	v_cmp_eq_u32_e32 vcc, 0, v2
	s_and_saveexec_b64 s[16:17], vcc
	s_cbranch_execz .LBB1_14
; %bb.13:
	s_bcnt1_i32_b64 s14, s[14:15]
	v_mov_b32_e32 v2, s14
	s_waitcnt vmcnt(0)
	global_atomic_add_x2 v[0:1], v[2:3], off offset:8
.LBB1_14:
	s_or_b64 exec, exec, s[16:17]
	s_waitcnt vmcnt(0)
	global_load_dwordx2 v[2:3], v[0:1], off offset:16
	s_waitcnt vmcnt(0)
	v_cmp_eq_u64_e32 vcc, 0, v[2:3]
	s_cbranch_vccnz .LBB1_16
; %bb.15:
	global_load_dword v0, v[0:1], off offset:24
	v_mov_b32_e32 v1, 0
	s_waitcnt vmcnt(0)
	v_readfirstlane_b32 s14, v0
	s_and_b32 m0, s14, 0xffffff
	global_store_dwordx2 v[2:3], v[0:1], off
	s_sendmsg sendmsg(MSG_INTERRUPT)
.LBB1_16:
	s_or_b64 exec, exec, s[12:13]
	s_branch .LBB1_20
.LBB1_17:                               ;   in Loop: Header=BB1_20 Depth=1
	s_or_b64 exec, exec, s[12:13]
	v_readfirstlane_b32 s12, v0
	s_cmp_eq_u32 s12, 0
	s_cbranch_scc1 .LBB1_19
; %bb.18:                               ;   in Loop: Header=BB1_20 Depth=1
	s_sleep 1
	s_cbranch_execnz .LBB1_20
	s_branch .LBB1_22
.LBB1_19:
	s_branch .LBB1_22
.LBB1_20:                               ; =>This Inner Loop Header: Depth=1
	v_mov_b32_e32 v0, 1
	s_and_saveexec_b64 s[12:13], s[4:5]
	s_cbranch_execz .LBB1_17
; %bb.21:                               ;   in Loop: Header=BB1_20 Depth=1
	global_load_dword v0, v[10:11], off offset:20 glc
	s_waitcnt vmcnt(0)
	buffer_wbinvl1_vol
	v_and_b32_e32 v0, 1, v0
	s_branch .LBB1_17
.LBB1_22:
	global_load_dwordx2 v[6:7], v[12:13], off
	s_and_saveexec_b64 s[12:13], s[4:5]
	s_cbranch_execz .LBB1_25
; %bb.23:
	v_mov_b32_e32 v10, 0
	global_load_dwordx2 v[0:1], v10, s[10:11] offset:40
	global_load_dwordx2 v[13:14], v10, s[10:11] offset:24 glc
	global_load_dwordx2 v[2:3], v10, s[10:11]
	s_waitcnt vmcnt(2)
	v_readfirstlane_b32 s14, v0
	v_readfirstlane_b32 s15, v1
	s_add_u32 s16, s14, 1
	s_addc_u32 s17, s15, 0
	s_add_u32 s4, s16, s6
	s_addc_u32 s5, s17, s7
	s_cmp_eq_u64 s[4:5], 0
	s_cselect_b32 s5, s17, s5
	s_cselect_b32 s4, s16, s4
	s_and_b64 s[6:7], s[4:5], s[14:15]
	s_mul_i32 s7, s7, 24
	s_mul_hi_u32 s14, s6, 24
	s_mul_i32 s6, s6, 24
	s_add_i32 s7, s14, s7
	v_mov_b32_e32 v0, s7
	s_waitcnt vmcnt(0)
	v_add_co_u32_e32 v8, vcc, s6, v2
	v_addc_co_u32_e32 v9, vcc, v3, v0, vcc
	v_mov_b32_e32 v11, s4
	global_store_dwordx2 v[8:9], v[13:14], off
	v_mov_b32_e32 v12, s5
	s_waitcnt vmcnt(0)
	global_atomic_cmpswap_x2 v[2:3], v10, v[11:14], s[10:11] offset:24 glc
	s_mov_b64 s[6:7], 0
	s_waitcnt vmcnt(0)
	v_cmp_ne_u64_e32 vcc, v[2:3], v[13:14]
	s_and_b64 exec, exec, vcc
	s_cbranch_execz .LBB1_25
.LBB1_24:                               ; =>This Inner Loop Header: Depth=1
	s_sleep 1
	global_store_dwordx2 v[8:9], v[2:3], off
	v_mov_b32_e32 v0, s4
	v_mov_b32_e32 v1, s5
	s_waitcnt vmcnt(0)
	global_atomic_cmpswap_x2 v[0:1], v10, v[0:3], s[10:11] offset:24 glc
	s_waitcnt vmcnt(0)
	v_cmp_eq_u64_e32 vcc, v[0:1], v[2:3]
	v_mov_b32_e32 v3, v1
	s_or_b64 s[6:7], vcc, s[6:7]
	v_mov_b32_e32 v2, v0
	s_andn2_b64 exec, exec, s[6:7]
	s_cbranch_execnz .LBB1_24
.LBB1_25:
	s_or_b64 exec, exec, s[12:13]
	s_lshr_b32 s6, s33, 6
	s_mov_b64 s[4:5], 0
.LBB1_26:                               ; =>This Inner Loop Header: Depth=1
	v_mov_b32_e32 v0, s6
	buffer_load_ubyte v1, v0, s[0:3], 0 offen
	s_add_i32 s6, s6, 1
	v_mov_b32_e32 v0, s6
	s_waitcnt vmcnt(0)
	v_cmp_eq_u16_e32 vcc, 0, v1
	s_or_b64 s[4:5], vcc, s[4:5]
	s_andn2_b64 exec, exec, s[4:5]
	s_cbranch_execnz .LBB1_26
; %bb.27:
	s_or_b64 exec, exec, s[4:5]
	s_lshr_b32 s4, s33, 6
	s_cmp_lg_u32 s4, -1
	s_cbranch_scc0 .LBB1_112
; %bb.28:
	v_lshrrev_b32_e64 v1, 6, s33
	v_subrev_u32_e32 v28, v1, v0
	v_ashrrev_i32_e32 v29, 31, v28
	v_and_b32_e32 v36, 2, v6
	v_mov_b32_e32 v31, 0
	v_and_b32_e32 v0, -3, v6
	v_mov_b32_e32 v1, v7
	s_mov_b64 s[12:13], 0
	v_lshrrev_b32_e64 v37, 6, s33
	s_mov_b32 s20, 0
	s_movk_i32 s21, 0x1e0
	v_mov_b32_e32 v10, 2
	v_mov_b32_e32 v11, 1
	s_branch .LBB1_30
.LBB1_29:                               ;   in Loop: Header=BB1_30 Depth=1
	s_or_b64 exec, exec, s[6:7]
	v_sub_co_u32_e32 v28, vcc, v28, v38
	v_subb_co_u32_e32 v29, vcc, v29, v39, vcc
	v_cmp_eq_u64_e32 vcc, 0, v[28:29]
	v_add_u32_e32 v37, v37, v38
	s_or_b64 s[12:13], vcc, s[12:13]
	s_andn2_b64 exec, exec, s[12:13]
	s_cbranch_execz .LBB1_113
.LBB1_30:                               ; =>This Loop Header: Depth=1
                                        ;     Child Loop BB1_33 Depth 2
                                        ;     Child Loop BB1_41 Depth 2
	;; [unrolled: 1-line block ×11, first 2 shown]
	v_cmp_gt_u64_e32 vcc, 56, v[28:29]
	v_cmp_gt_u64_e64 s[4:5], 8, v[28:29]
	v_cndmask_b32_e32 v38, 56, v28, vcc
	v_add_u32_e32 v9, 8, v37
	s_and_saveexec_b64 s[6:7], s[4:5]
	s_xor_b64 s[6:7], exec, s[6:7]
	s_cbranch_execz .LBB1_36
; %bb.31:                               ;   in Loop: Header=BB1_30 Depth=1
	v_mov_b32_e32 v2, 0
	v_cmp_ne_u64_e64 s[4:5], 0, v[28:29]
	v_mov_b32_e32 v3, 0
	s_and_saveexec_b64 s[14:15], s[4:5]
	s_cbranch_execz .LBB1_35
; %bb.32:                               ;   in Loop: Header=BB1_30 Depth=1
	v_mov_b32_e32 v2, 0
	s_mov_b32 s22, 0
	s_mov_b64 s[16:17], 0
	v_mov_b32_e32 v3, 0
	s_mov_b64 s[18:19], 0
.LBB1_33:                               ;   Parent Loop BB1_30 Depth=1
                                        ; =>  This Inner Loop Header: Depth=2
	v_add_u32_e32 v8, s22, v37
	buffer_load_ubyte v8, v8, s[0:3], 0 offen
	v_mov_b32_e32 v9, s20
	s_add_i32 s22, s22, 1
	v_cmp_eq_u32_e64 s[4:5], s22, v38
	s_waitcnt vmcnt(0)
	v_and_b32_e32 v8, 0xffff, v8
	v_lshlrev_b64 v[8:9], s18, v[8:9]
	s_add_u32 s18, s18, 8
	s_addc_u32 s19, s19, 0
	v_or_b32_e32 v3, v9, v3
	s_or_b64 s[16:17], s[4:5], s[16:17]
	v_or_b32_e32 v2, v8, v2
	s_andn2_b64 exec, exec, s[16:17]
	s_cbranch_execnz .LBB1_33
; %bb.34:                               ;   in Loop: Header=BB1_30 Depth=1
	s_or_b64 exec, exec, s[16:17]
.LBB1_35:                               ;   in Loop: Header=BB1_30 Depth=1
	s_or_b64 exec, exec, s[14:15]
	v_mov_b32_e32 v9, v37
.LBB1_36:                               ;   in Loop: Header=BB1_30 Depth=1
	s_or_saveexec_b64 s[4:5], s[6:7]
	v_mov_b32_e32 v14, 0
	s_xor_b64 exec, exec, s[4:5]
	s_cbranch_execz .LBB1_38
; %bb.37:                               ;   in Loop: Header=BB1_30 Depth=1
	buffer_load_dword v2, v37, s[0:3], 0 offen
	buffer_load_dword v3, v37, s[0:3], 0 offen offset:4
	v_add_u32_e32 v14, -8, v38
.LBB1_38:                               ;   in Loop: Header=BB1_30 Depth=1
	s_or_b64 exec, exec, s[4:5]
	v_cmp_gt_u32_e64 s[4:5], 8, v14
	v_add_u32_e32 v8, 8, v9
                                        ; implicit-def: $vgpr12_vgpr13
	s_and_saveexec_b64 s[6:7], s[4:5]
	s_xor_b64 s[6:7], exec, s[6:7]
	s_cbranch_execz .LBB1_44
; %bb.39:                               ;   in Loop: Header=BB1_30 Depth=1
	v_mov_b32_e32 v12, 0
	v_mov_b32_e32 v13, 0
	v_cmp_ne_u32_e64 s[4:5], 0, v14
	s_and_saveexec_b64 s[14:15], s[4:5]
	s_cbranch_execz .LBB1_43
; %bb.40:                               ;   in Loop: Header=BB1_30 Depth=1
	v_mov_b32_e32 v12, 0
	s_mov_b32 s22, 0
	s_mov_b64 s[16:17], 0
	v_mov_b32_e32 v13, 0
	s_mov_b64 s[18:19], 0
.LBB1_41:                               ;   Parent Loop BB1_30 Depth=1
                                        ; =>  This Inner Loop Header: Depth=2
	v_add_u32_e32 v8, s22, v9
	buffer_load_ubyte v8, v8, s[0:3], 0 offen
	v_mov_b32_e32 v16, s20
	s_add_i32 s22, s22, 1
	v_cmp_eq_u32_e64 s[4:5], s22, v14
	s_waitcnt vmcnt(0)
	v_and_b32_e32 v15, 0xffff, v8
	v_lshlrev_b64 v[15:16], s18, v[15:16]
	s_add_u32 s18, s18, 8
	s_addc_u32 s19, s19, 0
	v_or_b32_e32 v13, v16, v13
	s_or_b64 s[16:17], s[4:5], s[16:17]
	v_or_b32_e32 v12, v15, v12
	s_andn2_b64 exec, exec, s[16:17]
	s_cbranch_execnz .LBB1_41
; %bb.42:                               ;   in Loop: Header=BB1_30 Depth=1
	s_or_b64 exec, exec, s[16:17]
.LBB1_43:                               ;   in Loop: Header=BB1_30 Depth=1
	s_or_b64 exec, exec, s[14:15]
	v_mov_b32_e32 v8, v9
                                        ; implicit-def: $vgpr14
.LBB1_44:                               ;   in Loop: Header=BB1_30 Depth=1
	s_or_saveexec_b64 s[4:5], s[6:7]
	v_mov_b32_e32 v16, 0
	s_xor_b64 exec, exec, s[4:5]
	s_cbranch_execz .LBB1_46
; %bb.45:                               ;   in Loop: Header=BB1_30 Depth=1
	buffer_load_dword v12, v9, s[0:3], 0 offen
	buffer_load_dword v13, v9, s[0:3], 0 offen offset:4
	v_add_u32_e32 v16, -8, v14
.LBB1_46:                               ;   in Loop: Header=BB1_30 Depth=1
	s_or_b64 exec, exec, s[4:5]
	v_cmp_gt_u32_e64 s[4:5], 8, v16
	v_add_u32_e32 v9, 8, v8
	s_and_saveexec_b64 s[6:7], s[4:5]
	s_xor_b64 s[6:7], exec, s[6:7]
	s_cbranch_execz .LBB1_52
; %bb.47:                               ;   in Loop: Header=BB1_30 Depth=1
	v_mov_b32_e32 v14, 0
	v_mov_b32_e32 v15, 0
	v_cmp_ne_u32_e64 s[4:5], 0, v16
	s_and_saveexec_b64 s[14:15], s[4:5]
	s_cbranch_execz .LBB1_51
; %bb.48:                               ;   in Loop: Header=BB1_30 Depth=1
	v_mov_b32_e32 v14, 0
	s_mov_b32 s22, 0
	s_mov_b64 s[16:17], 0
	v_mov_b32_e32 v15, 0
	s_mov_b64 s[18:19], 0
.LBB1_49:                               ;   Parent Loop BB1_30 Depth=1
                                        ; =>  This Inner Loop Header: Depth=2
	v_add_u32_e32 v9, s22, v8
	buffer_load_ubyte v9, v9, s[0:3], 0 offen
	v_mov_b32_e32 v18, s20
	s_add_i32 s22, s22, 1
	v_cmp_eq_u32_e64 s[4:5], s22, v16
	s_waitcnt vmcnt(0)
	v_and_b32_e32 v17, 0xffff, v9
	v_lshlrev_b64 v[17:18], s18, v[17:18]
	s_add_u32 s18, s18, 8
	s_addc_u32 s19, s19, 0
	v_or_b32_e32 v15, v18, v15
	s_or_b64 s[16:17], s[4:5], s[16:17]
	v_or_b32_e32 v14, v17, v14
	s_andn2_b64 exec, exec, s[16:17]
	s_cbranch_execnz .LBB1_49
; %bb.50:                               ;   in Loop: Header=BB1_30 Depth=1
	s_or_b64 exec, exec, s[16:17]
.LBB1_51:                               ;   in Loop: Header=BB1_30 Depth=1
	s_or_b64 exec, exec, s[14:15]
	v_mov_b32_e32 v9, v8
                                        ; implicit-def: $vgpr16
.LBB1_52:                               ;   in Loop: Header=BB1_30 Depth=1
	s_or_saveexec_b64 s[4:5], s[6:7]
	v_mov_b32_e32 v18, 0
	s_xor_b64 exec, exec, s[4:5]
	s_cbranch_execz .LBB1_54
; %bb.53:                               ;   in Loop: Header=BB1_30 Depth=1
	buffer_load_dword v14, v8, s[0:3], 0 offen
	buffer_load_dword v15, v8, s[0:3], 0 offen offset:4
	v_add_u32_e32 v18, -8, v16
.LBB1_54:                               ;   in Loop: Header=BB1_30 Depth=1
	s_or_b64 exec, exec, s[4:5]
	v_cmp_gt_u32_e64 s[4:5], 8, v18
	v_add_u32_e32 v8, 8, v9
                                        ; implicit-def: $vgpr16_vgpr17
	s_and_saveexec_b64 s[6:7], s[4:5]
	s_xor_b64 s[6:7], exec, s[6:7]
	s_cbranch_execz .LBB1_60
; %bb.55:                               ;   in Loop: Header=BB1_30 Depth=1
	v_mov_b32_e32 v16, 0
	v_mov_b32_e32 v17, 0
	v_cmp_ne_u32_e64 s[4:5], 0, v18
	s_and_saveexec_b64 s[14:15], s[4:5]
	s_cbranch_execz .LBB1_59
; %bb.56:                               ;   in Loop: Header=BB1_30 Depth=1
	v_mov_b32_e32 v16, 0
	s_mov_b32 s22, 0
	s_mov_b64 s[16:17], 0
	v_mov_b32_e32 v17, 0
	s_mov_b64 s[18:19], 0
.LBB1_57:                               ;   Parent Loop BB1_30 Depth=1
                                        ; =>  This Inner Loop Header: Depth=2
	v_add_u32_e32 v8, s22, v9
	buffer_load_ubyte v8, v8, s[0:3], 0 offen
	v_mov_b32_e32 v20, s20
	s_add_i32 s22, s22, 1
	v_cmp_eq_u32_e64 s[4:5], s22, v18
	s_waitcnt vmcnt(0)
	v_and_b32_e32 v19, 0xffff, v8
	v_lshlrev_b64 v[19:20], s18, v[19:20]
	s_add_u32 s18, s18, 8
	s_addc_u32 s19, s19, 0
	v_or_b32_e32 v17, v20, v17
	s_or_b64 s[16:17], s[4:5], s[16:17]
	v_or_b32_e32 v16, v19, v16
	s_andn2_b64 exec, exec, s[16:17]
	s_cbranch_execnz .LBB1_57
; %bb.58:                               ;   in Loop: Header=BB1_30 Depth=1
	s_or_b64 exec, exec, s[16:17]
.LBB1_59:                               ;   in Loop: Header=BB1_30 Depth=1
	s_or_b64 exec, exec, s[14:15]
	v_mov_b32_e32 v8, v9
                                        ; implicit-def: $vgpr18
.LBB1_60:                               ;   in Loop: Header=BB1_30 Depth=1
	s_or_saveexec_b64 s[4:5], s[6:7]
	v_mov_b32_e32 v20, 0
	s_xor_b64 exec, exec, s[4:5]
	s_cbranch_execz .LBB1_62
; %bb.61:                               ;   in Loop: Header=BB1_30 Depth=1
	buffer_load_dword v16, v9, s[0:3], 0 offen
	buffer_load_dword v17, v9, s[0:3], 0 offen offset:4
	v_add_u32_e32 v20, -8, v18
.LBB1_62:                               ;   in Loop: Header=BB1_30 Depth=1
	s_or_b64 exec, exec, s[4:5]
	v_cmp_gt_u32_e64 s[4:5], 8, v20
	v_add_u32_e32 v9, 8, v8
	s_and_saveexec_b64 s[6:7], s[4:5]
	s_xor_b64 s[6:7], exec, s[6:7]
	s_cbranch_execz .LBB1_68
; %bb.63:                               ;   in Loop: Header=BB1_30 Depth=1
	v_mov_b32_e32 v18, 0
	v_mov_b32_e32 v19, 0
	v_cmp_ne_u32_e64 s[4:5], 0, v20
	s_and_saveexec_b64 s[14:15], s[4:5]
	s_cbranch_execz .LBB1_67
; %bb.64:                               ;   in Loop: Header=BB1_30 Depth=1
	v_mov_b32_e32 v18, 0
	s_mov_b32 s22, 0
	s_mov_b64 s[16:17], 0
	v_mov_b32_e32 v19, 0
	s_mov_b64 s[18:19], 0
.LBB1_65:                               ;   Parent Loop BB1_30 Depth=1
                                        ; =>  This Inner Loop Header: Depth=2
	v_add_u32_e32 v9, s22, v8
	buffer_load_ubyte v9, v9, s[0:3], 0 offen
	v_mov_b32_e32 v22, s20
	s_add_i32 s22, s22, 1
	v_cmp_eq_u32_e64 s[4:5], s22, v20
	s_waitcnt vmcnt(0)
	v_and_b32_e32 v21, 0xffff, v9
	v_lshlrev_b64 v[21:22], s18, v[21:22]
	s_add_u32 s18, s18, 8
	s_addc_u32 s19, s19, 0
	v_or_b32_e32 v19, v22, v19
	s_or_b64 s[16:17], s[4:5], s[16:17]
	v_or_b32_e32 v18, v21, v18
	s_andn2_b64 exec, exec, s[16:17]
	s_cbranch_execnz .LBB1_65
; %bb.66:                               ;   in Loop: Header=BB1_30 Depth=1
	s_or_b64 exec, exec, s[16:17]
.LBB1_67:                               ;   in Loop: Header=BB1_30 Depth=1
	s_or_b64 exec, exec, s[14:15]
	v_mov_b32_e32 v9, v8
                                        ; implicit-def: $vgpr20
.LBB1_68:                               ;   in Loop: Header=BB1_30 Depth=1
	s_or_saveexec_b64 s[4:5], s[6:7]
	v_mov_b32_e32 v22, 0
	s_xor_b64 exec, exec, s[4:5]
	s_cbranch_execz .LBB1_70
; %bb.69:                               ;   in Loop: Header=BB1_30 Depth=1
	buffer_load_dword v18, v8, s[0:3], 0 offen
	buffer_load_dword v19, v8, s[0:3], 0 offen offset:4
	v_add_u32_e32 v22, -8, v20
.LBB1_70:                               ;   in Loop: Header=BB1_30 Depth=1
	s_or_b64 exec, exec, s[4:5]
	v_cmp_gt_u32_e64 s[4:5], 8, v22
	v_add_u32_e32 v8, 8, v9
                                        ; implicit-def: $vgpr20_vgpr21
	s_and_saveexec_b64 s[6:7], s[4:5]
	s_xor_b64 s[6:7], exec, s[6:7]
	s_cbranch_execz .LBB1_76
; %bb.71:                               ;   in Loop: Header=BB1_30 Depth=1
	v_mov_b32_e32 v20, 0
	v_mov_b32_e32 v21, 0
	v_cmp_ne_u32_e64 s[4:5], 0, v22
	s_and_saveexec_b64 s[14:15], s[4:5]
	s_cbranch_execz .LBB1_75
; %bb.72:                               ;   in Loop: Header=BB1_30 Depth=1
	v_mov_b32_e32 v20, 0
	s_mov_b32 s22, 0
	s_mov_b64 s[16:17], 0
	v_mov_b32_e32 v21, 0
	s_mov_b64 s[18:19], 0
.LBB1_73:                               ;   Parent Loop BB1_30 Depth=1
                                        ; =>  This Inner Loop Header: Depth=2
	v_add_u32_e32 v8, s22, v9
	buffer_load_ubyte v8, v8, s[0:3], 0 offen
	v_mov_b32_e32 v24, s20
	s_add_i32 s22, s22, 1
	v_cmp_eq_u32_e64 s[4:5], s22, v22
	s_waitcnt vmcnt(0)
	v_and_b32_e32 v23, 0xffff, v8
	v_lshlrev_b64 v[23:24], s18, v[23:24]
	s_add_u32 s18, s18, 8
	s_addc_u32 s19, s19, 0
	v_or_b32_e32 v21, v24, v21
	s_or_b64 s[16:17], s[4:5], s[16:17]
	v_or_b32_e32 v20, v23, v20
	s_andn2_b64 exec, exec, s[16:17]
	s_cbranch_execnz .LBB1_73
; %bb.74:                               ;   in Loop: Header=BB1_30 Depth=1
	s_or_b64 exec, exec, s[16:17]
.LBB1_75:                               ;   in Loop: Header=BB1_30 Depth=1
	s_or_b64 exec, exec, s[14:15]
	v_mov_b32_e32 v8, v9
                                        ; implicit-def: $vgpr22
.LBB1_76:                               ;   in Loop: Header=BB1_30 Depth=1
	s_or_saveexec_b64 s[4:5], s[6:7]
	v_mov_b32_e32 v24, 0
	s_xor_b64 exec, exec, s[4:5]
	s_cbranch_execz .LBB1_78
; %bb.77:                               ;   in Loop: Header=BB1_30 Depth=1
	buffer_load_dword v20, v9, s[0:3], 0 offen
	buffer_load_dword v21, v9, s[0:3], 0 offen offset:4
	v_add_u32_e32 v24, -8, v22
.LBB1_78:                               ;   in Loop: Header=BB1_30 Depth=1
	s_or_b64 exec, exec, s[4:5]
	v_cmp_gt_u32_e64 s[4:5], 8, v24
	s_and_saveexec_b64 s[6:7], s[4:5]
	s_xor_b64 s[6:7], exec, s[6:7]
	s_cbranch_execz .LBB1_84
; %bb.79:                               ;   in Loop: Header=BB1_30 Depth=1
	v_mov_b32_e32 v22, 0
	v_mov_b32_e32 v23, 0
	v_cmp_ne_u32_e64 s[4:5], 0, v24
	s_and_saveexec_b64 s[14:15], s[4:5]
	s_cbranch_execz .LBB1_83
; %bb.80:                               ;   in Loop: Header=BB1_30 Depth=1
	v_mov_b32_e32 v22, 0
	s_mov_b64 s[16:17], 0
	v_mov_b32_e32 v23, 0
	s_mov_b64 s[18:19], 0
.LBB1_81:                               ;   Parent Loop BB1_30 Depth=1
                                        ; =>  This Inner Loop Header: Depth=2
	buffer_load_ubyte v9, v8, s[0:3], 0 offen
	v_mov_b32_e32 v26, s20
	v_add_u32_e32 v24, -1, v24
	v_cmp_eq_u32_e64 s[4:5], 0, v24
	v_add_u32_e32 v8, 1, v8
	s_waitcnt vmcnt(0)
	v_and_b32_e32 v25, 0xffff, v9
	v_lshlrev_b64 v[25:26], s18, v[25:26]
	s_add_u32 s18, s18, 8
	s_addc_u32 s19, s19, 0
	v_or_b32_e32 v23, v26, v23
	s_or_b64 s[16:17], s[4:5], s[16:17]
	v_or_b32_e32 v22, v25, v22
	s_andn2_b64 exec, exec, s[16:17]
	s_cbranch_execnz .LBB1_81
; %bb.82:                               ;   in Loop: Header=BB1_30 Depth=1
	s_or_b64 exec, exec, s[16:17]
.LBB1_83:                               ;   in Loop: Header=BB1_30 Depth=1
	s_or_b64 exec, exec, s[14:15]
                                        ; implicit-def: $vgpr8
.LBB1_84:                               ;   in Loop: Header=BB1_30 Depth=1
	s_andn2_saveexec_b64 s[4:5], s[6:7]
	s_cbranch_execz .LBB1_86
; %bb.85:                               ;   in Loop: Header=BB1_30 Depth=1
	buffer_load_dword v22, v8, s[0:3], 0 offen
	buffer_load_dword v23, v8, s[0:3], 0 offen offset:4
.LBB1_86:                               ;   in Loop: Header=BB1_30 Depth=1
	s_or_b64 exec, exec, s[4:5]
	v_readfirstlane_b32 s4, v34
	v_mov_b32_e32 v8, 0
	v_mov_b32_e32 v9, 0
	v_cmp_eq_u32_e64 s[4:5], s4, v34
	s_and_saveexec_b64 s[14:15], s[4:5]
	s_cbranch_execz .LBB1_92
; %bb.87:                               ;   in Loop: Header=BB1_30 Depth=1
	global_load_dwordx2 v[26:27], v31, s[10:11] offset:24 glc
	s_waitcnt vmcnt(0)
	buffer_wbinvl1_vol
	global_load_dwordx2 v[8:9], v31, s[10:11] offset:40
	global_load_dwordx2 v[24:25], v31, s[10:11]
	s_waitcnt vmcnt(1)
	v_and_b32_e32 v8, v8, v26
	v_and_b32_e32 v9, v9, v27
	v_mul_lo_u32 v9, v9, 24
	v_mul_hi_u32 v30, v8, 24
	v_mul_lo_u32 v8, v8, 24
	v_add_u32_e32 v9, v30, v9
	s_waitcnt vmcnt(0)
	v_add_co_u32_e64 v8, s[6:7], v24, v8
	v_addc_co_u32_e64 v9, s[6:7], v25, v9, s[6:7]
	global_load_dwordx2 v[24:25], v[8:9], off glc
	s_waitcnt vmcnt(0)
	global_atomic_cmpswap_x2 v[8:9], v31, v[24:27], s[10:11] offset:24 glc
	s_waitcnt vmcnt(0)
	buffer_wbinvl1_vol
	v_cmp_ne_u64_e64 s[6:7], v[8:9], v[26:27]
	s_and_saveexec_b64 s[16:17], s[6:7]
	s_cbranch_execz .LBB1_91
; %bb.88:                               ;   in Loop: Header=BB1_30 Depth=1
	s_mov_b64 s[18:19], 0
.LBB1_89:                               ;   Parent Loop BB1_30 Depth=1
                                        ; =>  This Inner Loop Header: Depth=2
	s_sleep 1
	global_load_dwordx2 v[24:25], v31, s[10:11] offset:40
	global_load_dwordx2 v[32:33], v31, s[10:11]
	v_mov_b32_e32 v27, v9
	v_mov_b32_e32 v26, v8
	s_waitcnt vmcnt(1)
	v_and_b32_e32 v8, v24, v26
	s_waitcnt vmcnt(0)
	v_mad_u64_u32 v[8:9], s[6:7], v8, 24, v[32:33]
	v_and_b32_e32 v24, v25, v27
	v_mad_u64_u32 v[24:25], s[6:7], v24, 24, v[9:10]
	v_mov_b32_e32 v9, v24
	global_load_dwordx2 v[24:25], v[8:9], off glc
	s_waitcnt vmcnt(0)
	global_atomic_cmpswap_x2 v[8:9], v31, v[24:27], s[10:11] offset:24 glc
	s_waitcnt vmcnt(0)
	buffer_wbinvl1_vol
	v_cmp_eq_u64_e64 s[6:7], v[8:9], v[26:27]
	s_or_b64 s[18:19], s[6:7], s[18:19]
	s_andn2_b64 exec, exec, s[18:19]
	s_cbranch_execnz .LBB1_89
; %bb.90:                               ;   in Loop: Header=BB1_30 Depth=1
	s_or_b64 exec, exec, s[18:19]
.LBB1_91:                               ;   in Loop: Header=BB1_30 Depth=1
	s_or_b64 exec, exec, s[16:17]
.LBB1_92:                               ;   in Loop: Header=BB1_30 Depth=1
	s_or_b64 exec, exec, s[14:15]
	global_load_dwordx2 v[32:33], v31, s[10:11] offset:40
	global_load_dwordx4 v[24:27], v31, s[10:11]
	v_readfirstlane_b32 s15, v9
	v_readfirstlane_b32 s14, v8
	s_mov_b64 s[16:17], exec
	s_waitcnt vmcnt(1)
	v_readfirstlane_b32 s6, v32
	v_readfirstlane_b32 s7, v33
	s_and_b64 s[18:19], s[6:7], s[14:15]
	s_mul_i32 s6, s19, 24
	s_mul_hi_u32 s7, s18, 24
	s_mul_i32 s22, s18, 24
	s_add_i32 s6, s7, s6
	v_mov_b32_e32 v8, s6
	s_waitcnt vmcnt(0)
	v_add_co_u32_e64 v32, s[6:7], s22, v24
	v_addc_co_u32_e64 v33, s[6:7], v25, v8, s[6:7]
	s_and_saveexec_b64 s[6:7], s[4:5]
	s_cbranch_execz .LBB1_94
; %bb.93:                               ;   in Loop: Header=BB1_30 Depth=1
	v_mov_b32_e32 v8, s16
	v_mov_b32_e32 v9, s17
	global_store_dwordx4 v[32:33], v[8:11], off offset:8
.LBB1_94:                               ;   in Loop: Header=BB1_30 Depth=1
	s_or_b64 exec, exec, s[6:7]
	s_lshl_b64 s[6:7], s[18:19], 12
	v_cndmask_b32_e32 v39, 0, v29, vcc
	v_mov_b32_e32 v8, s7
	v_add_co_u32_e32 v26, vcc, s6, v26
	v_addc_co_u32_e32 v27, vcc, v27, v8, vcc
	v_cmp_gt_u64_e32 vcc, 57, v[28:29]
	v_and_b32_e32 v0, 0xffffff1f, v0
	v_cndmask_b32_e32 v8, 0, v36, vcc
	v_lshl_add_u32 v9, v38, 2, 28
	v_or_b32_e32 v0, v0, v8
	v_and_or_b32 v0, v9, s21, v0
	v_readfirstlane_b32 s6, v26
	v_readfirstlane_b32 s7, v27
	s_nop 4
	global_store_dwordx4 v35, v[0:3], s[6:7]
	global_store_dwordx4 v35, v[12:15], s[6:7] offset:16
	global_store_dwordx4 v35, v[16:19], s[6:7] offset:32
	global_store_dwordx4 v35, v[20:23], s[6:7] offset:48
	s_and_saveexec_b64 s[6:7], s[4:5]
	s_cbranch_execz .LBB1_102
; %bb.95:                               ;   in Loop: Header=BB1_30 Depth=1
	global_load_dwordx2 v[14:15], v31, s[10:11] offset:32 glc
	global_load_dwordx2 v[0:1], v31, s[10:11] offset:40
	v_mov_b32_e32 v12, s14
	v_mov_b32_e32 v13, s15
	s_waitcnt vmcnt(0)
	v_readfirstlane_b32 s16, v0
	v_readfirstlane_b32 s17, v1
	s_and_b64 s[16:17], s[16:17], s[14:15]
	s_mul_i32 s17, s17, 24
	s_mul_hi_u32 s18, s16, 24
	s_mul_i32 s16, s16, 24
	s_add_i32 s17, s18, s17
	v_mov_b32_e32 v0, s17
	v_add_co_u32_e32 v8, vcc, s16, v24
	v_addc_co_u32_e32 v9, vcc, v25, v0, vcc
	global_store_dwordx2 v[8:9], v[14:15], off
	s_waitcnt vmcnt(0)
	global_atomic_cmpswap_x2 v[2:3], v31, v[12:15], s[10:11] offset:32 glc
	s_waitcnt vmcnt(0)
	v_cmp_ne_u64_e32 vcc, v[2:3], v[14:15]
	s_and_saveexec_b64 s[16:17], vcc
	s_cbranch_execz .LBB1_98
; %bb.96:                               ;   in Loop: Header=BB1_30 Depth=1
	s_mov_b64 s[18:19], 0
.LBB1_97:                               ;   Parent Loop BB1_30 Depth=1
                                        ; =>  This Inner Loop Header: Depth=2
	s_sleep 1
	global_store_dwordx2 v[8:9], v[2:3], off
	v_mov_b32_e32 v0, s14
	v_mov_b32_e32 v1, s15
	s_waitcnt vmcnt(0)
	global_atomic_cmpswap_x2 v[0:1], v31, v[0:3], s[10:11] offset:32 glc
	s_waitcnt vmcnt(0)
	v_cmp_eq_u64_e32 vcc, v[0:1], v[2:3]
	v_mov_b32_e32 v3, v1
	s_or_b64 s[18:19], vcc, s[18:19]
	v_mov_b32_e32 v2, v0
	s_andn2_b64 exec, exec, s[18:19]
	s_cbranch_execnz .LBB1_97
.LBB1_98:                               ;   in Loop: Header=BB1_30 Depth=1
	s_or_b64 exec, exec, s[16:17]
	global_load_dwordx2 v[0:1], v31, s[10:11] offset:16
	s_mov_b64 s[18:19], exec
	v_mbcnt_lo_u32_b32 v2, s18, 0
	v_mbcnt_hi_u32_b32 v2, s19, v2
	v_cmp_eq_u32_e32 vcc, 0, v2
	s_and_saveexec_b64 s[16:17], vcc
	s_cbranch_execz .LBB1_100
; %bb.99:                               ;   in Loop: Header=BB1_30 Depth=1
	s_bcnt1_i32_b64 s18, s[18:19]
	v_mov_b32_e32 v30, s18
	s_waitcnt vmcnt(0)
	global_atomic_add_x2 v[0:1], v[30:31], off offset:8
.LBB1_100:                              ;   in Loop: Header=BB1_30 Depth=1
	s_or_b64 exec, exec, s[16:17]
	s_waitcnt vmcnt(0)
	global_load_dwordx2 v[2:3], v[0:1], off offset:16
	s_waitcnt vmcnt(0)
	v_cmp_eq_u64_e32 vcc, 0, v[2:3]
	s_cbranch_vccnz .LBB1_102
; %bb.101:                              ;   in Loop: Header=BB1_30 Depth=1
	global_load_dword v30, v[0:1], off offset:24
	s_waitcnt vmcnt(0)
	v_readfirstlane_b32 s16, v30
	s_and_b32 m0, s16, 0xffffff
	global_store_dwordx2 v[2:3], v[30:31], off
	s_sendmsg sendmsg(MSG_INTERRUPT)
.LBB1_102:                              ;   in Loop: Header=BB1_30 Depth=1
	s_or_b64 exec, exec, s[6:7]
	v_add_co_u32_e32 v0, vcc, v26, v35
	v_addc_co_u32_e32 v1, vcc, 0, v27, vcc
	s_branch .LBB1_106
.LBB1_103:                              ;   in Loop: Header=BB1_106 Depth=2
	s_or_b64 exec, exec, s[6:7]
	v_readfirstlane_b32 s6, v2
	s_cmp_eq_u32 s6, 0
	s_cbranch_scc1 .LBB1_105
; %bb.104:                              ;   in Loop: Header=BB1_106 Depth=2
	s_sleep 1
	s_cbranch_execnz .LBB1_106
	s_branch .LBB1_108
.LBB1_105:                              ;   in Loop: Header=BB1_30 Depth=1
	s_branch .LBB1_108
.LBB1_106:                              ;   Parent Loop BB1_30 Depth=1
                                        ; =>  This Inner Loop Header: Depth=2
	v_mov_b32_e32 v2, 1
	s_and_saveexec_b64 s[6:7], s[4:5]
	s_cbranch_execz .LBB1_103
; %bb.107:                              ;   in Loop: Header=BB1_106 Depth=2
	global_load_dword v2, v[32:33], off offset:20 glc
	s_waitcnt vmcnt(0)
	buffer_wbinvl1_vol
	v_and_b32_e32 v2, 1, v2
	s_branch .LBB1_103
.LBB1_108:                              ;   in Loop: Header=BB1_30 Depth=1
	global_load_dwordx2 v[0:1], v[0:1], off
	s_and_saveexec_b64 s[6:7], s[4:5]
	s_cbranch_execz .LBB1_29
; %bb.109:                              ;   in Loop: Header=BB1_30 Depth=1
	global_load_dwordx2 v[2:3], v31, s[10:11] offset:40
	global_load_dwordx2 v[16:17], v31, s[10:11] offset:24 glc
	global_load_dwordx2 v[8:9], v31, s[10:11]
	s_waitcnt vmcnt(2)
	v_readfirstlane_b32 s16, v2
	v_readfirstlane_b32 s17, v3
	s_add_u32 s18, s16, 1
	s_addc_u32 s19, s17, 0
	s_add_u32 s4, s18, s14
	s_addc_u32 s5, s19, s15
	s_cmp_eq_u64 s[4:5], 0
	s_cselect_b32 s5, s19, s5
	s_cselect_b32 s4, s18, s4
	s_and_b64 s[14:15], s[4:5], s[16:17]
	s_mul_i32 s15, s15, 24
	s_mul_hi_u32 s16, s14, 24
	s_mul_i32 s14, s14, 24
	s_add_i32 s15, s16, s15
	v_mov_b32_e32 v3, s15
	s_waitcnt vmcnt(0)
	v_add_co_u32_e32 v2, vcc, s14, v8
	v_addc_co_u32_e32 v3, vcc, v9, v3, vcc
	v_mov_b32_e32 v14, s4
	global_store_dwordx2 v[2:3], v[16:17], off
	v_mov_b32_e32 v15, s5
	s_waitcnt vmcnt(0)
	global_atomic_cmpswap_x2 v[14:15], v31, v[14:17], s[10:11] offset:24 glc
	s_waitcnt vmcnt(0)
	v_cmp_ne_u64_e32 vcc, v[14:15], v[16:17]
	s_and_b64 exec, exec, vcc
	s_cbranch_execz .LBB1_29
; %bb.110:                              ;   in Loop: Header=BB1_30 Depth=1
	s_mov_b64 s[14:15], 0
.LBB1_111:                              ;   Parent Loop BB1_30 Depth=1
                                        ; =>  This Inner Loop Header: Depth=2
	s_sleep 1
	global_store_dwordx2 v[2:3], v[14:15], off
	v_mov_b32_e32 v12, s4
	v_mov_b32_e32 v13, s5
	s_waitcnt vmcnt(0)
	global_atomic_cmpswap_x2 v[8:9], v31, v[12:15], s[10:11] offset:24 glc
	s_waitcnt vmcnt(0)
	v_cmp_eq_u64_e32 vcc, v[8:9], v[14:15]
	v_mov_b32_e32 v15, v9
	s_or_b64 s[14:15], vcc, s[14:15]
	v_mov_b32_e32 v14, v8
	s_andn2_b64 exec, exec, s[14:15]
	s_cbranch_execnz .LBB1_111
	s_branch .LBB1_29
.LBB1_112:
                                        ; implicit-def: $vgpr0_vgpr1
	s_cbranch_execnz .LBB1_114
	s_branch .LBB1_140
.LBB1_113:
	s_or_b64 exec, exec, s[12:13]
	s_branch .LBB1_140
.LBB1_114:
	v_readfirstlane_b32 s4, v34
	v_mov_b32_e32 v9, 0
	v_mov_b32_e32 v10, 0
	v_cmp_eq_u32_e64 s[4:5], s4, v34
	s_and_saveexec_b64 s[6:7], s[4:5]
	s_cbranch_execz .LBB1_120
; %bb.115:
	s_waitcnt vmcnt(0)
	v_mov_b32_e32 v0, 0
	global_load_dwordx2 v[11:12], v0, s[10:11] offset:24 glc
	s_waitcnt vmcnt(0)
	buffer_wbinvl1_vol
	global_load_dwordx2 v[1:2], v0, s[10:11] offset:40
	global_load_dwordx2 v[8:9], v0, s[10:11]
	s_waitcnt vmcnt(1)
	v_and_b32_e32 v1, v1, v11
	v_and_b32_e32 v2, v2, v12
	v_mul_lo_u32 v2, v2, 24
	v_mul_hi_u32 v3, v1, 24
	v_mul_lo_u32 v1, v1, 24
	v_add_u32_e32 v2, v3, v2
	s_waitcnt vmcnt(0)
	v_add_co_u32_e32 v1, vcc, v8, v1
	v_addc_co_u32_e32 v2, vcc, v9, v2, vcc
	global_load_dwordx2 v[9:10], v[1:2], off glc
	s_waitcnt vmcnt(0)
	global_atomic_cmpswap_x2 v[9:10], v0, v[9:12], s[10:11] offset:24 glc
	s_waitcnt vmcnt(0)
	buffer_wbinvl1_vol
	v_cmp_ne_u64_e32 vcc, v[9:10], v[11:12]
	s_and_saveexec_b64 s[12:13], vcc
	s_cbranch_execz .LBB1_119
; %bb.116:
	s_mov_b64 s[14:15], 0
.LBB1_117:                              ; =>This Inner Loop Header: Depth=1
	s_sleep 1
	global_load_dwordx2 v[1:2], v0, s[10:11] offset:40
	global_load_dwordx2 v[13:14], v0, s[10:11]
	v_mov_b32_e32 v12, v10
	v_mov_b32_e32 v11, v9
	s_waitcnt vmcnt(1)
	v_and_b32_e32 v1, v1, v11
	s_waitcnt vmcnt(0)
	v_mad_u64_u32 v[8:9], s[16:17], v1, 24, v[13:14]
	v_and_b32_e32 v2, v2, v12
	v_mov_b32_e32 v1, v9
	v_mad_u64_u32 v[1:2], s[16:17], v2, 24, v[1:2]
	v_mov_b32_e32 v9, v1
	global_load_dwordx2 v[9:10], v[8:9], off glc
	s_waitcnt vmcnt(0)
	global_atomic_cmpswap_x2 v[9:10], v0, v[9:12], s[10:11] offset:24 glc
	s_waitcnt vmcnt(0)
	buffer_wbinvl1_vol
	v_cmp_eq_u64_e32 vcc, v[9:10], v[11:12]
	s_or_b64 s[14:15], vcc, s[14:15]
	s_andn2_b64 exec, exec, s[14:15]
	s_cbranch_execnz .LBB1_117
; %bb.118:
	s_or_b64 exec, exec, s[14:15]
.LBB1_119:
	s_or_b64 exec, exec, s[12:13]
.LBB1_120:
	s_or_b64 exec, exec, s[6:7]
	v_mov_b32_e32 v8, 0
	global_load_dwordx2 v[11:12], v8, s[10:11] offset:40
	global_load_dwordx4 v[0:3], v8, s[10:11]
	v_readfirstlane_b32 s7, v10
	v_readfirstlane_b32 s6, v9
	s_mov_b64 s[12:13], exec
	s_waitcnt vmcnt(1)
	v_readfirstlane_b32 s14, v11
	v_readfirstlane_b32 s15, v12
	s_and_b64 s[14:15], s[14:15], s[6:7]
	s_mul_i32 s16, s15, 24
	s_mul_hi_u32 s17, s14, 24
	s_mul_i32 s18, s14, 24
	s_add_i32 s16, s17, s16
	v_mov_b32_e32 v9, s16
	s_waitcnt vmcnt(0)
	v_add_co_u32_e32 v10, vcc, s18, v0
	v_addc_co_u32_e32 v11, vcc, v1, v9, vcc
	s_and_saveexec_b64 s[16:17], s[4:5]
	s_cbranch_execz .LBB1_122
; %bb.121:
	v_mov_b32_e32 v12, s12
	v_mov_b32_e32 v13, s13
	;; [unrolled: 1-line block ×4, first 2 shown]
	global_store_dwordx4 v[10:11], v[12:15], off offset:8
.LBB1_122:
	s_or_b64 exec, exec, s[16:17]
	s_lshl_b64 s[12:13], s[14:15], 12
	v_mov_b32_e32 v9, s13
	v_add_co_u32_e32 v2, vcc, s12, v2
	v_addc_co_u32_e32 v3, vcc, v3, v9, vcc
	s_movk_i32 s12, 0xff1f
	v_and_or_b32 v6, v6, s12, 32
	s_mov_b32 s12, 0
	v_mov_b32_e32 v9, v8
	v_readfirstlane_b32 s16, v2
	v_readfirstlane_b32 s17, v3
	v_add_co_u32_e32 v12, vcc, v2, v35
	s_mov_b32 s13, s12
	s_mov_b32 s14, s12
	;; [unrolled: 1-line block ×3, first 2 shown]
	s_nop 0
	global_store_dwordx4 v35, v[6:9], s[16:17]
	v_addc_co_u32_e32 v13, vcc, 0, v3, vcc
	v_mov_b32_e32 v6, s12
	v_mov_b32_e32 v7, s13
	;; [unrolled: 1-line block ×4, first 2 shown]
	global_store_dwordx4 v35, v[6:9], s[16:17] offset:16
	global_store_dwordx4 v35, v[6:9], s[16:17] offset:32
	;; [unrolled: 1-line block ×3, first 2 shown]
	s_and_saveexec_b64 s[12:13], s[4:5]
	s_cbranch_execz .LBB1_130
; %bb.123:
	v_mov_b32_e32 v8, 0
	global_load_dwordx2 v[16:17], v8, s[10:11] offset:32 glc
	global_load_dwordx2 v[2:3], v8, s[10:11] offset:40
	v_mov_b32_e32 v14, s6
	v_mov_b32_e32 v15, s7
	s_waitcnt vmcnt(0)
	v_readfirstlane_b32 s14, v2
	v_readfirstlane_b32 s15, v3
	s_and_b64 s[14:15], s[14:15], s[6:7]
	s_mul_i32 s15, s15, 24
	s_mul_hi_u32 s16, s14, 24
	s_mul_i32 s14, s14, 24
	s_add_i32 s15, s16, s15
	v_mov_b32_e32 v2, s15
	v_add_co_u32_e32 v6, vcc, s14, v0
	v_addc_co_u32_e32 v7, vcc, v1, v2, vcc
	global_store_dwordx2 v[6:7], v[16:17], off
	s_waitcnt vmcnt(0)
	global_atomic_cmpswap_x2 v[2:3], v8, v[14:17], s[10:11] offset:32 glc
	s_waitcnt vmcnt(0)
	v_cmp_ne_u64_e32 vcc, v[2:3], v[16:17]
	s_and_saveexec_b64 s[14:15], vcc
	s_cbranch_execz .LBB1_126
; %bb.124:
	s_mov_b64 s[16:17], 0
.LBB1_125:                              ; =>This Inner Loop Header: Depth=1
	s_sleep 1
	global_store_dwordx2 v[6:7], v[2:3], off
	v_mov_b32_e32 v0, s6
	v_mov_b32_e32 v1, s7
	s_waitcnt vmcnt(0)
	global_atomic_cmpswap_x2 v[0:1], v8, v[0:3], s[10:11] offset:32 glc
	s_waitcnt vmcnt(0)
	v_cmp_eq_u64_e32 vcc, v[0:1], v[2:3]
	v_mov_b32_e32 v3, v1
	s_or_b64 s[16:17], vcc, s[16:17]
	v_mov_b32_e32 v2, v0
	s_andn2_b64 exec, exec, s[16:17]
	s_cbranch_execnz .LBB1_125
.LBB1_126:
	s_or_b64 exec, exec, s[14:15]
	v_mov_b32_e32 v3, 0
	global_load_dwordx2 v[0:1], v3, s[10:11] offset:16
	s_mov_b64 s[14:15], exec
	v_mbcnt_lo_u32_b32 v2, s14, 0
	v_mbcnt_hi_u32_b32 v2, s15, v2
	v_cmp_eq_u32_e32 vcc, 0, v2
	s_and_saveexec_b64 s[16:17], vcc
	s_cbranch_execz .LBB1_128
; %bb.127:
	s_bcnt1_i32_b64 s14, s[14:15]
	v_mov_b32_e32 v2, s14
	s_waitcnt vmcnt(0)
	global_atomic_add_x2 v[0:1], v[2:3], off offset:8
.LBB1_128:
	s_or_b64 exec, exec, s[16:17]
	s_waitcnt vmcnt(0)
	global_load_dwordx2 v[2:3], v[0:1], off offset:16
	s_waitcnt vmcnt(0)
	v_cmp_eq_u64_e32 vcc, 0, v[2:3]
	s_cbranch_vccnz .LBB1_130
; %bb.129:
	global_load_dword v0, v[0:1], off offset:24
	v_mov_b32_e32 v1, 0
	s_waitcnt vmcnt(0)
	v_readfirstlane_b32 s14, v0
	s_and_b32 m0, s14, 0xffffff
	global_store_dwordx2 v[2:3], v[0:1], off
	s_sendmsg sendmsg(MSG_INTERRUPT)
.LBB1_130:
	s_or_b64 exec, exec, s[12:13]
	s_branch .LBB1_134
.LBB1_131:                              ;   in Loop: Header=BB1_134 Depth=1
	s_or_b64 exec, exec, s[12:13]
	v_readfirstlane_b32 s12, v0
	s_cmp_eq_u32 s12, 0
	s_cbranch_scc1 .LBB1_133
; %bb.132:                              ;   in Loop: Header=BB1_134 Depth=1
	s_sleep 1
	s_cbranch_execnz .LBB1_134
	s_branch .LBB1_136
.LBB1_133:
	s_branch .LBB1_136
.LBB1_134:                              ; =>This Inner Loop Header: Depth=1
	v_mov_b32_e32 v0, 1
	s_and_saveexec_b64 s[12:13], s[4:5]
	s_cbranch_execz .LBB1_131
; %bb.135:                              ;   in Loop: Header=BB1_134 Depth=1
	global_load_dword v0, v[10:11], off offset:20 glc
	s_waitcnt vmcnt(0)
	buffer_wbinvl1_vol
	v_and_b32_e32 v0, 1, v0
	s_branch .LBB1_131
.LBB1_136:
	global_load_dwordx2 v[0:1], v[12:13], off
	s_and_saveexec_b64 s[12:13], s[4:5]
	s_cbranch_execz .LBB1_139
; %bb.137:
	v_mov_b32_e32 v10, 0
	global_load_dwordx2 v[2:3], v10, s[10:11] offset:40
	global_load_dwordx2 v[13:14], v10, s[10:11] offset:24 glc
	global_load_dwordx2 v[6:7], v10, s[10:11]
	s_waitcnt vmcnt(2)
	v_readfirstlane_b32 s14, v2
	v_readfirstlane_b32 s15, v3
	s_add_u32 s16, s14, 1
	s_addc_u32 s17, s15, 0
	s_add_u32 s4, s16, s6
	s_addc_u32 s5, s17, s7
	s_cmp_eq_u64 s[4:5], 0
	s_cselect_b32 s5, s17, s5
	s_cselect_b32 s4, s16, s4
	s_and_b64 s[6:7], s[4:5], s[14:15]
	s_mul_i32 s7, s7, 24
	s_mul_hi_u32 s14, s6, 24
	s_mul_i32 s6, s6, 24
	s_add_i32 s7, s14, s7
	v_mov_b32_e32 v3, s7
	s_waitcnt vmcnt(0)
	v_add_co_u32_e32 v2, vcc, s6, v6
	v_addc_co_u32_e32 v3, vcc, v7, v3, vcc
	v_mov_b32_e32 v11, s4
	global_store_dwordx2 v[2:3], v[13:14], off
	v_mov_b32_e32 v12, s5
	s_waitcnt vmcnt(0)
	global_atomic_cmpswap_x2 v[8:9], v10, v[11:14], s[10:11] offset:24 glc
	s_mov_b64 s[6:7], 0
	s_waitcnt vmcnt(0)
	v_cmp_ne_u64_e32 vcc, v[8:9], v[13:14]
	s_and_b64 exec, exec, vcc
	s_cbranch_execz .LBB1_139
.LBB1_138:                              ; =>This Inner Loop Header: Depth=1
	s_sleep 1
	global_store_dwordx2 v[2:3], v[8:9], off
	v_mov_b32_e32 v6, s4
	v_mov_b32_e32 v7, s5
	s_waitcnt vmcnt(0)
	global_atomic_cmpswap_x2 v[6:7], v10, v[6:9], s[10:11] offset:24 glc
	s_waitcnt vmcnt(0)
	v_cmp_eq_u64_e32 vcc, v[6:7], v[8:9]
	v_mov_b32_e32 v9, v7
	s_or_b64 s[6:7], vcc, s[6:7]
	v_mov_b32_e32 v8, v6
	s_andn2_b64 exec, exec, s[6:7]
	s_cbranch_execnz .LBB1_138
.LBB1_139:
	s_or_b64 exec, exec, s[12:13]
.LBB1_140:
	s_getpc_b64 s[6:7]
	s_add_u32 s6, s6, .str.4@rel32@lo+4
	s_addc_u32 s7, s7, .str.4@rel32@hi+12
	s_cmp_lg_u64 s[6:7], 0
	s_cbranch_scc0 .LBB1_225
; %bb.141:
	s_getpc_b64 s[4:5]
	s_add_u32 s4, s4, .str.4@rel32@lo+80
	s_addc_u32 s5, s5, .str.4@rel32@hi+88
	s_sub_i32 s12, s4, s6
	s_ashr_i32 s13, s12, 31
	s_waitcnt vmcnt(0)
	v_and_b32_e32 v32, 2, v0
	v_mov_b32_e32 v3, 0
	v_and_b32_e32 v6, -3, v0
	v_mov_b32_e32 v7, v1
	v_mov_b32_e32 v12, 2
	;; [unrolled: 1-line block ×3, first 2 shown]
	s_branch .LBB1_143
.LBB1_142:                              ;   in Loop: Header=BB1_143 Depth=1
	s_or_b64 exec, exec, s[18:19]
	s_sub_u32 s12, s12, s14
	s_subb_u32 s13, s13, s15
	s_add_u32 s6, s6, s14
	s_addc_u32 s7, s7, s15
	s_cmp_lg_u64 s[12:13], 0
	s_cbranch_scc0 .LBB1_226
.LBB1_143:                              ; =>This Loop Header: Depth=1
                                        ;     Child Loop BB1_146 Depth 2
                                        ;     Child Loop BB1_154 Depth 2
                                        ;     Child Loop BB1_162 Depth 2
                                        ;     Child Loop BB1_170 Depth 2
                                        ;     Child Loop BB1_178 Depth 2
                                        ;     Child Loop BB1_186 Depth 2
                                        ;     Child Loop BB1_194 Depth 2
                                        ;     Child Loop BB1_202 Depth 2
                                        ;     Child Loop BB1_210 Depth 2
                                        ;     Child Loop BB1_219 Depth 2
                                        ;     Child Loop BB1_224 Depth 2
	v_cmp_lt_u64_e64 s[4:5], s[12:13], 56
	v_cmp_gt_u64_e64 s[16:17], s[12:13], 7
	s_and_b64 s[4:5], s[4:5], exec
	s_cselect_b32 s15, s13, 0
	s_cselect_b32 s14, s12, 56
	s_add_u32 s4, s6, 8
	s_addc_u32 s5, s7, 0
	s_and_b64 vcc, exec, s[16:17]
	s_cbranch_vccnz .LBB1_147
; %bb.144:                              ;   in Loop: Header=BB1_143 Depth=1
	s_cmp_eq_u64 s[12:13], 0
	s_cbranch_scc1 .LBB1_148
; %bb.145:                              ;   in Loop: Header=BB1_143 Depth=1
	v_mov_b32_e32 v8, 0
	s_lshl_b64 s[4:5], s[14:15], 3
	s_mov_b64 s[16:17], 0
	v_mov_b32_e32 v9, 0
	s_mov_b64 s[18:19], s[6:7]
.LBB1_146:                              ;   Parent Loop BB1_143 Depth=1
                                        ; =>  This Inner Loop Header: Depth=2
	global_load_ubyte v2, v3, s[18:19]
	s_waitcnt vmcnt(0)
	v_and_b32_e32 v2, 0xffff, v2
	v_lshlrev_b64 v[10:11], s16, v[2:3]
	s_add_u32 s16, s16, 8
	s_addc_u32 s17, s17, 0
	s_add_u32 s18, s18, 1
	s_addc_u32 s19, s19, 0
	v_or_b32_e32 v8, v10, v8
	s_cmp_lg_u32 s4, s16
	v_or_b32_e32 v9, v11, v9
	s_cbranch_scc1 .LBB1_146
	s_branch .LBB1_149
.LBB1_147:                              ;   in Loop: Header=BB1_143 Depth=1
	s_mov_b32 s20, 0
	s_branch .LBB1_150
.LBB1_148:                              ;   in Loop: Header=BB1_143 Depth=1
	v_mov_b32_e32 v8, 0
	v_mov_b32_e32 v9, 0
.LBB1_149:                              ;   in Loop: Header=BB1_143 Depth=1
	s_mov_b64 s[4:5], s[6:7]
	s_mov_b32 s20, 0
	s_cbranch_execnz .LBB1_151
.LBB1_150:                              ;   in Loop: Header=BB1_143 Depth=1
	global_load_dwordx2 v[8:9], v3, s[6:7]
	s_add_i32 s20, s14, -8
.LBB1_151:                              ;   in Loop: Header=BB1_143 Depth=1
	s_add_u32 s16, s4, 8
	s_addc_u32 s17, s5, 0
	s_cmp_gt_u32 s20, 7
	s_cbranch_scc1 .LBB1_155
; %bb.152:                              ;   in Loop: Header=BB1_143 Depth=1
	s_cmp_eq_u32 s20, 0
	s_cbranch_scc1 .LBB1_156
; %bb.153:                              ;   in Loop: Header=BB1_143 Depth=1
	v_mov_b32_e32 v14, 0
	s_mov_b64 s[16:17], 0
	v_mov_b32_e32 v15, 0
	s_mov_b64 s[18:19], 0
.LBB1_154:                              ;   Parent Loop BB1_143 Depth=1
                                        ; =>  This Inner Loop Header: Depth=2
	s_add_u32 s22, s4, s18
	s_addc_u32 s23, s5, s19
	global_load_ubyte v2, v3, s[22:23]
	s_add_u32 s18, s18, 1
	s_addc_u32 s19, s19, 0
	s_waitcnt vmcnt(0)
	v_and_b32_e32 v2, 0xffff, v2
	v_lshlrev_b64 v[10:11], s16, v[2:3]
	s_add_u32 s16, s16, 8
	s_addc_u32 s17, s17, 0
	v_or_b32_e32 v14, v10, v14
	s_cmp_lg_u32 s20, s18
	v_or_b32_e32 v15, v11, v15
	s_cbranch_scc1 .LBB1_154
	s_branch .LBB1_157
.LBB1_155:                              ;   in Loop: Header=BB1_143 Depth=1
                                        ; implicit-def: $vgpr14_vgpr15
	s_mov_b32 s21, 0
	s_branch .LBB1_158
.LBB1_156:                              ;   in Loop: Header=BB1_143 Depth=1
	v_mov_b32_e32 v14, 0
	v_mov_b32_e32 v15, 0
.LBB1_157:                              ;   in Loop: Header=BB1_143 Depth=1
	s_mov_b64 s[16:17], s[4:5]
	s_mov_b32 s21, 0
	s_cbranch_execnz .LBB1_159
.LBB1_158:                              ;   in Loop: Header=BB1_143 Depth=1
	global_load_dwordx2 v[14:15], v3, s[4:5]
	s_add_i32 s21, s20, -8
.LBB1_159:                              ;   in Loop: Header=BB1_143 Depth=1
	s_add_u32 s4, s16, 8
	s_addc_u32 s5, s17, 0
	s_cmp_gt_u32 s21, 7
	s_cbranch_scc1 .LBB1_163
; %bb.160:                              ;   in Loop: Header=BB1_143 Depth=1
	s_cmp_eq_u32 s21, 0
	s_cbranch_scc1 .LBB1_164
; %bb.161:                              ;   in Loop: Header=BB1_143 Depth=1
	v_mov_b32_e32 v16, 0
	s_mov_b64 s[4:5], 0
	v_mov_b32_e32 v17, 0
	s_mov_b64 s[18:19], 0
.LBB1_162:                              ;   Parent Loop BB1_143 Depth=1
                                        ; =>  This Inner Loop Header: Depth=2
	s_add_u32 s22, s16, s18
	s_addc_u32 s23, s17, s19
	global_load_ubyte v2, v3, s[22:23]
	s_add_u32 s18, s18, 1
	s_addc_u32 s19, s19, 0
	s_waitcnt vmcnt(0)
	v_and_b32_e32 v2, 0xffff, v2
	v_lshlrev_b64 v[10:11], s4, v[2:3]
	s_add_u32 s4, s4, 8
	s_addc_u32 s5, s5, 0
	v_or_b32_e32 v16, v10, v16
	s_cmp_lg_u32 s21, s18
	v_or_b32_e32 v17, v11, v17
	s_cbranch_scc1 .LBB1_162
	s_branch .LBB1_165
.LBB1_163:                              ;   in Loop: Header=BB1_143 Depth=1
	s_mov_b32 s20, 0
	s_branch .LBB1_166
.LBB1_164:                              ;   in Loop: Header=BB1_143 Depth=1
	v_mov_b32_e32 v16, 0
	v_mov_b32_e32 v17, 0
.LBB1_165:                              ;   in Loop: Header=BB1_143 Depth=1
	s_mov_b64 s[4:5], s[16:17]
	s_mov_b32 s20, 0
	s_cbranch_execnz .LBB1_167
.LBB1_166:                              ;   in Loop: Header=BB1_143 Depth=1
	global_load_dwordx2 v[16:17], v3, s[16:17]
	s_add_i32 s20, s21, -8
.LBB1_167:                              ;   in Loop: Header=BB1_143 Depth=1
	s_add_u32 s16, s4, 8
	s_addc_u32 s17, s5, 0
	s_cmp_gt_u32 s20, 7
	s_cbranch_scc1 .LBB1_171
; %bb.168:                              ;   in Loop: Header=BB1_143 Depth=1
	s_cmp_eq_u32 s20, 0
	s_cbranch_scc1 .LBB1_172
; %bb.169:                              ;   in Loop: Header=BB1_143 Depth=1
	v_mov_b32_e32 v18, 0
	s_mov_b64 s[16:17], 0
	v_mov_b32_e32 v19, 0
	s_mov_b64 s[18:19], 0
.LBB1_170:                              ;   Parent Loop BB1_143 Depth=1
                                        ; =>  This Inner Loop Header: Depth=2
	s_add_u32 s22, s4, s18
	s_addc_u32 s23, s5, s19
	global_load_ubyte v2, v3, s[22:23]
	s_add_u32 s18, s18, 1
	s_addc_u32 s19, s19, 0
	s_waitcnt vmcnt(0)
	v_and_b32_e32 v2, 0xffff, v2
	v_lshlrev_b64 v[10:11], s16, v[2:3]
	s_add_u32 s16, s16, 8
	s_addc_u32 s17, s17, 0
	v_or_b32_e32 v18, v10, v18
	s_cmp_lg_u32 s20, s18
	v_or_b32_e32 v19, v11, v19
	s_cbranch_scc1 .LBB1_170
	s_branch .LBB1_173
.LBB1_171:                              ;   in Loop: Header=BB1_143 Depth=1
                                        ; implicit-def: $vgpr18_vgpr19
	s_mov_b32 s21, 0
	s_branch .LBB1_174
.LBB1_172:                              ;   in Loop: Header=BB1_143 Depth=1
	v_mov_b32_e32 v18, 0
	v_mov_b32_e32 v19, 0
.LBB1_173:                              ;   in Loop: Header=BB1_143 Depth=1
	s_mov_b64 s[16:17], s[4:5]
	s_mov_b32 s21, 0
	s_cbranch_execnz .LBB1_175
.LBB1_174:                              ;   in Loop: Header=BB1_143 Depth=1
	global_load_dwordx2 v[18:19], v3, s[4:5]
	s_add_i32 s21, s20, -8
.LBB1_175:                              ;   in Loop: Header=BB1_143 Depth=1
	s_add_u32 s4, s16, 8
	s_addc_u32 s5, s17, 0
	s_cmp_gt_u32 s21, 7
	s_cbranch_scc1 .LBB1_179
; %bb.176:                              ;   in Loop: Header=BB1_143 Depth=1
	s_cmp_eq_u32 s21, 0
	s_cbranch_scc1 .LBB1_180
; %bb.177:                              ;   in Loop: Header=BB1_143 Depth=1
	v_mov_b32_e32 v20, 0
	s_mov_b64 s[4:5], 0
	v_mov_b32_e32 v21, 0
	s_mov_b64 s[18:19], 0
.LBB1_178:                              ;   Parent Loop BB1_143 Depth=1
                                        ; =>  This Inner Loop Header: Depth=2
	s_add_u32 s22, s16, s18
	s_addc_u32 s23, s17, s19
	global_load_ubyte v2, v3, s[22:23]
	s_add_u32 s18, s18, 1
	s_addc_u32 s19, s19, 0
	s_waitcnt vmcnt(0)
	v_and_b32_e32 v2, 0xffff, v2
	v_lshlrev_b64 v[10:11], s4, v[2:3]
	s_add_u32 s4, s4, 8
	s_addc_u32 s5, s5, 0
	v_or_b32_e32 v20, v10, v20
	s_cmp_lg_u32 s21, s18
	v_or_b32_e32 v21, v11, v21
	s_cbranch_scc1 .LBB1_178
	s_branch .LBB1_181
.LBB1_179:                              ;   in Loop: Header=BB1_143 Depth=1
	s_mov_b32 s20, 0
	s_branch .LBB1_182
.LBB1_180:                              ;   in Loop: Header=BB1_143 Depth=1
	v_mov_b32_e32 v20, 0
	v_mov_b32_e32 v21, 0
.LBB1_181:                              ;   in Loop: Header=BB1_143 Depth=1
	s_mov_b64 s[4:5], s[16:17]
	s_mov_b32 s20, 0
	s_cbranch_execnz .LBB1_183
.LBB1_182:                              ;   in Loop: Header=BB1_143 Depth=1
	global_load_dwordx2 v[20:21], v3, s[16:17]
	s_add_i32 s20, s21, -8
.LBB1_183:                              ;   in Loop: Header=BB1_143 Depth=1
	s_add_u32 s16, s4, 8
	s_addc_u32 s17, s5, 0
	s_cmp_gt_u32 s20, 7
	s_cbranch_scc1 .LBB1_187
; %bb.184:                              ;   in Loop: Header=BB1_143 Depth=1
	s_cmp_eq_u32 s20, 0
	s_cbranch_scc1 .LBB1_188
; %bb.185:                              ;   in Loop: Header=BB1_143 Depth=1
	v_mov_b32_e32 v22, 0
	s_mov_b64 s[16:17], 0
	v_mov_b32_e32 v23, 0
	s_mov_b64 s[18:19], 0
.LBB1_186:                              ;   Parent Loop BB1_143 Depth=1
                                        ; =>  This Inner Loop Header: Depth=2
	s_add_u32 s22, s4, s18
	s_addc_u32 s23, s5, s19
	global_load_ubyte v2, v3, s[22:23]
	s_add_u32 s18, s18, 1
	s_addc_u32 s19, s19, 0
	s_waitcnt vmcnt(0)
	v_and_b32_e32 v2, 0xffff, v2
	v_lshlrev_b64 v[10:11], s16, v[2:3]
	s_add_u32 s16, s16, 8
	s_addc_u32 s17, s17, 0
	v_or_b32_e32 v22, v10, v22
	s_cmp_lg_u32 s20, s18
	v_or_b32_e32 v23, v11, v23
	s_cbranch_scc1 .LBB1_186
	s_branch .LBB1_189
.LBB1_187:                              ;   in Loop: Header=BB1_143 Depth=1
                                        ; implicit-def: $vgpr22_vgpr23
	s_mov_b32 s21, 0
	s_branch .LBB1_190
.LBB1_188:                              ;   in Loop: Header=BB1_143 Depth=1
	v_mov_b32_e32 v22, 0
	v_mov_b32_e32 v23, 0
.LBB1_189:                              ;   in Loop: Header=BB1_143 Depth=1
	s_mov_b64 s[16:17], s[4:5]
	s_mov_b32 s21, 0
	s_cbranch_execnz .LBB1_191
.LBB1_190:                              ;   in Loop: Header=BB1_143 Depth=1
	global_load_dwordx2 v[22:23], v3, s[4:5]
	s_add_i32 s21, s20, -8
.LBB1_191:                              ;   in Loop: Header=BB1_143 Depth=1
	s_cmp_gt_u32 s21, 7
	s_cbranch_scc1 .LBB1_195
; %bb.192:                              ;   in Loop: Header=BB1_143 Depth=1
	s_cmp_eq_u32 s21, 0
	s_cbranch_scc1 .LBB1_196
; %bb.193:                              ;   in Loop: Header=BB1_143 Depth=1
	v_mov_b32_e32 v24, 0
	s_mov_b64 s[4:5], 0
	v_mov_b32_e32 v25, 0
	s_mov_b64 s[18:19], s[16:17]
.LBB1_194:                              ;   Parent Loop BB1_143 Depth=1
                                        ; =>  This Inner Loop Header: Depth=2
	global_load_ubyte v2, v3, s[18:19]
	s_add_i32 s21, s21, -1
	s_waitcnt vmcnt(0)
	v_and_b32_e32 v2, 0xffff, v2
	v_lshlrev_b64 v[10:11], s4, v[2:3]
	s_add_u32 s4, s4, 8
	s_addc_u32 s5, s5, 0
	s_add_u32 s18, s18, 1
	s_addc_u32 s19, s19, 0
	v_or_b32_e32 v24, v10, v24
	s_cmp_lg_u32 s21, 0
	v_or_b32_e32 v25, v11, v25
	s_cbranch_scc1 .LBB1_194
	s_branch .LBB1_197
.LBB1_195:                              ;   in Loop: Header=BB1_143 Depth=1
	s_branch .LBB1_198
.LBB1_196:                              ;   in Loop: Header=BB1_143 Depth=1
	v_mov_b32_e32 v24, 0
	v_mov_b32_e32 v25, 0
.LBB1_197:                              ;   in Loop: Header=BB1_143 Depth=1
	s_cbranch_execnz .LBB1_199
.LBB1_198:                              ;   in Loop: Header=BB1_143 Depth=1
	global_load_dwordx2 v[24:25], v3, s[16:17]
.LBB1_199:                              ;   in Loop: Header=BB1_143 Depth=1
	v_readfirstlane_b32 s4, v34
	v_mov_b32_e32 v10, 0
	v_mov_b32_e32 v11, 0
	v_cmp_eq_u32_e64 s[4:5], s4, v34
	s_and_saveexec_b64 s[16:17], s[4:5]
	s_cbranch_execz .LBB1_205
; %bb.200:                              ;   in Loop: Header=BB1_143 Depth=1
	global_load_dwordx2 v[28:29], v3, s[10:11] offset:24 glc
	s_waitcnt vmcnt(0)
	buffer_wbinvl1_vol
	global_load_dwordx2 v[10:11], v3, s[10:11] offset:40
	global_load_dwordx2 v[26:27], v3, s[10:11]
	s_waitcnt vmcnt(1)
	v_and_b32_e32 v2, v10, v28
	v_and_b32_e32 v10, v11, v29
	v_mul_lo_u32 v10, v10, 24
	v_mul_hi_u32 v11, v2, 24
	v_mul_lo_u32 v2, v2, 24
	v_add_u32_e32 v11, v11, v10
	s_waitcnt vmcnt(0)
	v_add_co_u32_e32 v10, vcc, v26, v2
	v_addc_co_u32_e32 v11, vcc, v27, v11, vcc
	global_load_dwordx2 v[26:27], v[10:11], off glc
	s_waitcnt vmcnt(0)
	global_atomic_cmpswap_x2 v[10:11], v3, v[26:29], s[10:11] offset:24 glc
	s_waitcnt vmcnt(0)
	buffer_wbinvl1_vol
	v_cmp_ne_u64_e32 vcc, v[10:11], v[28:29]
	s_and_saveexec_b64 s[18:19], vcc
	s_cbranch_execz .LBB1_204
; %bb.201:                              ;   in Loop: Header=BB1_143 Depth=1
	s_mov_b64 s[20:21], 0
.LBB1_202:                              ;   Parent Loop BB1_143 Depth=1
                                        ; =>  This Inner Loop Header: Depth=2
	s_sleep 1
	global_load_dwordx2 v[26:27], v3, s[10:11] offset:40
	global_load_dwordx2 v[30:31], v3, s[10:11]
	v_mov_b32_e32 v29, v11
	v_mov_b32_e32 v28, v10
	s_waitcnt vmcnt(1)
	v_and_b32_e32 v2, v26, v28
	s_waitcnt vmcnt(0)
	v_mad_u64_u32 v[10:11], s[22:23], v2, 24, v[30:31]
	v_and_b32_e32 v26, v27, v29
	v_mov_b32_e32 v2, v11
	v_mad_u64_u32 v[26:27], s[22:23], v26, 24, v[2:3]
	v_mov_b32_e32 v11, v26
	global_load_dwordx2 v[26:27], v[10:11], off glc
	s_waitcnt vmcnt(0)
	global_atomic_cmpswap_x2 v[10:11], v3, v[26:29], s[10:11] offset:24 glc
	s_waitcnt vmcnt(0)
	buffer_wbinvl1_vol
	v_cmp_eq_u64_e32 vcc, v[10:11], v[28:29]
	s_or_b64 s[20:21], vcc, s[20:21]
	s_andn2_b64 exec, exec, s[20:21]
	s_cbranch_execnz .LBB1_202
; %bb.203:                              ;   in Loop: Header=BB1_143 Depth=1
	s_or_b64 exec, exec, s[20:21]
.LBB1_204:                              ;   in Loop: Header=BB1_143 Depth=1
	s_or_b64 exec, exec, s[18:19]
.LBB1_205:                              ;   in Loop: Header=BB1_143 Depth=1
	s_or_b64 exec, exec, s[16:17]
	global_load_dwordx2 v[30:31], v3, s[10:11] offset:40
	global_load_dwordx4 v[26:29], v3, s[10:11]
	v_readfirstlane_b32 s17, v11
	v_readfirstlane_b32 s16, v10
	s_mov_b64 s[18:19], exec
	s_waitcnt vmcnt(1)
	v_readfirstlane_b32 s20, v30
	v_readfirstlane_b32 s21, v31
	s_and_b64 s[20:21], s[20:21], s[16:17]
	s_mul_i32 s22, s21, 24
	s_mul_hi_u32 s23, s20, 24
	s_mul_i32 s24, s20, 24
	s_add_i32 s22, s23, s22
	v_mov_b32_e32 v2, s22
	s_waitcnt vmcnt(0)
	v_add_co_u32_e32 v30, vcc, s24, v26
	v_addc_co_u32_e32 v31, vcc, v27, v2, vcc
	s_and_saveexec_b64 s[22:23], s[4:5]
	s_cbranch_execz .LBB1_207
; %bb.206:                              ;   in Loop: Header=BB1_143 Depth=1
	v_mov_b32_e32 v10, s18
	v_mov_b32_e32 v11, s19
	global_store_dwordx4 v[30:31], v[10:13], off offset:8
.LBB1_207:                              ;   in Loop: Header=BB1_143 Depth=1
	s_or_b64 exec, exec, s[22:23]
	s_lshl_b64 s[18:19], s[20:21], 12
	v_mov_b32_e32 v2, s19
	v_add_co_u32_e32 v28, vcc, s18, v28
	v_addc_co_u32_e32 v29, vcc, v29, v2, vcc
	v_cmp_lt_u64_e64 vcc, s[12:13], 57
	s_lshl_b32 s18, s14, 2
	v_cndmask_b32_e32 v2, 0, v32, vcc
	s_add_i32 s18, s18, 28
	v_and_b32_e32 v6, 0xffffff1f, v6
	s_and_b32 s18, s18, 0x1e0
	v_or_b32_e32 v2, v6, v2
	v_or_b32_e32 v6, s18, v2
	v_readfirstlane_b32 s18, v28
	v_readfirstlane_b32 s19, v29
	s_nop 4
	global_store_dwordx4 v35, v[6:9], s[18:19]
	global_store_dwordx4 v35, v[14:17], s[18:19] offset:16
	global_store_dwordx4 v35, v[18:21], s[18:19] offset:32
	;; [unrolled: 1-line block ×3, first 2 shown]
	s_and_saveexec_b64 s[18:19], s[4:5]
	s_cbranch_execz .LBB1_215
; %bb.208:                              ;   in Loop: Header=BB1_143 Depth=1
	global_load_dwordx2 v[16:17], v3, s[10:11] offset:32 glc
	global_load_dwordx2 v[6:7], v3, s[10:11] offset:40
	v_mov_b32_e32 v14, s16
	v_mov_b32_e32 v15, s17
	s_waitcnt vmcnt(0)
	v_readfirstlane_b32 s20, v6
	v_readfirstlane_b32 s21, v7
	s_and_b64 s[20:21], s[20:21], s[16:17]
	s_mul_i32 s21, s21, 24
	s_mul_hi_u32 s22, s20, 24
	s_mul_i32 s20, s20, 24
	s_add_i32 s21, s22, s21
	v_mov_b32_e32 v2, s21
	v_add_co_u32_e32 v10, vcc, s20, v26
	v_addc_co_u32_e32 v11, vcc, v27, v2, vcc
	global_store_dwordx2 v[10:11], v[16:17], off
	s_waitcnt vmcnt(0)
	global_atomic_cmpswap_x2 v[8:9], v3, v[14:17], s[10:11] offset:32 glc
	s_waitcnt vmcnt(0)
	v_cmp_ne_u64_e32 vcc, v[8:9], v[16:17]
	s_and_saveexec_b64 s[20:21], vcc
	s_cbranch_execz .LBB1_211
; %bb.209:                              ;   in Loop: Header=BB1_143 Depth=1
	s_mov_b64 s[22:23], 0
.LBB1_210:                              ;   Parent Loop BB1_143 Depth=1
                                        ; =>  This Inner Loop Header: Depth=2
	s_sleep 1
	global_store_dwordx2 v[10:11], v[8:9], off
	v_mov_b32_e32 v6, s16
	v_mov_b32_e32 v7, s17
	s_waitcnt vmcnt(0)
	global_atomic_cmpswap_x2 v[6:7], v3, v[6:9], s[10:11] offset:32 glc
	s_waitcnt vmcnt(0)
	v_cmp_eq_u64_e32 vcc, v[6:7], v[8:9]
	v_mov_b32_e32 v9, v7
	s_or_b64 s[22:23], vcc, s[22:23]
	v_mov_b32_e32 v8, v6
	s_andn2_b64 exec, exec, s[22:23]
	s_cbranch_execnz .LBB1_210
.LBB1_211:                              ;   in Loop: Header=BB1_143 Depth=1
	s_or_b64 exec, exec, s[20:21]
	global_load_dwordx2 v[6:7], v3, s[10:11] offset:16
	s_mov_b64 s[22:23], exec
	v_mbcnt_lo_u32_b32 v2, s22, 0
	v_mbcnt_hi_u32_b32 v2, s23, v2
	v_cmp_eq_u32_e32 vcc, 0, v2
	s_and_saveexec_b64 s[20:21], vcc
	s_cbranch_execz .LBB1_213
; %bb.212:                              ;   in Loop: Header=BB1_143 Depth=1
	s_bcnt1_i32_b64 s22, s[22:23]
	v_mov_b32_e32 v2, s22
	s_waitcnt vmcnt(0)
	global_atomic_add_x2 v[6:7], v[2:3], off offset:8
.LBB1_213:                              ;   in Loop: Header=BB1_143 Depth=1
	s_or_b64 exec, exec, s[20:21]
	s_waitcnt vmcnt(0)
	global_load_dwordx2 v[8:9], v[6:7], off offset:16
	s_waitcnt vmcnt(0)
	v_cmp_eq_u64_e32 vcc, 0, v[8:9]
	s_cbranch_vccnz .LBB1_215
; %bb.214:                              ;   in Loop: Header=BB1_143 Depth=1
	global_load_dword v2, v[6:7], off offset:24
	s_waitcnt vmcnt(0)
	v_readfirstlane_b32 s20, v2
	s_and_b32 m0, s20, 0xffffff
	global_store_dwordx2 v[8:9], v[2:3], off
	s_sendmsg sendmsg(MSG_INTERRUPT)
.LBB1_215:                              ;   in Loop: Header=BB1_143 Depth=1
	s_or_b64 exec, exec, s[18:19]
	v_add_co_u32_e32 v6, vcc, v28, v35
	v_addc_co_u32_e32 v7, vcc, 0, v29, vcc
	s_branch .LBB1_219
.LBB1_216:                              ;   in Loop: Header=BB1_219 Depth=2
	s_or_b64 exec, exec, s[18:19]
	v_readfirstlane_b32 s18, v2
	s_cmp_eq_u32 s18, 0
	s_cbranch_scc1 .LBB1_218
; %bb.217:                              ;   in Loop: Header=BB1_219 Depth=2
	s_sleep 1
	s_cbranch_execnz .LBB1_219
	s_branch .LBB1_221
.LBB1_218:                              ;   in Loop: Header=BB1_143 Depth=1
	s_branch .LBB1_221
.LBB1_219:                              ;   Parent Loop BB1_143 Depth=1
                                        ; =>  This Inner Loop Header: Depth=2
	v_mov_b32_e32 v2, 1
	s_and_saveexec_b64 s[18:19], s[4:5]
	s_cbranch_execz .LBB1_216
; %bb.220:                              ;   in Loop: Header=BB1_219 Depth=2
	global_load_dword v2, v[30:31], off offset:20 glc
	s_waitcnt vmcnt(0)
	buffer_wbinvl1_vol
	v_and_b32_e32 v2, 1, v2
	s_branch .LBB1_216
.LBB1_221:                              ;   in Loop: Header=BB1_143 Depth=1
	global_load_dwordx2 v[6:7], v[6:7], off
	s_and_saveexec_b64 s[18:19], s[4:5]
	s_cbranch_execz .LBB1_142
; %bb.222:                              ;   in Loop: Header=BB1_143 Depth=1
	global_load_dwordx2 v[8:9], v3, s[10:11] offset:40
	global_load_dwordx2 v[18:19], v3, s[10:11] offset:24 glc
	global_load_dwordx2 v[10:11], v3, s[10:11]
	s_waitcnt vmcnt(2)
	v_readfirstlane_b32 s20, v8
	v_readfirstlane_b32 s21, v9
	s_add_u32 s22, s20, 1
	s_addc_u32 s23, s21, 0
	s_add_u32 s4, s22, s16
	s_addc_u32 s5, s23, s17
	s_cmp_eq_u64 s[4:5], 0
	s_cselect_b32 s5, s23, s5
	s_cselect_b32 s4, s22, s4
	s_and_b64 s[16:17], s[4:5], s[20:21]
	s_mul_i32 s17, s17, 24
	s_mul_hi_u32 s20, s16, 24
	s_mul_i32 s16, s16, 24
	s_add_i32 s17, s20, s17
	v_mov_b32_e32 v2, s17
	s_waitcnt vmcnt(0)
	v_add_co_u32_e32 v14, vcc, s16, v10
	v_addc_co_u32_e32 v15, vcc, v11, v2, vcc
	v_mov_b32_e32 v16, s4
	global_store_dwordx2 v[14:15], v[18:19], off
	v_mov_b32_e32 v17, s5
	s_waitcnt vmcnt(0)
	global_atomic_cmpswap_x2 v[10:11], v3, v[16:19], s[10:11] offset:24 glc
	s_waitcnt vmcnt(0)
	v_cmp_ne_u64_e32 vcc, v[10:11], v[18:19]
	s_and_b64 exec, exec, vcc
	s_cbranch_execz .LBB1_142
; %bb.223:                              ;   in Loop: Header=BB1_143 Depth=1
	s_mov_b64 s[16:17], 0
.LBB1_224:                              ;   Parent Loop BB1_143 Depth=1
                                        ; =>  This Inner Loop Header: Depth=2
	s_sleep 1
	global_store_dwordx2 v[14:15], v[10:11], off
	v_mov_b32_e32 v8, s4
	v_mov_b32_e32 v9, s5
	s_waitcnt vmcnt(0)
	global_atomic_cmpswap_x2 v[8:9], v3, v[8:11], s[10:11] offset:24 glc
	s_waitcnt vmcnt(0)
	v_cmp_eq_u64_e32 vcc, v[8:9], v[10:11]
	v_mov_b32_e32 v11, v9
	s_or_b64 s[16:17], vcc, s[16:17]
	v_mov_b32_e32 v10, v8
	s_andn2_b64 exec, exec, s[16:17]
	s_cbranch_execnz .LBB1_224
	s_branch .LBB1_142
.LBB1_225:
                                        ; implicit-def: $vgpr6_vgpr7
	s_cbranch_execnz .LBB1_227
	s_branch .LBB1_253
.LBB1_226:
	s_branch .LBB1_253
.LBB1_227:
	v_readfirstlane_b32 s4, v34
	v_mov_b32_e32 v10, 0
	v_mov_b32_e32 v11, 0
	v_cmp_eq_u32_e64 s[4:5], s4, v34
	s_and_saveexec_b64 s[6:7], s[4:5]
	s_cbranch_execz .LBB1_233
; %bb.228:
	v_mov_b32_e32 v2, 0
	global_load_dwordx2 v[8:9], v2, s[10:11] offset:24 glc
	s_waitcnt vmcnt(0)
	buffer_wbinvl1_vol
	global_load_dwordx2 v[6:7], v2, s[10:11] offset:40
	global_load_dwordx2 v[10:11], v2, s[10:11]
	s_waitcnt vmcnt(1)
	v_and_b32_e32 v3, v6, v8
	v_and_b32_e32 v6, v7, v9
	v_mul_lo_u32 v6, v6, 24
	v_mul_hi_u32 v7, v3, 24
	v_mul_lo_u32 v3, v3, 24
	v_add_u32_e32 v7, v7, v6
	s_waitcnt vmcnt(0)
	v_add_co_u32_e32 v6, vcc, v10, v3
	v_addc_co_u32_e32 v7, vcc, v11, v7, vcc
	global_load_dwordx2 v[6:7], v[6:7], off glc
	s_waitcnt vmcnt(0)
	global_atomic_cmpswap_x2 v[10:11], v2, v[6:9], s[10:11] offset:24 glc
	s_waitcnt vmcnt(0)
	buffer_wbinvl1_vol
	v_cmp_ne_u64_e32 vcc, v[10:11], v[8:9]
	s_and_saveexec_b64 s[12:13], vcc
	s_cbranch_execz .LBB1_232
; %bb.229:
	s_mov_b64 s[14:15], 0
.LBB1_230:                              ; =>This Inner Loop Header: Depth=1
	s_sleep 1
	global_load_dwordx2 v[6:7], v2, s[10:11] offset:40
	global_load_dwordx2 v[12:13], v2, s[10:11]
	v_mov_b32_e32 v8, v10
	v_mov_b32_e32 v9, v11
	s_waitcnt vmcnt(1)
	v_and_b32_e32 v3, v6, v8
	s_waitcnt vmcnt(0)
	v_mad_u64_u32 v[10:11], s[16:17], v3, 24, v[12:13]
	v_and_b32_e32 v6, v7, v9
	v_mov_b32_e32 v3, v11
	v_mad_u64_u32 v[6:7], s[16:17], v6, 24, v[3:4]
	v_mov_b32_e32 v11, v6
	global_load_dwordx2 v[6:7], v[10:11], off glc
	s_waitcnt vmcnt(0)
	global_atomic_cmpswap_x2 v[10:11], v2, v[6:9], s[10:11] offset:24 glc
	s_waitcnt vmcnt(0)
	buffer_wbinvl1_vol
	v_cmp_eq_u64_e32 vcc, v[10:11], v[8:9]
	s_or_b64 s[14:15], vcc, s[14:15]
	s_andn2_b64 exec, exec, s[14:15]
	s_cbranch_execnz .LBB1_230
; %bb.231:
	s_or_b64 exec, exec, s[14:15]
.LBB1_232:
	s_or_b64 exec, exec, s[12:13]
.LBB1_233:
	s_or_b64 exec, exec, s[6:7]
	v_mov_b32_e32 v2, 0
	global_load_dwordx2 v[12:13], v2, s[10:11] offset:40
	global_load_dwordx4 v[6:9], v2, s[10:11]
	v_readfirstlane_b32 s7, v11
	v_readfirstlane_b32 s6, v10
	s_mov_b64 s[12:13], exec
	s_waitcnt vmcnt(1)
	v_readfirstlane_b32 s14, v12
	v_readfirstlane_b32 s15, v13
	s_and_b64 s[14:15], s[14:15], s[6:7]
	s_mul_i32 s16, s15, 24
	s_mul_hi_u32 s17, s14, 24
	s_mul_i32 s18, s14, 24
	s_add_i32 s16, s17, s16
	v_mov_b32_e32 v3, s16
	s_waitcnt vmcnt(0)
	v_add_co_u32_e32 v10, vcc, s18, v6
	v_addc_co_u32_e32 v11, vcc, v7, v3, vcc
	s_and_saveexec_b64 s[16:17], s[4:5]
	s_cbranch_execz .LBB1_235
; %bb.234:
	v_mov_b32_e32 v12, s12
	v_mov_b32_e32 v13, s13
	v_mov_b32_e32 v14, 2
	v_mov_b32_e32 v15, 1
	global_store_dwordx4 v[10:11], v[12:15], off offset:8
.LBB1_235:
	s_or_b64 exec, exec, s[16:17]
	s_lshl_b64 s[12:13], s[14:15], 12
	v_mov_b32_e32 v3, s13
	v_add_co_u32_e32 v12, vcc, s12, v8
	v_addc_co_u32_e32 v13, vcc, v9, v3, vcc
	s_movk_i32 s12, 0xff1f
	v_and_or_b32 v0, v0, s12, 32
	s_mov_b32 s12, 0
	v_mov_b32_e32 v3, v2
	v_readfirstlane_b32 s16, v12
	v_readfirstlane_b32 s17, v13
	v_add_co_u32_e32 v8, vcc, v12, v35
	s_mov_b32 s13, s12
	s_mov_b32 s14, s12
	;; [unrolled: 1-line block ×3, first 2 shown]
	s_nop 0
	global_store_dwordx4 v35, v[0:3], s[16:17]
	v_addc_co_u32_e32 v9, vcc, 0, v13, vcc
	v_mov_b32_e32 v0, s12
	v_mov_b32_e32 v1, s13
	;; [unrolled: 1-line block ×4, first 2 shown]
	global_store_dwordx4 v35, v[0:3], s[16:17] offset:16
	global_store_dwordx4 v35, v[0:3], s[16:17] offset:32
	;; [unrolled: 1-line block ×3, first 2 shown]
	s_and_saveexec_b64 s[12:13], s[4:5]
	s_cbranch_execz .LBB1_243
; %bb.236:
	v_mov_b32_e32 v12, 0
	global_load_dwordx2 v[15:16], v12, s[10:11] offset:32 glc
	global_load_dwordx2 v[0:1], v12, s[10:11] offset:40
	v_mov_b32_e32 v13, s6
	v_mov_b32_e32 v14, s7
	s_waitcnt vmcnt(0)
	v_readfirstlane_b32 s14, v0
	v_readfirstlane_b32 s15, v1
	s_and_b64 s[14:15], s[14:15], s[6:7]
	s_mul_i32 s15, s15, 24
	s_mul_hi_u32 s16, s14, 24
	s_mul_i32 s14, s14, 24
	s_add_i32 s15, s16, s15
	v_mov_b32_e32 v0, s15
	v_add_co_u32_e32 v6, vcc, s14, v6
	v_addc_co_u32_e32 v7, vcc, v7, v0, vcc
	global_store_dwordx2 v[6:7], v[15:16], off
	s_waitcnt vmcnt(0)
	global_atomic_cmpswap_x2 v[2:3], v12, v[13:16], s[10:11] offset:32 glc
	s_waitcnt vmcnt(0)
	v_cmp_ne_u64_e32 vcc, v[2:3], v[15:16]
	s_and_saveexec_b64 s[14:15], vcc
	s_cbranch_execz .LBB1_239
; %bb.237:
	s_mov_b64 s[16:17], 0
.LBB1_238:                              ; =>This Inner Loop Header: Depth=1
	s_sleep 1
	global_store_dwordx2 v[6:7], v[2:3], off
	v_mov_b32_e32 v0, s6
	v_mov_b32_e32 v1, s7
	s_waitcnt vmcnt(0)
	global_atomic_cmpswap_x2 v[0:1], v12, v[0:3], s[10:11] offset:32 glc
	s_waitcnt vmcnt(0)
	v_cmp_eq_u64_e32 vcc, v[0:1], v[2:3]
	v_mov_b32_e32 v3, v1
	s_or_b64 s[16:17], vcc, s[16:17]
	v_mov_b32_e32 v2, v0
	s_andn2_b64 exec, exec, s[16:17]
	s_cbranch_execnz .LBB1_238
.LBB1_239:
	s_or_b64 exec, exec, s[14:15]
	v_mov_b32_e32 v3, 0
	global_load_dwordx2 v[0:1], v3, s[10:11] offset:16
	s_mov_b64 s[14:15], exec
	v_mbcnt_lo_u32_b32 v2, s14, 0
	v_mbcnt_hi_u32_b32 v2, s15, v2
	v_cmp_eq_u32_e32 vcc, 0, v2
	s_and_saveexec_b64 s[16:17], vcc
	s_cbranch_execz .LBB1_241
; %bb.240:
	s_bcnt1_i32_b64 s14, s[14:15]
	v_mov_b32_e32 v2, s14
	s_waitcnt vmcnt(0)
	global_atomic_add_x2 v[0:1], v[2:3], off offset:8
.LBB1_241:
	s_or_b64 exec, exec, s[16:17]
	s_waitcnt vmcnt(0)
	global_load_dwordx2 v[2:3], v[0:1], off offset:16
	s_waitcnt vmcnt(0)
	v_cmp_eq_u64_e32 vcc, 0, v[2:3]
	s_cbranch_vccnz .LBB1_243
; %bb.242:
	global_load_dword v0, v[0:1], off offset:24
	v_mov_b32_e32 v1, 0
	s_waitcnt vmcnt(0)
	v_readfirstlane_b32 s14, v0
	s_and_b32 m0, s14, 0xffffff
	global_store_dwordx2 v[2:3], v[0:1], off
	s_sendmsg sendmsg(MSG_INTERRUPT)
.LBB1_243:
	s_or_b64 exec, exec, s[12:13]
	s_branch .LBB1_247
.LBB1_244:                              ;   in Loop: Header=BB1_247 Depth=1
	s_or_b64 exec, exec, s[12:13]
	v_readfirstlane_b32 s12, v0
	s_cmp_eq_u32 s12, 0
	s_cbranch_scc1 .LBB1_246
; %bb.245:                              ;   in Loop: Header=BB1_247 Depth=1
	s_sleep 1
	s_cbranch_execnz .LBB1_247
	s_branch .LBB1_249
.LBB1_246:
	s_branch .LBB1_249
.LBB1_247:                              ; =>This Inner Loop Header: Depth=1
	v_mov_b32_e32 v0, 1
	s_and_saveexec_b64 s[12:13], s[4:5]
	s_cbranch_execz .LBB1_244
; %bb.248:                              ;   in Loop: Header=BB1_247 Depth=1
	global_load_dword v0, v[10:11], off offset:20 glc
	s_waitcnt vmcnt(0)
	buffer_wbinvl1_vol
	v_and_b32_e32 v0, 1, v0
	s_branch .LBB1_244
.LBB1_249:
	global_load_dwordx2 v[6:7], v[8:9], off
	s_and_saveexec_b64 s[12:13], s[4:5]
	s_cbranch_execz .LBB1_252
; %bb.250:
	v_mov_b32_e32 v10, 0
	global_load_dwordx2 v[0:1], v10, s[10:11] offset:40
	global_load_dwordx2 v[13:14], v10, s[10:11] offset:24 glc
	global_load_dwordx2 v[2:3], v10, s[10:11]
	s_waitcnt vmcnt(2)
	v_readfirstlane_b32 s14, v0
	v_readfirstlane_b32 s15, v1
	s_add_u32 s16, s14, 1
	s_addc_u32 s17, s15, 0
	s_add_u32 s4, s16, s6
	s_addc_u32 s5, s17, s7
	s_cmp_eq_u64 s[4:5], 0
	s_cselect_b32 s5, s17, s5
	s_cselect_b32 s4, s16, s4
	s_and_b64 s[6:7], s[4:5], s[14:15]
	s_mul_i32 s7, s7, 24
	s_mul_hi_u32 s14, s6, 24
	s_mul_i32 s6, s6, 24
	s_add_i32 s7, s14, s7
	v_mov_b32_e32 v0, s7
	s_waitcnt vmcnt(0)
	v_add_co_u32_e32 v8, vcc, s6, v2
	v_addc_co_u32_e32 v9, vcc, v3, v0, vcc
	v_mov_b32_e32 v11, s4
	global_store_dwordx2 v[8:9], v[13:14], off
	v_mov_b32_e32 v12, s5
	s_waitcnt vmcnt(0)
	global_atomic_cmpswap_x2 v[2:3], v10, v[11:14], s[10:11] offset:24 glc
	s_mov_b64 s[6:7], 0
	s_waitcnt vmcnt(0)
	v_cmp_ne_u64_e32 vcc, v[2:3], v[13:14]
	s_and_b64 exec, exec, vcc
	s_cbranch_execz .LBB1_252
.LBB1_251:                              ; =>This Inner Loop Header: Depth=1
	s_sleep 1
	global_store_dwordx2 v[8:9], v[2:3], off
	v_mov_b32_e32 v0, s4
	v_mov_b32_e32 v1, s5
	s_waitcnt vmcnt(0)
	global_atomic_cmpswap_x2 v[0:1], v10, v[0:3], s[10:11] offset:24 glc
	s_waitcnt vmcnt(0)
	v_cmp_eq_u64_e32 vcc, v[0:1], v[2:3]
	v_mov_b32_e32 v3, v1
	s_or_b64 s[6:7], vcc, s[6:7]
	v_mov_b32_e32 v2, v0
	s_andn2_b64 exec, exec, s[6:7]
	s_cbranch_execnz .LBB1_251
.LBB1_252:
	s_or_b64 exec, exec, s[12:13]
.LBB1_253:
	v_readfirstlane_b32 s4, v34
	v_mov_b32_e32 v10, 0
	v_mov_b32_e32 v11, 0
	v_cmp_eq_u32_e64 s[4:5], s4, v34
	s_and_saveexec_b64 s[6:7], s[4:5]
	s_cbranch_execz .LBB1_259
; %bb.254:
	s_waitcnt vmcnt(0)
	v_mov_b32_e32 v0, 0
	global_load_dwordx2 v[12:13], v0, s[10:11] offset:24 glc
	s_waitcnt vmcnt(0)
	buffer_wbinvl1_vol
	global_load_dwordx2 v[1:2], v0, s[10:11] offset:40
	global_load_dwordx2 v[8:9], v0, s[10:11]
	s_waitcnt vmcnt(1)
	v_and_b32_e32 v1, v1, v12
	v_and_b32_e32 v2, v2, v13
	v_mul_lo_u32 v2, v2, 24
	v_mul_hi_u32 v3, v1, 24
	v_mul_lo_u32 v1, v1, 24
	v_add_u32_e32 v2, v3, v2
	s_waitcnt vmcnt(0)
	v_add_co_u32_e32 v1, vcc, v8, v1
	v_addc_co_u32_e32 v2, vcc, v9, v2, vcc
	global_load_dwordx2 v[10:11], v[1:2], off glc
	s_waitcnt vmcnt(0)
	global_atomic_cmpswap_x2 v[10:11], v0, v[10:13], s[10:11] offset:24 glc
	s_waitcnt vmcnt(0)
	buffer_wbinvl1_vol
	v_cmp_ne_u64_e32 vcc, v[10:11], v[12:13]
	s_and_saveexec_b64 s[12:13], vcc
	s_cbranch_execz .LBB1_258
; %bb.255:
	s_mov_b64 s[14:15], 0
.LBB1_256:                              ; =>This Inner Loop Header: Depth=1
	s_sleep 1
	global_load_dwordx2 v[1:2], v0, s[10:11] offset:40
	global_load_dwordx2 v[8:9], v0, s[10:11]
	v_mov_b32_e32 v13, v11
	v_mov_b32_e32 v12, v10
	s_waitcnt vmcnt(1)
	v_and_b32_e32 v1, v1, v12
	s_waitcnt vmcnt(0)
	v_mad_u64_u32 v[8:9], s[16:17], v1, 24, v[8:9]
	v_and_b32_e32 v2, v2, v13
	v_mov_b32_e32 v1, v9
	v_mad_u64_u32 v[1:2], s[16:17], v2, 24, v[1:2]
	v_mov_b32_e32 v9, v1
	global_load_dwordx2 v[10:11], v[8:9], off glc
	s_waitcnt vmcnt(0)
	global_atomic_cmpswap_x2 v[10:11], v0, v[10:13], s[10:11] offset:24 glc
	s_waitcnt vmcnt(0)
	buffer_wbinvl1_vol
	v_cmp_eq_u64_e32 vcc, v[10:11], v[12:13]
	s_or_b64 s[14:15], vcc, s[14:15]
	s_andn2_b64 exec, exec, s[14:15]
	s_cbranch_execnz .LBB1_256
; %bb.257:
	s_or_b64 exec, exec, s[14:15]
.LBB1_258:
	s_or_b64 exec, exec, s[12:13]
.LBB1_259:
	s_or_b64 exec, exec, s[6:7]
	v_mov_b32_e32 v9, 0
	global_load_dwordx2 v[12:13], v9, s[10:11] offset:40
	global_load_dwordx4 v[0:3], v9, s[10:11]
	v_readfirstlane_b32 s7, v11
	v_readfirstlane_b32 s6, v10
	s_mov_b64 s[12:13], exec
	s_waitcnt vmcnt(1)
	v_readfirstlane_b32 s14, v12
	v_readfirstlane_b32 s15, v13
	s_and_b64 s[14:15], s[14:15], s[6:7]
	s_mul_i32 s16, s15, 24
	s_mul_hi_u32 s17, s14, 24
	s_mul_i32 s18, s14, 24
	s_add_i32 s16, s17, s16
	v_mov_b32_e32 v8, s16
	s_waitcnt vmcnt(0)
	v_add_co_u32_e32 v10, vcc, s18, v0
	v_addc_co_u32_e32 v11, vcc, v1, v8, vcc
	s_and_saveexec_b64 s[16:17], s[4:5]
	s_cbranch_execz .LBB1_261
; %bb.260:
	v_mov_b32_e32 v12, s12
	v_mov_b32_e32 v13, s13
	v_mov_b32_e32 v14, 2
	v_mov_b32_e32 v15, 1
	global_store_dwordx4 v[10:11], v[12:15], off offset:8
.LBB1_261:
	s_or_b64 exec, exec, s[16:17]
	s_lshl_b64 s[12:13], s[14:15], 12
	v_mov_b32_e32 v8, s13
	v_add_co_u32_e32 v2, vcc, s12, v2
	v_addc_co_u32_e32 v3, vcc, v3, v8, vcc
	s_movk_i32 s12, 0xff1f
	v_and_or_b32 v6, v6, s12, 32
	s_mov_b32 s12, 0
	v_mov_b32_e32 v8, 0x331
	v_readfirstlane_b32 s16, v2
	v_readfirstlane_b32 s17, v3
	v_add_co_u32_e32 v12, vcc, v2, v35
	s_mov_b32 s13, s12
	s_mov_b32 s14, s12
	;; [unrolled: 1-line block ×3, first 2 shown]
	s_nop 0
	global_store_dwordx4 v35, v[6:9], s[16:17]
	v_addc_co_u32_e32 v13, vcc, 0, v3, vcc
	v_mov_b32_e32 v6, s12
	v_mov_b32_e32 v7, s13
	;; [unrolled: 1-line block ×4, first 2 shown]
	global_store_dwordx4 v35, v[6:9], s[16:17] offset:16
	global_store_dwordx4 v35, v[6:9], s[16:17] offset:32
	;; [unrolled: 1-line block ×3, first 2 shown]
	s_and_saveexec_b64 s[12:13], s[4:5]
	s_cbranch_execz .LBB1_269
; %bb.262:
	v_mov_b32_e32 v8, 0
	global_load_dwordx2 v[16:17], v8, s[10:11] offset:32 glc
	global_load_dwordx2 v[2:3], v8, s[10:11] offset:40
	v_mov_b32_e32 v14, s6
	v_mov_b32_e32 v15, s7
	s_waitcnt vmcnt(0)
	v_readfirstlane_b32 s14, v2
	v_readfirstlane_b32 s15, v3
	s_and_b64 s[14:15], s[14:15], s[6:7]
	s_mul_i32 s15, s15, 24
	s_mul_hi_u32 s16, s14, 24
	s_mul_i32 s14, s14, 24
	s_add_i32 s15, s16, s15
	v_mov_b32_e32 v2, s15
	v_add_co_u32_e32 v6, vcc, s14, v0
	v_addc_co_u32_e32 v7, vcc, v1, v2, vcc
	global_store_dwordx2 v[6:7], v[16:17], off
	s_waitcnt vmcnt(0)
	global_atomic_cmpswap_x2 v[2:3], v8, v[14:17], s[10:11] offset:32 glc
	s_waitcnt vmcnt(0)
	v_cmp_ne_u64_e32 vcc, v[2:3], v[16:17]
	s_and_saveexec_b64 s[14:15], vcc
	s_cbranch_execz .LBB1_265
; %bb.263:
	s_mov_b64 s[16:17], 0
.LBB1_264:                              ; =>This Inner Loop Header: Depth=1
	s_sleep 1
	global_store_dwordx2 v[6:7], v[2:3], off
	v_mov_b32_e32 v0, s6
	v_mov_b32_e32 v1, s7
	s_waitcnt vmcnt(0)
	global_atomic_cmpswap_x2 v[0:1], v8, v[0:3], s[10:11] offset:32 glc
	s_waitcnt vmcnt(0)
	v_cmp_eq_u64_e32 vcc, v[0:1], v[2:3]
	v_mov_b32_e32 v3, v1
	s_or_b64 s[16:17], vcc, s[16:17]
	v_mov_b32_e32 v2, v0
	s_andn2_b64 exec, exec, s[16:17]
	s_cbranch_execnz .LBB1_264
.LBB1_265:
	s_or_b64 exec, exec, s[14:15]
	v_mov_b32_e32 v3, 0
	global_load_dwordx2 v[0:1], v3, s[10:11] offset:16
	s_mov_b64 s[14:15], exec
	v_mbcnt_lo_u32_b32 v2, s14, 0
	v_mbcnt_hi_u32_b32 v2, s15, v2
	v_cmp_eq_u32_e32 vcc, 0, v2
	s_and_saveexec_b64 s[16:17], vcc
	s_cbranch_execz .LBB1_267
; %bb.266:
	s_bcnt1_i32_b64 s14, s[14:15]
	v_mov_b32_e32 v2, s14
	s_waitcnt vmcnt(0)
	global_atomic_add_x2 v[0:1], v[2:3], off offset:8
.LBB1_267:
	s_or_b64 exec, exec, s[16:17]
	s_waitcnt vmcnt(0)
	global_load_dwordx2 v[2:3], v[0:1], off offset:16
	s_waitcnt vmcnt(0)
	v_cmp_eq_u64_e32 vcc, 0, v[2:3]
	s_cbranch_vccnz .LBB1_269
; %bb.268:
	global_load_dword v0, v[0:1], off offset:24
	v_mov_b32_e32 v1, 0
	s_waitcnt vmcnt(0)
	v_readfirstlane_b32 s14, v0
	s_and_b32 m0, s14, 0xffffff
	global_store_dwordx2 v[2:3], v[0:1], off
	s_sendmsg sendmsg(MSG_INTERRUPT)
.LBB1_269:
	s_or_b64 exec, exec, s[12:13]
	s_branch .LBB1_273
.LBB1_270:                              ;   in Loop: Header=BB1_273 Depth=1
	s_or_b64 exec, exec, s[12:13]
	v_readfirstlane_b32 s12, v0
	s_cmp_eq_u32 s12, 0
	s_cbranch_scc1 .LBB1_272
; %bb.271:                              ;   in Loop: Header=BB1_273 Depth=1
	s_sleep 1
	s_cbranch_execnz .LBB1_273
	s_branch .LBB1_275
.LBB1_272:
	s_branch .LBB1_275
.LBB1_273:                              ; =>This Inner Loop Header: Depth=1
	v_mov_b32_e32 v0, 1
	s_and_saveexec_b64 s[12:13], s[4:5]
	s_cbranch_execz .LBB1_270
; %bb.274:                              ;   in Loop: Header=BB1_273 Depth=1
	global_load_dword v0, v[10:11], off offset:20 glc
	s_waitcnt vmcnt(0)
	buffer_wbinvl1_vol
	v_and_b32_e32 v0, 1, v0
	s_branch .LBB1_270
.LBB1_275:
	global_load_dwordx2 v[0:1], v[12:13], off
	s_and_saveexec_b64 s[12:13], s[4:5]
	s_cbranch_execz .LBB1_278
; %bb.276:
	v_mov_b32_e32 v10, 0
	global_load_dwordx2 v[2:3], v10, s[10:11] offset:40
	global_load_dwordx2 v[13:14], v10, s[10:11] offset:24 glc
	global_load_dwordx2 v[6:7], v10, s[10:11]
	s_waitcnt vmcnt(2)
	v_readfirstlane_b32 s14, v2
	v_readfirstlane_b32 s15, v3
	s_add_u32 s16, s14, 1
	s_addc_u32 s17, s15, 0
	s_add_u32 s4, s16, s6
	s_addc_u32 s5, s17, s7
	s_cmp_eq_u64 s[4:5], 0
	s_cselect_b32 s5, s17, s5
	s_cselect_b32 s4, s16, s4
	s_and_b64 s[6:7], s[4:5], s[14:15]
	s_mul_i32 s7, s7, 24
	s_mul_hi_u32 s14, s6, 24
	s_mul_i32 s6, s6, 24
	s_add_i32 s7, s14, s7
	v_mov_b32_e32 v3, s7
	s_waitcnt vmcnt(0)
	v_add_co_u32_e32 v2, vcc, s6, v6
	v_addc_co_u32_e32 v3, vcc, v7, v3, vcc
	v_mov_b32_e32 v11, s4
	global_store_dwordx2 v[2:3], v[13:14], off
	v_mov_b32_e32 v12, s5
	s_waitcnt vmcnt(0)
	global_atomic_cmpswap_x2 v[8:9], v10, v[11:14], s[10:11] offset:24 glc
	s_mov_b64 s[6:7], 0
	s_waitcnt vmcnt(0)
	v_cmp_ne_u64_e32 vcc, v[8:9], v[13:14]
	s_and_b64 exec, exec, vcc
	s_cbranch_execz .LBB1_278
.LBB1_277:                              ; =>This Inner Loop Header: Depth=1
	s_sleep 1
	global_store_dwordx2 v[2:3], v[8:9], off
	v_mov_b32_e32 v6, s4
	v_mov_b32_e32 v7, s5
	s_waitcnt vmcnt(0)
	global_atomic_cmpswap_x2 v[6:7], v10, v[6:9], s[10:11] offset:24 glc
	s_waitcnt vmcnt(0)
	v_cmp_eq_u64_e32 vcc, v[6:7], v[8:9]
	v_mov_b32_e32 v9, v7
	s_or_b64 s[6:7], vcc, s[6:7]
	v_mov_b32_e32 v8, v6
	s_andn2_b64 exec, exec, s[6:7]
	s_cbranch_execnz .LBB1_277
.LBB1_278:
	s_or_b64 exec, exec, s[12:13]
	v_mov_b32_e32 v7, v5
	s_mov_b64 s[4:5], 0
	v_mov_b32_e32 v6, v4
.LBB1_279:                              ; =>This Inner Loop Header: Depth=1
	global_load_ubyte v8, v[6:7], off
	v_add_co_u32_e32 v2, vcc, 1, v6
	v_addc_co_u32_e32 v3, vcc, 0, v7, vcc
	v_mov_b32_e32 v7, v3
	v_mov_b32_e32 v6, v2
	s_waitcnt vmcnt(0)
	v_cmp_eq_u16_e32 vcc, 0, v8
	s_or_b64 s[4:5], vcc, s[4:5]
	s_andn2_b64 exec, exec, s[4:5]
	s_cbranch_execnz .LBB1_279
; %bb.280:
	s_or_b64 exec, exec, s[4:5]
	v_cmp_ne_u64_e32 vcc, 0, v[4:5]
	s_mov_b64 s[12:13], 0
	s_and_saveexec_b64 s[4:5], vcc
	s_xor_b64 s[6:7], exec, s[4:5]
	s_cbranch_execz .LBB1_366
; %bb.281:
	v_sub_u32_e32 v26, v2, v4
	v_ashrrev_i32_e32 v27, 31, v26
	v_and_b32_e32 v36, 2, v0
	v_mov_b32_e32 v29, 0
	v_and_b32_e32 v0, -3, v0
	s_mov_b32 s22, 0
	s_movk_i32 s23, 0x1e0
	v_mov_b32_e32 v8, 2
	v_mov_b32_e32 v9, 1
	s_branch .LBB1_283
.LBB1_282:                              ;   in Loop: Header=BB1_283 Depth=1
	s_or_b64 exec, exec, s[16:17]
	v_sub_co_u32_e32 v26, vcc, v26, v30
	v_subb_co_u32_e32 v27, vcc, v27, v31, vcc
	v_cmp_eq_u64_e32 vcc, 0, v[26:27]
	s_or_b64 s[12:13], vcc, s[12:13]
	v_add_co_u32_e32 v4, vcc, v4, v30
	v_addc_co_u32_e32 v5, vcc, v5, v31, vcc
	s_andn2_b64 exec, exec, s[12:13]
	s_cbranch_execz .LBB1_365
.LBB1_283:                              ; =>This Loop Header: Depth=1
                                        ;     Child Loop BB1_286 Depth 2
                                        ;     Child Loop BB1_294 Depth 2
	;; [unrolled: 1-line block ×11, first 2 shown]
	v_cmp_gt_u64_e32 vcc, 56, v[26:27]
	v_add_co_u32_e64 v12, s[4:5], 8, v4
	v_cndmask_b32_e32 v31, 0, v27, vcc
	v_cndmask_b32_e32 v30, 56, v26, vcc
	v_cmp_gt_u64_e32 vcc, 8, v[26:27]
	v_addc_co_u32_e64 v13, s[4:5], 0, v5, s[4:5]
	s_and_saveexec_b64 s[4:5], vcc
	s_xor_b64 s[4:5], exec, s[4:5]
	s_cbranch_execz .LBB1_289
; %bb.284:                              ;   in Loop: Header=BB1_283 Depth=1
	v_mov_b32_e32 v2, 0
	v_cmp_ne_u64_e32 vcc, 0, v[26:27]
	v_mov_b32_e32 v3, 0
	s_and_saveexec_b64 s[14:15], vcc
	s_cbranch_execz .LBB1_288
; %bb.285:                              ;   in Loop: Header=BB1_283 Depth=1
	v_lshlrev_b64 v[6:7], 3, v[30:31]
	v_mov_b32_e32 v2, 0
	v_mov_b32_e32 v11, v5
	s_mov_b64 s[16:17], 0
	v_mov_b32_e32 v3, 0
	v_mov_b32_e32 v10, v4
	s_mov_b64 s[18:19], 0
.LBB1_286:                              ;   Parent Loop BB1_283 Depth=1
                                        ; =>  This Inner Loop Header: Depth=2
	global_load_ubyte v7, v[10:11], off
	v_mov_b32_e32 v13, s22
	v_add_co_u32_e32 v10, vcc, 1, v10
	v_addc_co_u32_e32 v11, vcc, 0, v11, vcc
	s_waitcnt vmcnt(0)
	v_and_b32_e32 v12, 0xffff, v7
	v_lshlrev_b64 v[12:13], s18, v[12:13]
	s_add_u32 s18, s18, 8
	s_addc_u32 s19, s19, 0
	v_cmp_eq_u32_e32 vcc, s18, v6
	v_or_b32_e32 v3, v13, v3
	s_or_b64 s[16:17], vcc, s[16:17]
	v_or_b32_e32 v2, v12, v2
	s_andn2_b64 exec, exec, s[16:17]
	s_cbranch_execnz .LBB1_286
; %bb.287:                              ;   in Loop: Header=BB1_283 Depth=1
	s_or_b64 exec, exec, s[16:17]
.LBB1_288:                              ;   in Loop: Header=BB1_283 Depth=1
	s_or_b64 exec, exec, s[14:15]
	v_mov_b32_e32 v13, v5
	v_mov_b32_e32 v12, v4
.LBB1_289:                              ;   in Loop: Header=BB1_283 Depth=1
	s_or_saveexec_b64 s[4:5], s[4:5]
	v_mov_b32_e32 v14, 0
	s_xor_b64 exec, exec, s[4:5]
	s_cbranch_execz .LBB1_291
; %bb.290:                              ;   in Loop: Header=BB1_283 Depth=1
	global_load_dwordx2 v[2:3], v[4:5], off
	v_add_u32_e32 v14, -8, v30
.LBB1_291:                              ;   in Loop: Header=BB1_283 Depth=1
	s_or_b64 exec, exec, s[4:5]
	v_add_co_u32_e64 v6, s[4:5], 8, v12
	v_cmp_gt_u32_e32 vcc, 8, v14
	v_addc_co_u32_e64 v7, s[4:5], 0, v13, s[4:5]
                                        ; implicit-def: $vgpr10_vgpr11
	s_and_saveexec_b64 s[4:5], vcc
	s_xor_b64 s[4:5], exec, s[4:5]
	s_cbranch_execz .LBB1_297
; %bb.292:                              ;   in Loop: Header=BB1_283 Depth=1
	v_mov_b32_e32 v10, 0
	v_mov_b32_e32 v11, 0
	v_cmp_ne_u32_e32 vcc, 0, v14
	s_and_saveexec_b64 s[14:15], vcc
	s_cbranch_execz .LBB1_296
; %bb.293:                              ;   in Loop: Header=BB1_283 Depth=1
	v_mov_b32_e32 v10, 0
	s_mov_b64 s[16:17], 0
	v_mov_b32_e32 v11, 0
	s_mov_b64 s[18:19], 0
	s_mov_b64 s[20:21], 0
.LBB1_294:                              ;   Parent Loop BB1_283 Depth=1
                                        ; =>  This Inner Loop Header: Depth=2
	v_mov_b32_e32 v7, s21
	v_add_co_u32_e32 v6, vcc, s20, v12
	v_addc_co_u32_e32 v7, vcc, v13, v7, vcc
	global_load_ubyte v6, v[6:7], off
	s_add_u32 s20, s20, 1
	v_mov_b32_e32 v7, s22
	s_addc_u32 s21, s21, 0
	v_cmp_eq_u32_e32 vcc, s20, v14
	s_waitcnt vmcnt(0)
	v_and_b32_e32 v6, 0xffff, v6
	v_lshlrev_b64 v[6:7], s18, v[6:7]
	s_add_u32 s18, s18, 8
	s_addc_u32 s19, s19, 0
	v_or_b32_e32 v11, v7, v11
	s_or_b64 s[16:17], vcc, s[16:17]
	v_or_b32_e32 v10, v6, v10
	s_andn2_b64 exec, exec, s[16:17]
	s_cbranch_execnz .LBB1_294
; %bb.295:                              ;   in Loop: Header=BB1_283 Depth=1
	s_or_b64 exec, exec, s[16:17]
.LBB1_296:                              ;   in Loop: Header=BB1_283 Depth=1
	s_or_b64 exec, exec, s[14:15]
	v_mov_b32_e32 v6, v12
	v_mov_b32_e32 v7, v13
                                        ; implicit-def: $vgpr14
.LBB1_297:                              ;   in Loop: Header=BB1_283 Depth=1
	s_or_saveexec_b64 s[4:5], s[4:5]
	v_mov_b32_e32 v15, 0
	s_xor_b64 exec, exec, s[4:5]
	s_cbranch_execz .LBB1_299
; %bb.298:                              ;   in Loop: Header=BB1_283 Depth=1
	global_load_dwordx2 v[10:11], v[12:13], off
	v_add_u32_e32 v15, -8, v14
.LBB1_299:                              ;   in Loop: Header=BB1_283 Depth=1
	s_or_b64 exec, exec, s[4:5]
	v_add_co_u32_e64 v16, s[4:5], 8, v6
	v_cmp_gt_u32_e32 vcc, 8, v15
	v_addc_co_u32_e64 v17, s[4:5], 0, v7, s[4:5]
	s_and_saveexec_b64 s[4:5], vcc
	s_xor_b64 s[4:5], exec, s[4:5]
	s_cbranch_execz .LBB1_305
; %bb.300:                              ;   in Loop: Header=BB1_283 Depth=1
	v_mov_b32_e32 v12, 0
	v_mov_b32_e32 v13, 0
	v_cmp_ne_u32_e32 vcc, 0, v15
	s_and_saveexec_b64 s[14:15], vcc
	s_cbranch_execz .LBB1_304
; %bb.301:                              ;   in Loop: Header=BB1_283 Depth=1
	v_mov_b32_e32 v12, 0
	s_mov_b64 s[16:17], 0
	v_mov_b32_e32 v13, 0
	s_mov_b64 s[18:19], 0
	s_mov_b64 s[20:21], 0
.LBB1_302:                              ;   Parent Loop BB1_283 Depth=1
                                        ; =>  This Inner Loop Header: Depth=2
	v_mov_b32_e32 v14, s21
	v_add_co_u32_e32 v16, vcc, s20, v6
	v_addc_co_u32_e32 v17, vcc, v7, v14, vcc
	global_load_ubyte v14, v[16:17], off
	s_add_u32 s20, s20, 1
	v_mov_b32_e32 v17, s22
	s_addc_u32 s21, s21, 0
	v_cmp_eq_u32_e32 vcc, s20, v15
	s_waitcnt vmcnt(0)
	v_and_b32_e32 v16, 0xffff, v14
	v_lshlrev_b64 v[16:17], s18, v[16:17]
	s_add_u32 s18, s18, 8
	s_addc_u32 s19, s19, 0
	v_or_b32_e32 v13, v17, v13
	s_or_b64 s[16:17], vcc, s[16:17]
	v_or_b32_e32 v12, v16, v12
	s_andn2_b64 exec, exec, s[16:17]
	s_cbranch_execnz .LBB1_302
; %bb.303:                              ;   in Loop: Header=BB1_283 Depth=1
	s_or_b64 exec, exec, s[16:17]
.LBB1_304:                              ;   in Loop: Header=BB1_283 Depth=1
	s_or_b64 exec, exec, s[14:15]
	v_mov_b32_e32 v17, v7
	v_mov_b32_e32 v16, v6
                                        ; implicit-def: $vgpr15
.LBB1_305:                              ;   in Loop: Header=BB1_283 Depth=1
	s_or_saveexec_b64 s[4:5], s[4:5]
	v_mov_b32_e32 v18, 0
	s_xor_b64 exec, exec, s[4:5]
	s_cbranch_execz .LBB1_307
; %bb.306:                              ;   in Loop: Header=BB1_283 Depth=1
	global_load_dwordx2 v[12:13], v[6:7], off
	v_add_u32_e32 v18, -8, v15
.LBB1_307:                              ;   in Loop: Header=BB1_283 Depth=1
	s_or_b64 exec, exec, s[4:5]
	v_add_co_u32_e64 v6, s[4:5], 8, v16
	v_cmp_gt_u32_e32 vcc, 8, v18
	v_addc_co_u32_e64 v7, s[4:5], 0, v17, s[4:5]
                                        ; implicit-def: $vgpr14_vgpr15
	s_and_saveexec_b64 s[4:5], vcc
	s_xor_b64 s[4:5], exec, s[4:5]
	s_cbranch_execz .LBB1_313
; %bb.308:                              ;   in Loop: Header=BB1_283 Depth=1
	v_mov_b32_e32 v14, 0
	v_mov_b32_e32 v15, 0
	v_cmp_ne_u32_e32 vcc, 0, v18
	s_and_saveexec_b64 s[14:15], vcc
	s_cbranch_execz .LBB1_312
; %bb.309:                              ;   in Loop: Header=BB1_283 Depth=1
	v_mov_b32_e32 v14, 0
	s_mov_b64 s[16:17], 0
	v_mov_b32_e32 v15, 0
	s_mov_b64 s[18:19], 0
	s_mov_b64 s[20:21], 0
.LBB1_310:                              ;   Parent Loop BB1_283 Depth=1
                                        ; =>  This Inner Loop Header: Depth=2
	v_mov_b32_e32 v7, s21
	v_add_co_u32_e32 v6, vcc, s20, v16
	v_addc_co_u32_e32 v7, vcc, v17, v7, vcc
	global_load_ubyte v6, v[6:7], off
	s_add_u32 s20, s20, 1
	v_mov_b32_e32 v7, s22
	s_addc_u32 s21, s21, 0
	v_cmp_eq_u32_e32 vcc, s20, v18
	s_waitcnt vmcnt(0)
	v_and_b32_e32 v6, 0xffff, v6
	v_lshlrev_b64 v[6:7], s18, v[6:7]
	s_add_u32 s18, s18, 8
	s_addc_u32 s19, s19, 0
	v_or_b32_e32 v15, v7, v15
	s_or_b64 s[16:17], vcc, s[16:17]
	v_or_b32_e32 v14, v6, v14
	s_andn2_b64 exec, exec, s[16:17]
	s_cbranch_execnz .LBB1_310
; %bb.311:                              ;   in Loop: Header=BB1_283 Depth=1
	s_or_b64 exec, exec, s[16:17]
.LBB1_312:                              ;   in Loop: Header=BB1_283 Depth=1
	s_or_b64 exec, exec, s[14:15]
	v_mov_b32_e32 v6, v16
	v_mov_b32_e32 v7, v17
                                        ; implicit-def: $vgpr18
.LBB1_313:                              ;   in Loop: Header=BB1_283 Depth=1
	s_or_saveexec_b64 s[4:5], s[4:5]
	v_mov_b32_e32 v19, 0
	s_xor_b64 exec, exec, s[4:5]
	s_cbranch_execz .LBB1_315
; %bb.314:                              ;   in Loop: Header=BB1_283 Depth=1
	global_load_dwordx2 v[14:15], v[16:17], off
	v_add_u32_e32 v19, -8, v18
.LBB1_315:                              ;   in Loop: Header=BB1_283 Depth=1
	s_or_b64 exec, exec, s[4:5]
	v_add_co_u32_e64 v20, s[4:5], 8, v6
	v_cmp_gt_u32_e32 vcc, 8, v19
	v_addc_co_u32_e64 v21, s[4:5], 0, v7, s[4:5]
	s_and_saveexec_b64 s[4:5], vcc
	s_xor_b64 s[4:5], exec, s[4:5]
	s_cbranch_execz .LBB1_321
; %bb.316:                              ;   in Loop: Header=BB1_283 Depth=1
	v_mov_b32_e32 v16, 0
	v_mov_b32_e32 v17, 0
	v_cmp_ne_u32_e32 vcc, 0, v19
	s_and_saveexec_b64 s[14:15], vcc
	s_cbranch_execz .LBB1_320
; %bb.317:                              ;   in Loop: Header=BB1_283 Depth=1
	v_mov_b32_e32 v16, 0
	s_mov_b64 s[16:17], 0
	v_mov_b32_e32 v17, 0
	s_mov_b64 s[18:19], 0
	s_mov_b64 s[20:21], 0
.LBB1_318:                              ;   Parent Loop BB1_283 Depth=1
                                        ; =>  This Inner Loop Header: Depth=2
	v_mov_b32_e32 v18, s21
	v_add_co_u32_e32 v20, vcc, s20, v6
	v_addc_co_u32_e32 v21, vcc, v7, v18, vcc
	global_load_ubyte v18, v[20:21], off
	s_add_u32 s20, s20, 1
	v_mov_b32_e32 v21, s22
	s_addc_u32 s21, s21, 0
	v_cmp_eq_u32_e32 vcc, s20, v19
	s_waitcnt vmcnt(0)
	v_and_b32_e32 v20, 0xffff, v18
	v_lshlrev_b64 v[20:21], s18, v[20:21]
	s_add_u32 s18, s18, 8
	s_addc_u32 s19, s19, 0
	v_or_b32_e32 v17, v21, v17
	s_or_b64 s[16:17], vcc, s[16:17]
	v_or_b32_e32 v16, v20, v16
	s_andn2_b64 exec, exec, s[16:17]
	s_cbranch_execnz .LBB1_318
; %bb.319:                              ;   in Loop: Header=BB1_283 Depth=1
	s_or_b64 exec, exec, s[16:17]
.LBB1_320:                              ;   in Loop: Header=BB1_283 Depth=1
	s_or_b64 exec, exec, s[14:15]
	v_mov_b32_e32 v21, v7
	v_mov_b32_e32 v20, v6
                                        ; implicit-def: $vgpr19
.LBB1_321:                              ;   in Loop: Header=BB1_283 Depth=1
	s_or_saveexec_b64 s[4:5], s[4:5]
	v_mov_b32_e32 v22, 0
	s_xor_b64 exec, exec, s[4:5]
	s_cbranch_execz .LBB1_323
; %bb.322:                              ;   in Loop: Header=BB1_283 Depth=1
	global_load_dwordx2 v[16:17], v[6:7], off
	v_add_u32_e32 v22, -8, v19
.LBB1_323:                              ;   in Loop: Header=BB1_283 Depth=1
	s_or_b64 exec, exec, s[4:5]
	v_add_co_u32_e64 v6, s[4:5], 8, v20
	v_cmp_gt_u32_e32 vcc, 8, v22
	v_addc_co_u32_e64 v7, s[4:5], 0, v21, s[4:5]
                                        ; implicit-def: $vgpr18_vgpr19
	s_and_saveexec_b64 s[4:5], vcc
	s_xor_b64 s[4:5], exec, s[4:5]
	s_cbranch_execz .LBB1_329
; %bb.324:                              ;   in Loop: Header=BB1_283 Depth=1
	v_mov_b32_e32 v18, 0
	v_mov_b32_e32 v19, 0
	v_cmp_ne_u32_e32 vcc, 0, v22
	s_and_saveexec_b64 s[14:15], vcc
	s_cbranch_execz .LBB1_328
; %bb.325:                              ;   in Loop: Header=BB1_283 Depth=1
	v_mov_b32_e32 v18, 0
	s_mov_b64 s[16:17], 0
	v_mov_b32_e32 v19, 0
	s_mov_b64 s[18:19], 0
	s_mov_b64 s[20:21], 0
.LBB1_326:                              ;   Parent Loop BB1_283 Depth=1
                                        ; =>  This Inner Loop Header: Depth=2
	v_mov_b32_e32 v7, s21
	v_add_co_u32_e32 v6, vcc, s20, v20
	v_addc_co_u32_e32 v7, vcc, v21, v7, vcc
	global_load_ubyte v6, v[6:7], off
	s_add_u32 s20, s20, 1
	v_mov_b32_e32 v7, s22
	s_addc_u32 s21, s21, 0
	v_cmp_eq_u32_e32 vcc, s20, v22
	s_waitcnt vmcnt(0)
	v_and_b32_e32 v6, 0xffff, v6
	v_lshlrev_b64 v[6:7], s18, v[6:7]
	s_add_u32 s18, s18, 8
	s_addc_u32 s19, s19, 0
	v_or_b32_e32 v19, v7, v19
	s_or_b64 s[16:17], vcc, s[16:17]
	v_or_b32_e32 v18, v6, v18
	s_andn2_b64 exec, exec, s[16:17]
	s_cbranch_execnz .LBB1_326
; %bb.327:                              ;   in Loop: Header=BB1_283 Depth=1
	s_or_b64 exec, exec, s[16:17]
.LBB1_328:                              ;   in Loop: Header=BB1_283 Depth=1
	s_or_b64 exec, exec, s[14:15]
	v_mov_b32_e32 v6, v20
	v_mov_b32_e32 v7, v21
                                        ; implicit-def: $vgpr22
.LBB1_329:                              ;   in Loop: Header=BB1_283 Depth=1
	s_or_saveexec_b64 s[4:5], s[4:5]
	v_mov_b32_e32 v23, 0
	s_xor_b64 exec, exec, s[4:5]
	s_cbranch_execz .LBB1_331
; %bb.330:                              ;   in Loop: Header=BB1_283 Depth=1
	global_load_dwordx2 v[18:19], v[20:21], off
	v_add_u32_e32 v23, -8, v22
.LBB1_331:                              ;   in Loop: Header=BB1_283 Depth=1
	s_or_b64 exec, exec, s[4:5]
	v_cmp_gt_u32_e32 vcc, 8, v23
	s_and_saveexec_b64 s[4:5], vcc
	s_xor_b64 s[4:5], exec, s[4:5]
	s_cbranch_execz .LBB1_337
; %bb.332:                              ;   in Loop: Header=BB1_283 Depth=1
	v_mov_b32_e32 v20, 0
	v_mov_b32_e32 v21, 0
	v_cmp_ne_u32_e32 vcc, 0, v23
	s_and_saveexec_b64 s[14:15], vcc
	s_cbranch_execz .LBB1_336
; %bb.333:                              ;   in Loop: Header=BB1_283 Depth=1
	v_mov_b32_e32 v20, 0
	s_mov_b64 s[16:17], 0
	v_mov_b32_e32 v21, 0
	s_mov_b64 s[18:19], 0
.LBB1_334:                              ;   Parent Loop BB1_283 Depth=1
                                        ; =>  This Inner Loop Header: Depth=2
	global_load_ubyte v22, v[6:7], off
	v_mov_b32_e32 v25, s22
	v_add_co_u32_e32 v6, vcc, 1, v6
	v_add_u32_e32 v23, -1, v23
	v_addc_co_u32_e32 v7, vcc, 0, v7, vcc
	v_cmp_eq_u32_e32 vcc, 0, v23
	s_waitcnt vmcnt(0)
	v_and_b32_e32 v24, 0xffff, v22
	v_lshlrev_b64 v[24:25], s18, v[24:25]
	s_add_u32 s18, s18, 8
	s_addc_u32 s19, s19, 0
	v_or_b32_e32 v21, v25, v21
	s_or_b64 s[16:17], vcc, s[16:17]
	v_or_b32_e32 v20, v24, v20
	s_andn2_b64 exec, exec, s[16:17]
	s_cbranch_execnz .LBB1_334
; %bb.335:                              ;   in Loop: Header=BB1_283 Depth=1
	s_or_b64 exec, exec, s[16:17]
.LBB1_336:                              ;   in Loop: Header=BB1_283 Depth=1
	s_or_b64 exec, exec, s[14:15]
                                        ; implicit-def: $vgpr6_vgpr7
.LBB1_337:                              ;   in Loop: Header=BB1_283 Depth=1
	s_andn2_saveexec_b64 s[4:5], s[4:5]
	s_cbranch_execz .LBB1_339
; %bb.338:                              ;   in Loop: Header=BB1_283 Depth=1
	global_load_dwordx2 v[20:21], v[6:7], off
.LBB1_339:                              ;   in Loop: Header=BB1_283 Depth=1
	s_or_b64 exec, exec, s[4:5]
	v_readfirstlane_b32 s4, v34
	v_mov_b32_e32 v6, 0
	v_mov_b32_e32 v7, 0
	v_cmp_eq_u32_e64 s[4:5], s4, v34
	s_and_saveexec_b64 s[14:15], s[4:5]
	s_cbranch_execz .LBB1_345
; %bb.340:                              ;   in Loop: Header=BB1_283 Depth=1
	global_load_dwordx2 v[24:25], v29, s[10:11] offset:24 glc
	s_waitcnt vmcnt(0)
	buffer_wbinvl1_vol
	global_load_dwordx2 v[6:7], v29, s[10:11] offset:40
	global_load_dwordx2 v[22:23], v29, s[10:11]
	s_waitcnt vmcnt(1)
	v_and_b32_e32 v6, v6, v24
	v_and_b32_e32 v7, v7, v25
	v_mul_lo_u32 v7, v7, 24
	v_mul_hi_u32 v28, v6, 24
	v_mul_lo_u32 v6, v6, 24
	v_add_u32_e32 v7, v28, v7
	s_waitcnt vmcnt(0)
	v_add_co_u32_e32 v6, vcc, v22, v6
	v_addc_co_u32_e32 v7, vcc, v23, v7, vcc
	global_load_dwordx2 v[22:23], v[6:7], off glc
	s_waitcnt vmcnt(0)
	global_atomic_cmpswap_x2 v[6:7], v29, v[22:25], s[10:11] offset:24 glc
	s_waitcnt vmcnt(0)
	buffer_wbinvl1_vol
	v_cmp_ne_u64_e32 vcc, v[6:7], v[24:25]
	s_and_saveexec_b64 s[16:17], vcc
	s_cbranch_execz .LBB1_344
; %bb.341:                              ;   in Loop: Header=BB1_283 Depth=1
	s_mov_b64 s[18:19], 0
.LBB1_342:                              ;   Parent Loop BB1_283 Depth=1
                                        ; =>  This Inner Loop Header: Depth=2
	s_sleep 1
	global_load_dwordx2 v[22:23], v29, s[10:11] offset:40
	global_load_dwordx2 v[32:33], v29, s[10:11]
	v_mov_b32_e32 v25, v7
	v_mov_b32_e32 v24, v6
	s_waitcnt vmcnt(1)
	v_and_b32_e32 v6, v22, v24
	s_waitcnt vmcnt(0)
	v_mad_u64_u32 v[6:7], s[20:21], v6, 24, v[32:33]
	v_and_b32_e32 v22, v23, v25
	v_mad_u64_u32 v[22:23], s[20:21], v22, 24, v[7:8]
	v_mov_b32_e32 v7, v22
	global_load_dwordx2 v[22:23], v[6:7], off glc
	s_waitcnt vmcnt(0)
	global_atomic_cmpswap_x2 v[6:7], v29, v[22:25], s[10:11] offset:24 glc
	s_waitcnt vmcnt(0)
	buffer_wbinvl1_vol
	v_cmp_eq_u64_e32 vcc, v[6:7], v[24:25]
	s_or_b64 s[18:19], vcc, s[18:19]
	s_andn2_b64 exec, exec, s[18:19]
	s_cbranch_execnz .LBB1_342
; %bb.343:                              ;   in Loop: Header=BB1_283 Depth=1
	s_or_b64 exec, exec, s[18:19]
.LBB1_344:                              ;   in Loop: Header=BB1_283 Depth=1
	s_or_b64 exec, exec, s[16:17]
.LBB1_345:                              ;   in Loop: Header=BB1_283 Depth=1
	s_or_b64 exec, exec, s[14:15]
	global_load_dwordx2 v[32:33], v29, s[10:11] offset:40
	global_load_dwordx4 v[22:25], v29, s[10:11]
	v_readfirstlane_b32 s15, v7
	v_readfirstlane_b32 s14, v6
	s_mov_b64 s[16:17], exec
	s_waitcnt vmcnt(1)
	v_readfirstlane_b32 s18, v32
	v_readfirstlane_b32 s19, v33
	s_and_b64 s[18:19], s[18:19], s[14:15]
	s_mul_i32 s20, s19, 24
	s_mul_hi_u32 s21, s18, 24
	s_mul_i32 s24, s18, 24
	s_add_i32 s20, s21, s20
	v_mov_b32_e32 v6, s20
	s_waitcnt vmcnt(0)
	v_add_co_u32_e32 v32, vcc, s24, v22
	v_addc_co_u32_e32 v33, vcc, v23, v6, vcc
	s_and_saveexec_b64 s[20:21], s[4:5]
	s_cbranch_execz .LBB1_347
; %bb.346:                              ;   in Loop: Header=BB1_283 Depth=1
	v_mov_b32_e32 v6, s16
	v_mov_b32_e32 v7, s17
	global_store_dwordx4 v[32:33], v[6:9], off offset:8
.LBB1_347:                              ;   in Loop: Header=BB1_283 Depth=1
	s_or_b64 exec, exec, s[20:21]
	s_lshl_b64 s[16:17], s[18:19], 12
	v_mov_b32_e32 v6, s17
	v_add_co_u32_e32 v24, vcc, s16, v24
	v_addc_co_u32_e32 v25, vcc, v25, v6, vcc
	v_cmp_gt_u64_e32 vcc, 57, v[26:27]
	v_and_b32_e32 v0, 0xffffff1f, v0
	v_cndmask_b32_e32 v6, 0, v36, vcc
	v_lshl_add_u32 v7, v30, 2, 28
	v_or_b32_e32 v0, v0, v6
	v_and_or_b32 v0, v7, s23, v0
	v_readfirstlane_b32 s16, v24
	v_readfirstlane_b32 s17, v25
	s_nop 4
	global_store_dwordx4 v35, v[0:3], s[16:17]
	global_store_dwordx4 v35, v[10:13], s[16:17] offset:16
	global_store_dwordx4 v35, v[14:17], s[16:17] offset:32
	;; [unrolled: 1-line block ×3, first 2 shown]
	s_and_saveexec_b64 s[16:17], s[4:5]
	s_cbranch_execz .LBB1_355
; %bb.348:                              ;   in Loop: Header=BB1_283 Depth=1
	global_load_dwordx2 v[12:13], v29, s[10:11] offset:32 glc
	global_load_dwordx2 v[0:1], v29, s[10:11] offset:40
	v_mov_b32_e32 v10, s14
	v_mov_b32_e32 v11, s15
	s_waitcnt vmcnt(0)
	v_readfirstlane_b32 s18, v0
	v_readfirstlane_b32 s19, v1
	s_and_b64 s[18:19], s[18:19], s[14:15]
	s_mul_i32 s19, s19, 24
	s_mul_hi_u32 s20, s18, 24
	s_mul_i32 s18, s18, 24
	s_add_i32 s19, s20, s19
	v_mov_b32_e32 v0, s19
	v_add_co_u32_e32 v6, vcc, s18, v22
	v_addc_co_u32_e32 v7, vcc, v23, v0, vcc
	global_store_dwordx2 v[6:7], v[12:13], off
	s_waitcnt vmcnt(0)
	global_atomic_cmpswap_x2 v[2:3], v29, v[10:13], s[10:11] offset:32 glc
	s_waitcnt vmcnt(0)
	v_cmp_ne_u64_e32 vcc, v[2:3], v[12:13]
	s_and_saveexec_b64 s[18:19], vcc
	s_cbranch_execz .LBB1_351
; %bb.349:                              ;   in Loop: Header=BB1_283 Depth=1
	s_mov_b64 s[20:21], 0
.LBB1_350:                              ;   Parent Loop BB1_283 Depth=1
                                        ; =>  This Inner Loop Header: Depth=2
	s_sleep 1
	global_store_dwordx2 v[6:7], v[2:3], off
	v_mov_b32_e32 v0, s14
	v_mov_b32_e32 v1, s15
	s_waitcnt vmcnt(0)
	global_atomic_cmpswap_x2 v[0:1], v29, v[0:3], s[10:11] offset:32 glc
	s_waitcnt vmcnt(0)
	v_cmp_eq_u64_e32 vcc, v[0:1], v[2:3]
	v_mov_b32_e32 v3, v1
	s_or_b64 s[20:21], vcc, s[20:21]
	v_mov_b32_e32 v2, v0
	s_andn2_b64 exec, exec, s[20:21]
	s_cbranch_execnz .LBB1_350
.LBB1_351:                              ;   in Loop: Header=BB1_283 Depth=1
	s_or_b64 exec, exec, s[18:19]
	global_load_dwordx2 v[0:1], v29, s[10:11] offset:16
	s_mov_b64 s[20:21], exec
	v_mbcnt_lo_u32_b32 v2, s20, 0
	v_mbcnt_hi_u32_b32 v2, s21, v2
	v_cmp_eq_u32_e32 vcc, 0, v2
	s_and_saveexec_b64 s[18:19], vcc
	s_cbranch_execz .LBB1_353
; %bb.352:                              ;   in Loop: Header=BB1_283 Depth=1
	s_bcnt1_i32_b64 s20, s[20:21]
	v_mov_b32_e32 v28, s20
	s_waitcnt vmcnt(0)
	global_atomic_add_x2 v[0:1], v[28:29], off offset:8
.LBB1_353:                              ;   in Loop: Header=BB1_283 Depth=1
	s_or_b64 exec, exec, s[18:19]
	s_waitcnt vmcnt(0)
	global_load_dwordx2 v[2:3], v[0:1], off offset:16
	s_waitcnt vmcnt(0)
	v_cmp_eq_u64_e32 vcc, 0, v[2:3]
	s_cbranch_vccnz .LBB1_355
; %bb.354:                              ;   in Loop: Header=BB1_283 Depth=1
	global_load_dword v28, v[0:1], off offset:24
	s_waitcnt vmcnt(0)
	v_readfirstlane_b32 s18, v28
	s_and_b32 m0, s18, 0xffffff
	global_store_dwordx2 v[2:3], v[28:29], off
	s_sendmsg sendmsg(MSG_INTERRUPT)
.LBB1_355:                              ;   in Loop: Header=BB1_283 Depth=1
	s_or_b64 exec, exec, s[16:17]
	v_add_co_u32_e32 v0, vcc, v24, v35
	v_addc_co_u32_e32 v1, vcc, 0, v25, vcc
	s_branch .LBB1_359
.LBB1_356:                              ;   in Loop: Header=BB1_359 Depth=2
	s_or_b64 exec, exec, s[16:17]
	v_readfirstlane_b32 s16, v2
	s_cmp_eq_u32 s16, 0
	s_cbranch_scc1 .LBB1_358
; %bb.357:                              ;   in Loop: Header=BB1_359 Depth=2
	s_sleep 1
	s_cbranch_execnz .LBB1_359
	s_branch .LBB1_361
.LBB1_358:                              ;   in Loop: Header=BB1_283 Depth=1
	s_branch .LBB1_361
.LBB1_359:                              ;   Parent Loop BB1_283 Depth=1
                                        ; =>  This Inner Loop Header: Depth=2
	v_mov_b32_e32 v2, 1
	s_and_saveexec_b64 s[16:17], s[4:5]
	s_cbranch_execz .LBB1_356
; %bb.360:                              ;   in Loop: Header=BB1_359 Depth=2
	global_load_dword v2, v[32:33], off offset:20 glc
	s_waitcnt vmcnt(0)
	buffer_wbinvl1_vol
	v_and_b32_e32 v2, 1, v2
	s_branch .LBB1_356
.LBB1_361:                              ;   in Loop: Header=BB1_283 Depth=1
	global_load_dwordx2 v[0:1], v[0:1], off
	s_and_saveexec_b64 s[16:17], s[4:5]
	s_cbranch_execz .LBB1_282
; %bb.362:                              ;   in Loop: Header=BB1_283 Depth=1
	global_load_dwordx2 v[2:3], v29, s[10:11] offset:40
	global_load_dwordx2 v[14:15], v29, s[10:11] offset:24 glc
	global_load_dwordx2 v[6:7], v29, s[10:11]
	s_waitcnt vmcnt(2)
	v_readfirstlane_b32 s18, v2
	v_readfirstlane_b32 s19, v3
	s_add_u32 s20, s18, 1
	s_addc_u32 s21, s19, 0
	s_add_u32 s4, s20, s14
	s_addc_u32 s5, s21, s15
	s_cmp_eq_u64 s[4:5], 0
	s_cselect_b32 s5, s21, s5
	s_cselect_b32 s4, s20, s4
	s_and_b64 s[14:15], s[4:5], s[18:19]
	s_mul_i32 s15, s15, 24
	s_mul_hi_u32 s18, s14, 24
	s_mul_i32 s14, s14, 24
	s_add_i32 s15, s18, s15
	v_mov_b32_e32 v3, s15
	s_waitcnt vmcnt(0)
	v_add_co_u32_e32 v2, vcc, s14, v6
	v_addc_co_u32_e32 v3, vcc, v7, v3, vcc
	v_mov_b32_e32 v12, s4
	global_store_dwordx2 v[2:3], v[14:15], off
	v_mov_b32_e32 v13, s5
	s_waitcnt vmcnt(0)
	global_atomic_cmpswap_x2 v[12:13], v29, v[12:15], s[10:11] offset:24 glc
	s_waitcnt vmcnt(0)
	v_cmp_ne_u64_e32 vcc, v[12:13], v[14:15]
	s_and_b64 exec, exec, vcc
	s_cbranch_execz .LBB1_282
; %bb.363:                              ;   in Loop: Header=BB1_283 Depth=1
	s_mov_b64 s[14:15], 0
.LBB1_364:                              ;   Parent Loop BB1_283 Depth=1
                                        ; =>  This Inner Loop Header: Depth=2
	s_sleep 1
	global_store_dwordx2 v[2:3], v[12:13], off
	v_mov_b32_e32 v10, s4
	v_mov_b32_e32 v11, s5
	s_waitcnt vmcnt(0)
	global_atomic_cmpswap_x2 v[6:7], v29, v[10:13], s[10:11] offset:24 glc
	s_waitcnt vmcnt(0)
	v_cmp_eq_u64_e32 vcc, v[6:7], v[12:13]
	v_mov_b32_e32 v13, v7
	s_or_b64 s[14:15], vcc, s[14:15]
	v_mov_b32_e32 v12, v6
	s_andn2_b64 exec, exec, s[14:15]
	s_cbranch_execnz .LBB1_364
	s_branch .LBB1_282
.LBB1_365:
	s_or_b64 exec, exec, s[12:13]
                                        ; implicit-def: $vgpr35
                                        ; implicit-def: $vgpr34
.LBB1_366:
	s_andn2_saveexec_b64 s[6:7], s[6:7]
	s_cbranch_execz .LBB1_393
; %bb.367:
	v_readfirstlane_b32 s4, v34
	v_mov_b32_e32 v8, 0
	v_mov_b32_e32 v9, 0
	v_cmp_eq_u32_e64 s[4:5], s4, v34
	s_and_saveexec_b64 s[12:13], s[4:5]
	s_cbranch_execz .LBB1_373
; %bb.368:
	v_mov_b32_e32 v2, 0
	global_load_dwordx2 v[5:6], v2, s[10:11] offset:24 glc
	s_waitcnt vmcnt(0)
	buffer_wbinvl1_vol
	global_load_dwordx2 v[3:4], v2, s[10:11] offset:40
	global_load_dwordx2 v[7:8], v2, s[10:11]
	s_waitcnt vmcnt(1)
	v_and_b32_e32 v3, v3, v5
	v_and_b32_e32 v4, v4, v6
	v_mul_lo_u32 v4, v4, 24
	v_mul_hi_u32 v9, v3, 24
	v_mul_lo_u32 v3, v3, 24
	v_add_u32_e32 v4, v9, v4
	s_waitcnt vmcnt(0)
	v_add_co_u32_e32 v3, vcc, v7, v3
	v_addc_co_u32_e32 v4, vcc, v8, v4, vcc
	global_load_dwordx2 v[3:4], v[3:4], off glc
	s_waitcnt vmcnt(0)
	global_atomic_cmpswap_x2 v[8:9], v2, v[3:6], s[10:11] offset:24 glc
	s_waitcnt vmcnt(0)
	buffer_wbinvl1_vol
	v_cmp_ne_u64_e32 vcc, v[8:9], v[5:6]
	s_and_saveexec_b64 s[14:15], vcc
	s_cbranch_execz .LBB1_372
; %bb.369:
	s_mov_b64 s[16:17], 0
.LBB1_370:                              ; =>This Inner Loop Header: Depth=1
	s_sleep 1
	global_load_dwordx2 v[3:4], v2, s[10:11] offset:40
	global_load_dwordx2 v[10:11], v2, s[10:11]
	v_mov_b32_e32 v5, v8
	v_mov_b32_e32 v6, v9
	s_waitcnt vmcnt(1)
	v_and_b32_e32 v3, v3, v5
	s_waitcnt vmcnt(0)
	v_mad_u64_u32 v[7:8], s[18:19], v3, 24, v[10:11]
	v_and_b32_e32 v4, v4, v6
	v_mov_b32_e32 v3, v8
	v_mad_u64_u32 v[3:4], s[18:19], v4, 24, v[3:4]
	v_mov_b32_e32 v8, v3
	global_load_dwordx2 v[3:4], v[7:8], off glc
	s_waitcnt vmcnt(0)
	global_atomic_cmpswap_x2 v[8:9], v2, v[3:6], s[10:11] offset:24 glc
	s_waitcnt vmcnt(0)
	buffer_wbinvl1_vol
	v_cmp_eq_u64_e32 vcc, v[8:9], v[5:6]
	s_or_b64 s[16:17], vcc, s[16:17]
	s_andn2_b64 exec, exec, s[16:17]
	s_cbranch_execnz .LBB1_370
; %bb.371:
	s_or_b64 exec, exec, s[16:17]
.LBB1_372:
	s_or_b64 exec, exec, s[14:15]
.LBB1_373:
	s_or_b64 exec, exec, s[12:13]
	v_mov_b32_e32 v2, 0
	global_load_dwordx2 v[10:11], v2, s[10:11] offset:40
	global_load_dwordx4 v[4:7], v2, s[10:11]
	v_readfirstlane_b32 s13, v9
	v_readfirstlane_b32 s12, v8
	s_mov_b64 s[14:15], exec
	s_waitcnt vmcnt(1)
	v_readfirstlane_b32 s16, v10
	v_readfirstlane_b32 s17, v11
	s_and_b64 s[16:17], s[16:17], s[12:13]
	s_mul_i32 s18, s17, 24
	s_mul_hi_u32 s19, s16, 24
	s_mul_i32 s20, s16, 24
	s_add_i32 s18, s19, s18
	v_mov_b32_e32 v3, s18
	s_waitcnt vmcnt(0)
	v_add_co_u32_e32 v8, vcc, s20, v4
	v_addc_co_u32_e32 v9, vcc, v5, v3, vcc
	s_and_saveexec_b64 s[18:19], s[4:5]
	s_cbranch_execz .LBB1_375
; %bb.374:
	v_mov_b32_e32 v10, s14
	v_mov_b32_e32 v11, s15
	;; [unrolled: 1-line block ×4, first 2 shown]
	global_store_dwordx4 v[8:9], v[10:13], off offset:8
.LBB1_375:
	s_or_b64 exec, exec, s[18:19]
	s_lshl_b64 s[14:15], s[16:17], 12
	v_mov_b32_e32 v3, s15
	v_add_co_u32_e32 v10, vcc, s14, v6
	v_addc_co_u32_e32 v11, vcc, v7, v3, vcc
	s_movk_i32 s14, 0xff1f
	v_and_or_b32 v0, v0, s14, 32
	s_mov_b32 s16, 0
	v_mov_b32_e32 v3, v2
	v_readfirstlane_b32 s14, v10
	v_readfirstlane_b32 s15, v11
	v_add_co_u32_e32 v6, vcc, v10, v35
	s_mov_b32 s17, s16
	s_mov_b32 s18, s16
	s_mov_b32 s19, s16
	s_nop 0
	global_store_dwordx4 v35, v[0:3], s[14:15]
	v_addc_co_u32_e32 v7, vcc, 0, v11, vcc
	v_mov_b32_e32 v0, s16
	v_mov_b32_e32 v1, s17
	;; [unrolled: 1-line block ×4, first 2 shown]
	global_store_dwordx4 v35, v[0:3], s[14:15] offset:16
	global_store_dwordx4 v35, v[0:3], s[14:15] offset:32
	;; [unrolled: 1-line block ×3, first 2 shown]
	s_and_saveexec_b64 s[14:15], s[4:5]
	s_cbranch_execz .LBB1_383
; %bb.376:
	v_mov_b32_e32 v10, 0
	global_load_dwordx2 v[13:14], v10, s[10:11] offset:32 glc
	global_load_dwordx2 v[0:1], v10, s[10:11] offset:40
	v_mov_b32_e32 v11, s12
	v_mov_b32_e32 v12, s13
	s_waitcnt vmcnt(0)
	v_readfirstlane_b32 s16, v0
	v_readfirstlane_b32 s17, v1
	s_and_b64 s[16:17], s[16:17], s[12:13]
	s_mul_i32 s17, s17, 24
	s_mul_hi_u32 s18, s16, 24
	s_mul_i32 s16, s16, 24
	s_add_i32 s17, s18, s17
	v_mov_b32_e32 v0, s17
	v_add_co_u32_e32 v4, vcc, s16, v4
	v_addc_co_u32_e32 v5, vcc, v5, v0, vcc
	global_store_dwordx2 v[4:5], v[13:14], off
	s_waitcnt vmcnt(0)
	global_atomic_cmpswap_x2 v[2:3], v10, v[11:14], s[10:11] offset:32 glc
	s_waitcnt vmcnt(0)
	v_cmp_ne_u64_e32 vcc, v[2:3], v[13:14]
	s_and_saveexec_b64 s[16:17], vcc
	s_cbranch_execz .LBB1_379
; %bb.377:
	s_mov_b64 s[18:19], 0
.LBB1_378:                              ; =>This Inner Loop Header: Depth=1
	s_sleep 1
	global_store_dwordx2 v[4:5], v[2:3], off
	v_mov_b32_e32 v0, s12
	v_mov_b32_e32 v1, s13
	s_waitcnt vmcnt(0)
	global_atomic_cmpswap_x2 v[0:1], v10, v[0:3], s[10:11] offset:32 glc
	s_waitcnt vmcnt(0)
	v_cmp_eq_u64_e32 vcc, v[0:1], v[2:3]
	v_mov_b32_e32 v3, v1
	s_or_b64 s[18:19], vcc, s[18:19]
	v_mov_b32_e32 v2, v0
	s_andn2_b64 exec, exec, s[18:19]
	s_cbranch_execnz .LBB1_378
.LBB1_379:
	s_or_b64 exec, exec, s[16:17]
	v_mov_b32_e32 v3, 0
	global_load_dwordx2 v[0:1], v3, s[10:11] offset:16
	s_mov_b64 s[16:17], exec
	v_mbcnt_lo_u32_b32 v2, s16, 0
	v_mbcnt_hi_u32_b32 v2, s17, v2
	v_cmp_eq_u32_e32 vcc, 0, v2
	s_and_saveexec_b64 s[18:19], vcc
	s_cbranch_execz .LBB1_381
; %bb.380:
	s_bcnt1_i32_b64 s16, s[16:17]
	v_mov_b32_e32 v2, s16
	s_waitcnt vmcnt(0)
	global_atomic_add_x2 v[0:1], v[2:3], off offset:8
.LBB1_381:
	s_or_b64 exec, exec, s[18:19]
	s_waitcnt vmcnt(0)
	global_load_dwordx2 v[2:3], v[0:1], off offset:16
	s_waitcnt vmcnt(0)
	v_cmp_eq_u64_e32 vcc, 0, v[2:3]
	s_cbranch_vccnz .LBB1_383
; %bb.382:
	global_load_dword v0, v[0:1], off offset:24
	v_mov_b32_e32 v1, 0
	s_waitcnt vmcnt(0)
	v_readfirstlane_b32 s16, v0
	s_and_b32 m0, s16, 0xffffff
	global_store_dwordx2 v[2:3], v[0:1], off
	s_sendmsg sendmsg(MSG_INTERRUPT)
.LBB1_383:
	s_or_b64 exec, exec, s[14:15]
	s_branch .LBB1_387
.LBB1_384:                              ;   in Loop: Header=BB1_387 Depth=1
	s_or_b64 exec, exec, s[14:15]
	v_readfirstlane_b32 s14, v0
	s_cmp_eq_u32 s14, 0
	s_cbranch_scc1 .LBB1_386
; %bb.385:                              ;   in Loop: Header=BB1_387 Depth=1
	s_sleep 1
	s_cbranch_execnz .LBB1_387
	s_branch .LBB1_389
.LBB1_386:
	s_branch .LBB1_389
.LBB1_387:                              ; =>This Inner Loop Header: Depth=1
	v_mov_b32_e32 v0, 1
	s_and_saveexec_b64 s[14:15], s[4:5]
	s_cbranch_execz .LBB1_384
; %bb.388:                              ;   in Loop: Header=BB1_387 Depth=1
	global_load_dword v0, v[8:9], off offset:20 glc
	s_waitcnt vmcnt(0)
	buffer_wbinvl1_vol
	v_and_b32_e32 v0, 1, v0
	s_branch .LBB1_384
.LBB1_389:
	global_load_dwordx2 v[0:1], v[6:7], off
	s_and_saveexec_b64 s[14:15], s[4:5]
	s_cbranch_execz .LBB1_392
; %bb.390:
	v_mov_b32_e32 v8, 0
	global_load_dwordx2 v[2:3], v8, s[10:11] offset:40
	global_load_dwordx2 v[11:12], v8, s[10:11] offset:24 glc
	global_load_dwordx2 v[4:5], v8, s[10:11]
	s_waitcnt vmcnt(2)
	v_readfirstlane_b32 s16, v2
	v_readfirstlane_b32 s17, v3
	s_add_u32 s18, s16, 1
	s_addc_u32 s19, s17, 0
	s_add_u32 s4, s18, s12
	s_addc_u32 s5, s19, s13
	s_cmp_eq_u64 s[4:5], 0
	s_cselect_b32 s5, s19, s5
	s_cselect_b32 s4, s18, s4
	s_and_b64 s[12:13], s[4:5], s[16:17]
	s_mul_i32 s13, s13, 24
	s_mul_hi_u32 s16, s12, 24
	s_mul_i32 s12, s12, 24
	s_add_i32 s13, s16, s13
	v_mov_b32_e32 v2, s13
	s_waitcnt vmcnt(0)
	v_add_co_u32_e32 v6, vcc, s12, v4
	v_addc_co_u32_e32 v7, vcc, v5, v2, vcc
	v_mov_b32_e32 v9, s4
	global_store_dwordx2 v[6:7], v[11:12], off
	v_mov_b32_e32 v10, s5
	s_waitcnt vmcnt(0)
	global_atomic_cmpswap_x2 v[4:5], v8, v[9:12], s[10:11] offset:24 glc
	s_mov_b64 s[12:13], 0
	s_waitcnt vmcnt(0)
	v_cmp_ne_u64_e32 vcc, v[4:5], v[11:12]
	s_and_b64 exec, exec, vcc
	s_cbranch_execz .LBB1_392
.LBB1_391:                              ; =>This Inner Loop Header: Depth=1
	s_sleep 1
	global_store_dwordx2 v[6:7], v[4:5], off
	v_mov_b32_e32 v2, s4
	v_mov_b32_e32 v3, s5
	s_waitcnt vmcnt(0)
	global_atomic_cmpswap_x2 v[2:3], v8, v[2:5], s[10:11] offset:24 glc
	s_waitcnt vmcnt(0)
	v_cmp_eq_u64_e32 vcc, v[2:3], v[4:5]
	v_mov_b32_e32 v5, v3
	s_or_b64 s[12:13], vcc, s[12:13]
	v_mov_b32_e32 v4, v2
	s_andn2_b64 exec, exec, s[12:13]
	s_cbranch_execnz .LBB1_391
.LBB1_392:
	s_or_b64 exec, exec, s[14:15]
.LBB1_393:
	s_or_b64 exec, exec, s[6:7]
	s_getpc_b64 s[4:5]
	s_add_u32 s4, s4, .str.3@rel32@lo+4
	s_addc_u32 s5, s5, .str.3@rel32@hi+12
	s_getpc_b64 s[6:7]
	s_add_u32 s6, s6, .str.3@rel32@lo+32
	s_addc_u32 s7, s7, .str.3@rel32@hi+40
	s_sub_i32 s10, s6, s4
	s_ashr_i32 s11, s10, 31
	s_getpc_b64 s[6:7]
	s_add_u32 s6, s6, __ockl_fprintf_append_string_n@rel32@lo+4
	s_addc_u32 s7, s7, __ockl_fprintf_append_string_n@rel32@hi+12
	v_mov_b32_e32 v2, s4
	v_mov_b32_e32 v3, s5
	;; [unrolled: 1-line block ×5, first 2 shown]
	s_swappc_b64 s[30:31], s[6:7]
	s_trap 2
.Lfunc_end1:
	.size	__assert_fail, .Lfunc_end1-__assert_fail
                                        ; -- End function
	.set .L__assert_fail.num_vgpr, max(41, .L__ockl_fprintf_append_string_n.num_vgpr)
	.set .L__assert_fail.num_agpr, max(0, .L__ockl_fprintf_append_string_n.num_agpr)
	.set .L__assert_fail.numbered_sgpr, max(34, .L__ockl_fprintf_append_string_n.numbered_sgpr)
	.set .L__assert_fail.num_named_barrier, max(0, .L__ockl_fprintf_append_string_n.num_named_barrier)
	.set .L__assert_fail.private_seg_size, 64+max(.L__ockl_fprintf_append_string_n.private_seg_size)
	.set .L__assert_fail.uses_vcc, or(1, .L__ockl_fprintf_append_string_n.uses_vcc)
	.set .L__assert_fail.uses_flat_scratch, or(0, .L__ockl_fprintf_append_string_n.uses_flat_scratch)
	.set .L__assert_fail.has_dyn_sized_stack, or(0, .L__ockl_fprintf_append_string_n.has_dyn_sized_stack)
	.set .L__assert_fail.has_recursion, or(0, .L__ockl_fprintf_append_string_n.has_recursion)
	.set .L__assert_fail.has_indirect_call, or(0, .L__ockl_fprintf_append_string_n.has_indirect_call)
	.section	.AMDGPU.csdata,"",@progbits
; Function info:
; codeLenInByte = 13844
; TotalNumSgprs: 38
; NumVgprs: 41
; ScratchSize: 64
; MemoryBound: 0
	.text
	.p2align	2                               ; -- Begin function _ZN12_GLOBAL__N_17runRingI14__hip_fp8_e4m310FuncMinMaxIS1_E11ProtoSimpleILi2ELi2ELi0ELi1ELi0ELi0EELi0ELi0ELi1ELi0EEEviiP15ncclDevWorkColl
	.type	_ZN12_GLOBAL__N_17runRingI14__hip_fp8_e4m310FuncMinMaxIS1_E11ProtoSimpleILi2ELi2ELi0ELi1ELi0ELi0EELi0ELi0ELi1ELi0EEEviiP15ncclDevWorkColl,@function
_ZN12_GLOBAL__N_17runRingI14__hip_fp8_e4m310FuncMinMaxIS1_E11ProtoSimpleILi2ELi2ELi0ELi1ELi0ELi0EELi0ELi0ELi1ELi0EEEviiP15ncclDevWorkColl: ; @_ZN12_GLOBAL__N_17runRingI14__hip_fp8_e4m310FuncMinMaxIS1_E11ProtoSimpleILi2ELi2ELi0ELi1ELi0ELi0EELi0ELi0ELi1ELi0EEEviiP15ncclDevWorkColl
; %bb.0:
	s_waitcnt vmcnt(0) expcnt(0) lgkmcnt(0)
	s_mov_b32 s4, s33
	s_mov_b32 s33, s32
	s_or_saveexec_b64 s[6:7], -1
	buffer_store_dword v63, off, s[0:3], s33 offset:292 ; 4-byte Folded Spill
	buffer_store_dword v62, off, s[0:3], s33 offset:296 ; 4-byte Folded Spill
	s_mov_b64 exec, s[6:7]
	v_writelane_b32 v63, s4, 34
	s_addk_i32 s32, 0x4c00
	buffer_store_dword v40, off, s[0:3], s33 offset:52 ; 4-byte Folded Spill
	buffer_store_dword v41, off, s[0:3], s33 offset:48 ; 4-byte Folded Spill
	;; [unrolled: 1-line block ×13, first 2 shown]
	buffer_store_dword v61, off, s[0:3], s33 ; 4-byte Folded Spill
	v_writelane_b32 v63, s34, 0
	v_writelane_b32 v63, s35, 1
	;; [unrolled: 1-line block ×34, first 2 shown]
	v_mov_b32_e32 v16, v1
	buffer_store_dword v0, off, s[0:3], s33 offset:128 ; 4-byte Folded Spill
	s_trap 2
	flat_load_dword v1, v[2:3]
	ds_read_b32 v4, v0
	s_mov_b64 s[28:29], s[8:9]
                                        ; implicit-def: $vgpr14_vgpr15
                                        ; implicit-def: $vgpr5_vgpr6
                                        ; kill: killed $vgpr5_vgpr6
                                        ; implicit-def: $vgpr8_vgpr9
	s_waitcnt lgkmcnt(0)
	v_readfirstlane_b32 s68, v4
	s_waitcnt vmcnt(0)
	v_cmp_ne_u32_sdwa s[4:5], v4, v1 src0_sel:DWORD src1_sel:BYTE_0
	s_and_saveexec_b64 s[6:7], s[4:5]
	s_xor_b64 s[4:5], exec, s[6:7]
	s_cbranch_execz .LBB2_6
; %bb.1:
	v_not_b32_sdwa v0, v1 dst_sel:DWORD dst_unused:UNUSED_PAD src0_sel:BYTE_0
	v_cmp_ne_u32_sdwa s[6:7], v4, v1 src0_sel:DWORD src1_sel:BYTE_1
                                        ; implicit-def: $vgpr14_vgpr15
                                        ; implicit-def: $vgpr5_vgpr6
                                        ; kill: killed $vgpr5_vgpr6
                                        ; implicit-def: $vgpr8_vgpr9
	s_and_saveexec_b64 s[8:9], s[6:7]
	s_xor_b64 s[6:7], exec, s[8:9]
	s_cbranch_execz .LBB2_3
; %bb.2:
	flat_load_dwordx4 v[5:8], v[2:3] offset:72
	flat_load_dwordx2 v[9:10], v[2:3] offset:96
	v_add_u32_e32 v0, v4, v0
	v_ashrrev_i32_e32 v1, 31, v0
	s_waitcnt vmcnt(0) lgkmcnt(0)
	v_mul_lo_u32 v1, v7, v1
	v_mad_u64_u32 v[4:5], s[8:9], v7, v0, v[5:6]
	v_mul_lo_u32 v0, v8, v0
	v_lshrrev_b64 v[14:15], 12, v[9:10]
	v_mov_b32_e32 v9, v8
	v_mov_b32_e32 v8, v7
	v_add3_u32 v5, v0, v5, v1
	buffer_store_dword v4, off, s[0:3], s33 offset:220 ; 4-byte Folded Spill
	s_nop 0
	buffer_store_dword v5, off, s[0:3], s33 offset:224 ; 4-byte Folded Spill
                                        ; implicit-def: $vgpr1
                                        ; implicit-def: $vgpr0
.LBB2_3:
	s_andn2_saveexec_b64 s[6:7], s[6:7]
	s_cbranch_execz .LBB2_5
; %bb.4:
	flat_load_dwordx4 v[4:7], v[2:3] offset:72
	flat_load_dwordx4 v[8:11], v[2:3] offset:88
	v_add_u32_sdwa v0, v1, v0 dst_sel:DWORD dst_unused:UNUSED_PAD src0_sel:BYTE_1 src1_sel:DWORD
	v_ashrrev_i32_e32 v1, 31, v0
	s_waitcnt vmcnt(0) lgkmcnt(0)
	v_mul_lo_u32 v1, v6, v1
	v_mad_u64_u32 v[4:5], s[8:9], v6, v0, v[4:5]
	v_mul_lo_u32 v0, v7, v0
	v_lshrrev_b32_e32 v14, 1, v11
	v_add3_u32 v5, v0, v5, v1
	buffer_store_dword v4, off, s[0:3], s33 offset:220 ; 4-byte Folded Spill
	s_nop 0
	buffer_store_dword v5, off, s[0:3], s33 offset:224 ; 4-byte Folded Spill
.LBB2_5:
	s_or_b64 exec, exec, s[6:7]
.LBB2_6:
	s_andn2_saveexec_b64 s[4:5], s[4:5]
	s_cbranch_execz .LBB2_8
; %bb.7:
	flat_load_dwordx2 v[0:1], v[2:3] offset:96
	flat_load_dwordx2 v[8:9], v[2:3] offset:72
	s_waitcnt vmcnt(0) lgkmcnt(0)
	v_lshlrev_b64 v[14:15], 9, v[0:1]
	v_mov_b32_e32 v0, 0
	v_mov_b32_e32 v1, 0
	buffer_store_dword v0, off, s[0:3], s33 offset:220 ; 4-byte Folded Spill
	s_nop 0
	buffer_store_dword v1, off, s[0:3], s33 offset:224 ; 4-byte Folded Spill
.LBB2_8:
	s_or_b64 exec, exec, s[4:5]
	s_trap 2
	ds_read_b64 v[0:1], v0
	s_waitcnt lgkmcnt(0)
	v_cmp_ne_u32_e32 vcc, -1, v0
	v_cndmask_b32_e64 v0, 0, 1, vcc
	v_cmp_ne_u32_e32 vcc, -1, v1
	v_addc_co_u32_e64 v1, s[4:5], 0, v0, vcc
	v_lshlrev_b32_e32 v4, 1, v1
	v_cmp_le_u32_e64 s[4:5], v4, v16
	s_and_saveexec_b64 s[6:7], s[4:5]
	s_xor_b64 s[6:7], exec, s[6:7]
                                        ; implicit-def: $vgpr62 : SGPR spill to VGPR lane
	v_writelane_b32 v62, s6, 0
	v_writelane_b32 v62, s7, 1
	s_cbranch_execnz .LBB2_9
; %bb.6767:
	s_getpc_b64 s[98:99]
.Lpost_getpc0:
	s_add_u32 s98, s98, (.LBB2_6764-.Lpost_getpc0)&4294967295
	s_addc_u32 s99, s99, (.LBB2_6764-.Lpost_getpc0)>>32
	s_setpc_b64 s[98:99]
.LBB2_9:
	buffer_store_dword v8, off, s[0:3], s33 offset:228 ; 4-byte Folded Spill
	s_nop 0
	buffer_store_dword v9, off, s[0:3], s33 offset:232 ; 4-byte Folded Spill
	buffer_store_dword v10, off, s[0:3], s33 offset:236 ; 4-byte Folded Spill
	;; [unrolled: 1-line block ×3, first 2 shown]
	flat_load_dwordx4 v[10:13], v[2:3] offset:16
	s_nop 0
	flat_load_dwordx2 v[32:33], v[2:3] offset:104
	flat_load_ushort v7, v[2:3] offset:8
	flat_load_dword v6, v[2:3] offset:4
	s_trap 2
	s_load_dword s4, s[28:29], 0x0
	v_mov_b32_e32 v4, 0
	v_mov_b32_e32 v20, 4
	s_waitcnt lgkmcnt(0)
	s_cmp_lt_u32 s12, s4
	s_cselect_b32 s4, 12, 18
	s_add_u32 s4, s28, s4
	s_addc_u32 s5, s29, 0
	global_load_ushort v15, v4, s[4:5]
	ds_read_b32 v4, v0
	s_waitcnt lgkmcnt(0)
	v_readfirstlane_b32 s9, v4
	buffer_load_dword v4, off, s[0:3], s33 offset:128 ; 4-byte Folded Reload
	s_waitcnt vmcnt(0)
	v_cmp_ge_u32_e64 s[4:5], v4, v0
	s_and_saveexec_b64 s[6:7], s[4:5]
	s_cbranch_execz .LBB2_19
; %bb.10:
	buffer_load_dword v4, off, s[0:3], s33 offset:128 ; 4-byte Folded Reload
                                        ; implicit-def: $vgpr20
	s_waitcnt vmcnt(0)
	v_cmp_ge_u32_e64 s[4:5], v4, v1
	s_and_saveexec_b64 s[10:11], s[4:5]
	s_xor_b64 s[4:5], exec, s[10:11]
	s_cbranch_execz .LBB2_16
; %bb.11:
	buffer_load_dword v5, off, s[0:3], s33 offset:128 ; 4-byte Folded Reload
	v_cndmask_b32_e64 v4, 0, 1, vcc
	v_sub_u32_e32 v4, v16, v4
	s_waitcnt vmcnt(0)
	v_cmp_ge_u32_e32 vcc, v5, v4
	s_and_saveexec_b64 s[10:11], vcc
	s_xor_b64 s[10:11], exec, s[10:11]
; %bb.12:
                                        ; implicit-def: $vgpr1
; %bb.13:
	s_or_saveexec_b64 s[10:11], s[10:11]
	v_mov_b32_e32 v20, 16
	s_xor_b64 exec, exec, s[10:11]
	s_cbranch_execz .LBB2_15
; %bb.14:
	buffer_load_dword v4, off, s[0:3], s33 offset:128 ; 4-byte Folded Reload
	v_sub_u32_e32 v1, v16, v1
	s_waitcnt vmcnt(0)
	v_cmp_lt_i32_e32 vcc, v4, v1
	v_cndmask_b32_e64 v20, 32, 0, vcc
.LBB2_15:
	s_or_b64 exec, exec, s[10:11]
.LBB2_16:
	s_andn2_saveexec_b64 s[4:5], s[4:5]
; %bb.17:
	v_mov_b32_e32 v20, 8
; %bb.18:
	s_or_b64 exec, exec, s[4:5]
.LBB2_19:
	s_or_b64 exec, exec, s[6:7]
	v_and_b32_e32 v1, 36, v20
	v_cmp_ne_u32_e32 vcc, 0, v1
	v_mov_b32_e32 v8, -1
	s_and_saveexec_b64 s[4:5], vcc
	s_cbranch_execz .LBB2_21
; %bb.20:
	s_trap 2
	ds_read_b32 v8, v0
.LBB2_21:
	s_or_b64 exec, exec, s[4:5]
	v_and_b32_e32 v1, 24, v20
	v_cmp_ne_u32_e64 s[4:5], 0, v1
	s_and_saveexec_b64 s[6:7], s[4:5]
	s_cbranch_execz .LBB2_23
; %bb.22:
	s_trap 2
	s_waitcnt lgkmcnt(0)
	ds_read_b32 v8, v0
.LBB2_23:
	s_or_b64 exec, exec, s[6:7]
	v_lshrrev_b64 v[4:5], 31, v[6:7]
	v_mov_b32_e32 v5, 0
	v_mov_b32_e32 v6, 0
	buffer_store_dword v5, off, s[0:3], s33 offset:264 ; 4-byte Folded Spill
	s_nop 0
	buffer_store_dword v6, off, s[0:3], s33 offset:268 ; 4-byte Folded Spill
	v_and_b32_e32 v1, 3, v4
	v_mov_b32_e32 v4, 0
	v_mov_b32_e32 v5, 0
	s_waitcnt lgkmcnt(0)
	v_ashrrev_i32_e32 v9, 31, v8
                                        ; implicit-def: $vgpr50_vgpr51
                                        ; implicit-def: $vgpr28_vgpr29
                                        ; implicit-def: $vgpr22_vgpr23
	buffer_store_dword v4, off, s[0:3], s33 offset:80 ; 4-byte Folded Spill
	s_nop 0
	buffer_store_dword v5, off, s[0:3], s33 offset:84 ; 4-byte Folded Spill
	buffer_store_dword v6, off, s[0:3], s33 offset:88 ; 4-byte Folded Spill
	;; [unrolled: 1-line block ×3, first 2 shown]
                                        ; implicit-def: $vgpr4_vgpr5
                                        ; kill: killed $vgpr4_vgpr5
                                        ; implicit-def: $vgpr4
                                        ; kill: killed $vgpr4
                                        ; implicit-def: $vgpr4_vgpr5
                                        ; kill: killed $vgpr4_vgpr5
	s_and_saveexec_b64 s[4:5], vcc
	s_cbranch_execz .LBB2_33
; %bb.24:
	s_trap 2
	ds_read_b64 v[4:5], v0
	v_lshlrev_b64 v[6:7], 3, v[8:9]
	s_movk_i32 s6, 0xa8
	s_waitcnt lgkmcnt(0)
	v_add_co_u32_e32 v4, vcc, v4, v6
	v_addc_co_u32_e32 v5, vcc, v5, v7, vcc
	flat_load_dwordx2 v[4:5], v[4:5]
	v_and_b32_e32 v6, 0xffff, v1
	s_waitcnt vmcnt(0) lgkmcnt(0)
	v_mad_u64_u32 v[26:27], s[6:7], v6, s6, v[4:5]
	flat_load_dword v4, v[26:27] offset:640
	s_waitcnt vmcnt(0) lgkmcnt(0)
	v_cmp_eq_u32_e32 vcc, 1, v4
                                        ; implicit-def: $vgpr4_vgpr5
                                        ; kill: killed $vgpr4_vgpr5
	s_and_saveexec_b64 s[6:7], vcc
	s_cbranch_execz .LBB2_26
; %bb.25:
	flat_load_dwordx2 v[6:7], v[26:27] offset:648
	v_or_b32_e32 v20, 0x2000, v20
	s_waitcnt vmcnt(0) lgkmcnt(0)
	flat_load_dwordx2 v[4:5], v[6:7]
	s_trap 2
	s_waitcnt vmcnt(0) lgkmcnt(0)
	ds_write_b64 v0, v[4:5]
	flat_load_dwordx2 v[4:5], v[6:7] offset:8
	s_waitcnt vmcnt(0) lgkmcnt(0)
	ds_write_b64 v0, v[4:5]
	buffer_store_dword v6, off, s[0:3], s33 offset:284 ; 4-byte Folded Spill
	s_nop 0
	buffer_store_dword v7, off, s[0:3], s33 offset:288 ; 4-byte Folded Spill
	flat_load_dwordx2 v[4:5], v[6:7] offset:16
	s_waitcnt vmcnt(0) lgkmcnt(0)
	ds_write_b64 v0, v[4:5]
.LBB2_26:
	s_or_b64 exec, exec, s[6:7]
	flat_load_dwordx2 v[4:5], v[26:27] offset:608
	v_and_b32_e32 v6, 32, v20
                                        ; implicit-def: $vgpr22_vgpr23
	s_waitcnt vmcnt(0) lgkmcnt(0)
	v_add_co_u32_e32 v4, vcc, 3, v4
	v_addc_co_u32_e32 v51, vcc, 0, v5, vcc
	v_and_b32_e32 v50, -4, v4
	v_cmp_ne_u32_e32 vcc, 0, v6
	s_and_saveexec_b64 s[6:7], vcc
	s_cbranch_execz .LBB2_28
; %bb.27:
	flat_load_dwordx2 v[22:23], v[26:27] offset:560
	s_waitcnt vmcnt(0) lgkmcnt(0)
	flat_store_dwordx2 v[22:23], v[50:51]
.LBB2_28:
	s_or_b64 exec, exec, s[6:7]
	v_add_co_u32_e32 v4, vcc, 0x1f8, v26
	v_addc_co_u32_e32 v5, vcc, 0, v27, vcc
	buffer_store_dword v4, off, s[0:3], s33 offset:264 ; 4-byte Folded Spill
	s_nop 0
	buffer_store_dword v5, off, s[0:3], s33 offset:268 ; 4-byte Folded Spill
	v_mov_b32_e32 v5, 0
	v_and_b32_e32 v4, 4, v20
	v_mov_b32_e32 v6, 0
	buffer_store_dword v5, off, s[0:3], s33 offset:80 ; 4-byte Folded Spill
	s_nop 0
	buffer_store_dword v6, off, s[0:3], s33 offset:84 ; 4-byte Folded Spill
	buffer_store_dword v7, off, s[0:3], s33 offset:88 ; 4-byte Folded Spill
	;; [unrolled: 1-line block ×3, first 2 shown]
	v_cmp_ne_u32_e32 vcc, 0, v4
                                        ; implicit-def: $vgpr4
                                        ; kill: killed $vgpr4
                                        ; implicit-def: $vgpr4_vgpr5
                                        ; kill: killed $vgpr4_vgpr5
                                        ; implicit-def: $vgpr28_vgpr29
	s_and_saveexec_b64 s[6:7], vcc
	s_cbranch_execz .LBB2_32
; %bb.29:
	v_and_b32_e32 v4, 0x800, v20
	v_cmp_eq_u32_e32 vcc, 0, v4
	s_and_saveexec_b64 s[10:11], vcc
	s_cbranch_execz .LBB2_31
; %bb.30:
	s_trap 2
	buffer_load_dword v4, off, s[0:3], s33 offset:264 ; 4-byte Folded Reload
	buffer_load_dword v5, off, s[0:3], s33 offset:268 ; 4-byte Folded Reload
	s_waitcnt vmcnt(0)
	ds_write_b64 v0, v[4:5]
.LBB2_31:
	s_or_b64 exec, exec, s[10:11]
	flat_load_dwordx2 v[22:23], v[26:27] offset:552
	s_waitcnt vmcnt(0) lgkmcnt(0)
	flat_load_dwordx2 v[28:29], v[22:23] glc
	flat_load_dwordx2 v[17:18], v[26:27] offset:600
	flat_load_dword v4, v[26:27] offset:576
	s_waitcnt vmcnt(0) lgkmcnt(0)
	v_cmp_eq_u64_e32 vcc, 0, v[17:18]
	buffer_store_dword v4, off, s[0:3], s33 offset:104 ; 4-byte Folded Spill
	flat_load_dwordx2 v[4:5], v[26:27] offset:520
	s_waitcnt vmcnt(0) lgkmcnt(0)
	buffer_store_dword v4, off, s[0:3], s33 offset:72 ; 4-byte Folded Spill
	s_nop 0
	buffer_store_dword v5, off, s[0:3], s33 offset:76 ; 4-byte Folded Spill
	v_or_b32_e32 v4, 0x100, v20
	v_mov_b32_e32 v5, v17
	v_mov_b32_e32 v6, v18
	v_cndmask_b32_e32 v20, v4, v20, vcc
	buffer_store_dword v5, off, s[0:3], s33 offset:80 ; 4-byte Folded Spill
	s_nop 0
	buffer_store_dword v6, off, s[0:3], s33 offset:84 ; 4-byte Folded Spill
	buffer_store_dword v7, off, s[0:3], s33 offset:88 ; 4-byte Folded Spill
	;; [unrolled: 1-line block ×3, first 2 shown]
.LBB2_32:
	s_or_b64 exec, exec, s[6:7]
.LBB2_33:
	s_or_b64 exec, exec, s[4:5]
	v_and_b32_e32 v4, 24, v20
	v_cmp_ne_u32_e32 vcc, 0, v4
                                        ; implicit-def: $vgpr4_vgpr5
                                        ; kill: killed $vgpr4_vgpr5
	s_and_saveexec_b64 s[4:5], vcc
	s_cbranch_execz .LBB2_41
; %bb.34:
	s_trap 2
	ds_read_b64 v[4:5], v0
	v_lshlrev_b64 v[6:7], 3, v[8:9]
	v_and_b32_e32 v1, 0xffff, v1
	s_movk_i32 s6, 0xa8
	s_waitcnt lgkmcnt(0)
	v_add_co_u32_e32 v4, vcc, v4, v6
	v_addc_co_u32_e32 v5, vcc, v5, v7, vcc
	flat_load_dwordx2 v[4:5], v[4:5]
	s_waitcnt vmcnt(0) lgkmcnt(0)
	v_mad_u64_u32 v[4:5], s[6:7], v1, s6, v[4:5]
	buffer_store_dword v4, off, s[0:3], s33 offset:264 ; 4-byte Folded Spill
	s_nop 0
	buffer_store_dword v5, off, s[0:3], s33 offset:268 ; 4-byte Folded Spill
	v_or_b32_e32 v1, 0x100, v20
	flat_load_dwordx4 v[4:7], v[4:5] offset:96
	s_waitcnt vmcnt(0) lgkmcnt(0)
	buffer_store_dword v4, off, s[0:3], s33 offset:80 ; 4-byte Folded Spill
	s_nop 0
	buffer_store_dword v5, off, s[0:3], s33 offset:84 ; 4-byte Folded Spill
	buffer_store_dword v6, off, s[0:3], s33 offset:88 ; 4-byte Folded Spill
	;; [unrolled: 1-line block ×3, first 2 shown]
	v_cmp_eq_u64_e32 vcc, 0, v[4:5]
                                        ; implicit-def: $vgpr4_vgpr5
                                        ; kill: killed $vgpr4_vgpr5
	v_cndmask_b32_e32 v20, v1, v20, vcc
	v_and_b32_e32 v1, 16, v20
	v_cmp_ne_u32_e32 vcc, 0, v1
	s_and_saveexec_b64 s[6:7], vcc
	s_cbranch_execz .LBB2_36
; %bb.35:
	buffer_load_dword v4, off, s[0:3], s33 offset:264 ; 4-byte Folded Reload
	buffer_load_dword v5, off, s[0:3], s33 offset:268 ; 4-byte Folded Reload
	s_waitcnt vmcnt(0)
	flat_load_dwordx2 v[22:23], v[4:5] offset:48
	flat_load_dwordx2 v[6:7], v[4:5] offset:120
	s_waitcnt vmcnt(0) lgkmcnt(0)
	buffer_store_dword v6, off, s[0:3], s33 offset:96 ; 4-byte Folded Spill
	s_nop 0
	buffer_store_dword v7, off, s[0:3], s33 offset:100 ; 4-byte Folded Spill
	flat_load_dwordx2 v[4:5], v[4:5] offset:16
	s_waitcnt vmcnt(0) lgkmcnt(0)
	buffer_store_dword v4, off, s[0:3], s33 offset:72 ; 4-byte Folded Spill
	s_nop 0
	buffer_store_dword v5, off, s[0:3], s33 offset:76 ; 4-byte Folded Spill
.LBB2_36:
	s_or_b64 exec, exec, s[6:7]
	buffer_load_dword v4, off, s[0:3], s33 offset:80 ; 4-byte Folded Reload
	buffer_load_dword v5, off, s[0:3], s33 offset:84 ; 4-byte Folded Reload
	;; [unrolled: 1-line block ×4, first 2 shown]
	s_waitcnt vmcnt(1)
	v_add_co_u32_e32 v1, vcc, 3, v6
	s_waitcnt vmcnt(0)
	v_addc_co_u32_e32 v51, vcc, 0, v7, vcc
	v_and_b32_e32 v50, -4, v1
	v_and_b32_e32 v1, 8, v20
	v_cmp_ne_u32_e32 vcc, 0, v1
	s_and_saveexec_b64 s[6:7], vcc
	s_cbranch_execz .LBB2_40
; %bb.37:
	v_and_b32_e32 v1, 0x800, v20
	v_cmp_eq_u32_e32 vcc, 0, v1
	s_and_saveexec_b64 s[10:11], vcc
	s_cbranch_execz .LBB2_39
; %bb.38:
	s_trap 2
	buffer_load_dword v4, off, s[0:3], s33 offset:264 ; 4-byte Folded Reload
	buffer_load_dword v5, off, s[0:3], s33 offset:268 ; 4-byte Folded Reload
	s_waitcnt vmcnt(0)
	ds_write_b64 v0, v[4:5]
.LBB2_39:
	s_or_b64 exec, exec, s[10:11]
	buffer_load_dword v4, off, s[0:3], s33 offset:264 ; 4-byte Folded Reload
	buffer_load_dword v5, off, s[0:3], s33 offset:268 ; 4-byte Folded Reload
	s_waitcnt vmcnt(0)
	flat_load_dwordx2 v[22:23], v[4:5] offset:56
	s_waitcnt vmcnt(0) lgkmcnt(0)
	flat_load_dwordx2 v[28:29], v[22:23] glc
	flat_load_dword v1, v[4:5] offset:72
	s_nop 0
	flat_load_dwordx2 v[4:5], v[4:5] offset:16
	s_waitcnt vmcnt(0) lgkmcnt(0)
	buffer_store_dword v1, off, s[0:3], s33 offset:104 ; 4-byte Folded Spill
	buffer_store_dword v4, off, s[0:3], s33 offset:72 ; 4-byte Folded Spill
	s_nop 0
	buffer_store_dword v5, off, s[0:3], s33 offset:76 ; 4-byte Folded Spill
.LBB2_40:
	s_or_b64 exec, exec, s[6:7]
.LBB2_41:
	s_or_b64 exec, exec, s[4:5]
	buffer_load_dword v1, off, s[0:3], s33 offset:128 ; 4-byte Folded Reload
	s_waitcnt vmcnt(0)
	v_cmp_eq_u32_e64 s[4:5], 0, v1
	s_and_saveexec_b64 s[6:7], s[4:5]
	s_cbranch_execz .LBB2_43
; %bb.42:
	flat_load_dwordx2 v[4:5], v[2:3] offset:32
	v_mov_b32_e32 v6, v12
	v_mov_b32_e32 v7, v13
	;; [unrolled: 1-line block ×4, first 2 shown]
	ds_write2_b64 v0, v[6:7], v[8:9] offset1:1
	s_trap 2
	s_waitcnt vmcnt(0) lgkmcnt(0)
	ds_write_b64 v0, v[4:5]
	ds_write_b64 v0, v[32:33]
.LBB2_43:
	s_or_b64 exec, exec, s[6:7]
	buffer_load_dword v6, off, s[0:3], s33 offset:228 ; 4-byte Folded Reload
	buffer_load_dword v7, off, s[0:3], s33 offset:232 ; 4-byte Folded Reload
	;; [unrolled: 1-line block ×4, first 2 shown]
	v_mov_b32_e32 v32, 0
	v_mov_b32_e32 v33, 0
	s_waitcnt vmcnt(0)
	v_cmp_lt_i64_e32 vcc, 0, v[6:7]
	s_mov_b64 s[6:7], exec
	v_writelane_b32 v62, s6, 2
	v_writelane_b32 v62, s7, 3
	s_and_b64 s[6:7], s[6:7], vcc
	s_mov_b64 exec, s[6:7]
	s_cbranch_execnz .LBB2_44
; %bb.6769:
	s_getpc_b64 s[98:99]
.Lpost_getpc1:
	s_add_u32 s98, s98, (.LBB2_6730-.Lpost_getpc1)&4294967295
	s_addc_u32 s99, s99, (.LBB2_6730-.Lpost_getpc1)>>32
	s_setpc_b64 s[98:99]
.LBB2_44:
	v_and_b32_e32 v34, 0x3ffffe00, v14
	s_ashr_i32 s69, s68, 31
	v_mad_i64_i32 v[10:11], s[6:7], v34, s68, 0
	s_add_u32 s8, s68, -1
	s_addc_u32 s71, s69, -1
	s_add_i32 s80, s68, s68
	s_not_b32 s6, s68
	s_cmp_gt_i32 s68, 0
	s_cselect_b32 s6, s6, -1
	s_add_i32 s81, s6, s80
	s_ashr_i32 s6, s9, 31
	flat_load_dword v1, v[2:3] offset:4
	s_lshr_b32 s6, s6, 25
	v_and_b32_e32 v2, 63, v31
	s_add_i32 s9, s9, s6
	buffer_load_dword v4, off, s[0:3], s33 offset:128 ; 4-byte Folded Reload
	v_cmp_eq_u32_e64 s[6:7], 0, v2
	buffer_load_dword v2, off, s[0:3], s33 offset:104 ; 4-byte Folded Reload
	v_lshrrev_b32_e32 v17, 6, v16
	buffer_store_dword v31, off, s[0:3], s33 offset:276 ; 4-byte Folded Spill
	v_lshlrev_b32_e32 v5, 10, v17
	s_ashr_i32 s83, s9, 7
	s_movk_i32 s9, 0x400
	s_ashr_i32 s82, s81, 31
	v_and_b32_e32 v26, 0x3fc0, v16
	s_cmp_gt_i32 s68, 2
	s_cselect_b64 s[76:77], -1, 0
	v_mov_b32_e32 v35, 0
	v_writelane_b32 v62, s28, 4
	s_mov_b32 s60, 0
	s_mov_b32 s62, -1
	v_mov_b32_e32 v32, 0
	v_writelane_b32 v62, s29, 5
	s_mov_b32 s61, 0x1000000
	s_mov_b32 s63, 0xffffff
	v_cmp_eq_u32_e64 s[10:11], 64, v16
	v_cmp_ne_u32_e64 s[12:13], 64, v16
	v_cmp_ne_u32_sdwa s[72:73], v16, v15 src0_sel:DWORD src1_sel:WORD_0
	s_mov_b64 s[74:75], 0
	v_mov_b32_e32 v33, 0
	s_movk_i32 s87, 0xffc0
	s_movk_i32 s96, 0x108
	;; [unrolled: 1-line block ×3, first 2 shown]
	s_brev_b32 s58, 1
	s_movk_i32 s59, 0x80
	s_mov_b64 s[90:91], 0x7f800000
	s_mov_b64 s[92:93], 0x43e00001
	s_movk_i32 s56, 0x7a
	s_mov_b64 s[94:95], 0xffffff
	v_bfrev_b32_e32 v48, 60
	v_mov_b32_e32 v49, 0x7f800001
	v_mov_b32_e32 v52, 0xffffff82
	s_waitcnt vmcnt(0) lgkmcnt(0)
	v_and_b32_e32 v1, 1, v1
	v_cmp_eq_u32_e64 s[18:19], 1, v1
	s_xor_b64 s[78:79], s[18:19], -1
	v_and_b32_e32 v12, 63, v4
	v_cmp_lt_u32_e64 s[16:17], v12, v0
	v_ashrrev_i32_e32 v2, 31, v2
	buffer_store_dword v2, off, s[0:3], s33 offset:124 ; 4-byte Folded Spill
	s_trap 2
	buffer_store_dword v15, off, s[0:3], s33 offset:280 ; 4-byte Folded Spill
	buffer_store_dword v16, off, s[0:3], s33 offset:272 ; 4-byte Folded Spill
	buffer_load_dword v8, off, s[0:3], s33 offset:96 ; 4-byte Folded Reload
	buffer_load_dword v9, off, s[0:3], s33 offset:100 ; 4-byte Folded Reload
	v_cmp_le_u32_e64 s[24:25], v12, v0
	v_lshlrev_b32_e32 v0, 4, v4
	buffer_store_dword v0, off, s[0:3], s33 offset:140 ; 4-byte Folded Spill
	v_add_u32_e32 v0, 0xfffffc00, v5
	v_ashrrev_i32_e32 v1, 31, v0
	v_add_co_u32_e64 v0, s[26:27], s9, v0
	buffer_store_dword v12, off, s[0:3], s33 offset:148 ; 4-byte Folded Spill
	buffer_store_dword v0, off, s[0:3], s33 offset:64 ; 4-byte Folded Spill
	buffer_store_dword v1, off, s[0:3], s33 offset:60 ; 4-byte Folded Spill
	v_addc_co_u32_e64 v0, s[26:27], 0, v1, s[26:27]
	buffer_store_dword v0, off, s[0:3], s33 offset:68 ; 4-byte Folded Spill
	v_subrev_u32_e32 v0, 64, v26
	v_ashrrev_i32_e32 v1, 31, v0
	buffer_store_dword v0, off, s[0:3], s33 offset:108 ; 4-byte Folded Spill
	v_add_co_u32_e64 v0, s[26:27], 64, v0
	s_add_i32 s9, s68, 1
	v_lshrrev_b32_e32 v13, 6, v4
	v_lshlrev_b32_e32 v3, 4, v12
	buffer_store_dword v0, off, s[0:3], s33 offset:116 ; 4-byte Folded Spill
	buffer_store_dword v1, off, s[0:3], s33 offset:112 ; 4-byte Folded Spill
	v_addc_co_u32_e64 v0, s[26:27], 0, v1, s[26:27]
	s_cmp_ge_i32 s9, s68
	buffer_store_dword v0, off, s[0:3], s33 offset:120 ; 4-byte Folded Spill
	s_cselect_b32 s26, s68, 0
	v_lshl_or_b32 v0, v13, 11, v3
	v_mov_b32_e32 v1, v35
	v_cmp_ge_u32_e32 vcc, v4, v16
	s_sub_i32 s84, s9, s26
	buffer_store_dword v13, off, s[0:3], s33 offset:144 ; 4-byte Folded Spill
	buffer_store_dword v0, off, s[0:3], s33 offset:196 ; 4-byte Folded Spill
	s_nop 0
	buffer_store_dword v1, off, s[0:3], s33 offset:200 ; 4-byte Folded Spill
	v_mov_b32_e32 v3, 0
	v_cmp_eq_u32_e64 s[14:15], 0, v12
	v_lshlrev_b32_e32 v2, 9, v17
	s_ashr_i32 s85, s84, 31
	s_add_i32 s86, s68, -2
	v_mov_b32_e32 v4, 0
	s_xor_b64 s[88:89], vcc, -1
	v_bfrev_b32_e32 v0, 1
	buffer_store_dword v34, off, s[0:3], s33 offset:180 ; 4-byte Folded Spill
	s_nop 0
	buffer_store_dword v35, off, s[0:3], s33 offset:184 ; 4-byte Folded Spill
	buffer_store_dword v10, off, s[0:3], s33 offset:244 ; 4-byte Folded Spill
	s_nop 0
	buffer_store_dword v11, off, s[0:3], s33 offset:248 ; 4-byte Folded Spill
	buffer_store_dword v26, off, s[0:3], s33 offset:56 ; 4-byte Folded Spill
	s_waitcnt vmcnt(17)
	v_cmp_eq_u64_e64 s[20:21], 0, v[8:9]
	v_cmp_ne_u64_e64 s[22:23], 0, v[8:9]
	s_branch .LBB2_47
.LBB2_45:                               ;   in Loop: Header=BB2_47 Depth=1
	s_or_b64 exec, exec, s[40:41]
.LBB2_46:                               ;   in Loop: Header=BB2_47 Depth=1
	s_or_b64 exec, exec, s[28:29]
	buffer_load_dword v10, off, s[0:3], s33 offset:244 ; 4-byte Folded Reload
	buffer_load_dword v11, off, s[0:3], s33 offset:248 ; 4-byte Folded Reload
	buffer_load_dword v3, off, s[0:3], s33 offset:204 ; 4-byte Folded Reload
	buffer_load_dword v4, off, s[0:3], s33 offset:208 ; 4-byte Folded Reload
	buffer_load_dword v6, off, s[0:3], s33 offset:228 ; 4-byte Folded Reload
	buffer_load_dword v7, off, s[0:3], s33 offset:232 ; 4-byte Folded Reload
	buffer_load_dword v8, off, s[0:3], s33 offset:236 ; 4-byte Folded Reload
	buffer_load_dword v9, off, s[0:3], s33 offset:240 ; 4-byte Folded Reload
	s_waitcnt vmcnt(0)
	v_add_co_u32_e32 v3, vcc, v3, v10
	v_addc_co_u32_e32 v4, vcc, v4, v11, vcc
	v_cmp_ge_i64_e32 vcc, v[3:4], v[6:7]
	s_or_b64 s[74:75], vcc, s[74:75]
	s_andn2_b64 exec, exec, s[74:75]
	s_cbranch_execnz .LBB2_47
; %bb.6771:
	s_getpc_b64 s[98:99]
.Lpost_getpc2:
	s_add_u32 s98, s98, (.LBB2_6729-.Lpost_getpc2)&4294967295
	s_addc_u32 s99, s99, (.LBB2_6729-.Lpost_getpc2)>>32
	s_setpc_b64 s[98:99]
.LBB2_47:                               ; =>This Loop Header: Depth=1
                                        ;     Child Loop BB2_57 Depth 2
                                        ;       Child Loop BB2_65 Depth 3
                                        ;       Child Loop BB2_89 Depth 3
	;; [unrolled: 1-line block ×9, first 2 shown]
                                        ;     Child Loop BB2_197 Depth 2
                                        ;       Child Loop BB2_203 Depth 3
                                        ;       Child Loop BB2_227 Depth 3
	;; [unrolled: 1-line block ×3, first 2 shown]
                                        ;     Child Loop BB2_269 Depth 2
                                        ;       Child Loop BB2_272 Depth 3
                                        ;         Child Loop BB2_280 Depth 4
                                        ;         Child Loop BB2_308 Depth 4
	;; [unrolled: 1-line block ×9, first 2 shown]
                                        ;       Child Loop BB2_2256 Depth 3
                                        ;         Child Loop BB2_2262 Depth 4
                                        ;         Child Loop BB2_2290 Depth 4
	;; [unrolled: 1-line block ×3, first 2 shown]
                                        ;     Child Loop BB2_2331 Depth 2
                                        ;       Child Loop BB2_2339 Depth 3
                                        ;       Child Loop BB2_2367 Depth 3
	;; [unrolled: 1-line block ×4, first 2 shown]
                                        ;         Child Loop BB2_3066 Depth 4
                                        ;       Child Loop BB2_3120 Depth 3
                                        ;         Child Loop BB2_3777 Depth 4
                                        ;       Child Loop BB2_3833 Depth 3
                                        ;       Child Loop BB2_4221 Depth 3
                                        ;         Child Loop BB2_4270 Depth 4
                                        ;       Child Loop BB2_4283 Depth 3
                                        ;       Child Loop BB2_4992 Depth 3
	;; [unrolled: 1-line block ×6, first 2 shown]
                                        ;     Child Loop BB2_6189 Depth 2
                                        ;       Child Loop BB2_6195 Depth 3
                                        ;       Child Loop BB2_6223 Depth 3
	;; [unrolled: 1-line block ×3, first 2 shown]
                                        ;     Child Loop BB2_6265 Depth 2
                                        ;       Child Loop BB2_6268 Depth 3
                                        ;         Child Loop BB2_6276 Depth 4
                                        ;         Child Loop BB2_6304 Depth 4
	;; [unrolled: 1-line block ×4, first 2 shown]
                                        ;           Child Loop BB2_6347 Depth 5
                                        ;         Child Loop BB2_6353 Depth 4
                                        ;           Child Loop BB2_6354 Depth 5
                                        ;         Child Loop BB2_6361 Depth 4
                                        ;         Child Loop BB2_6366 Depth 4
                                        ;           Child Loop BB2_6367 Depth 5
                                        ;         Child Loop BB2_6379 Depth 4
                                        ;         Child Loop BB2_6384 Depth 4
	;; [unrolled: 1-line block ×6, first 2 shown]
                                        ;       Child Loop BB2_6446 Depth 3
                                        ;         Child Loop BB2_6452 Depth 4
                                        ;         Child Loop BB2_6480 Depth 4
	;; [unrolled: 1-line block ×3, first 2 shown]
                                        ;     Child Loop BB2_6525 Depth 2
                                        ;       Child Loop BB2_6533 Depth 3
                                        ;       Child Loop BB2_6557 Depth 3
	;; [unrolled: 1-line block ×9, first 2 shown]
                                        ;     Child Loop BB2_6663 Depth 2
                                        ;       Child Loop BB2_6669 Depth 3
                                        ;       Child Loop BB2_6693 Depth 3
	;; [unrolled: 1-line block ×3, first 2 shown]
	v_sub_co_u32_e32 v6, vcc, v6, v3
	v_subb_co_u32_e32 v7, vcc, v7, v4, vcc
	buffer_store_dword v6, off, s[0:3], s33 offset:164 ; 4-byte Folded Spill
	s_nop 0
	buffer_store_dword v7, off, s[0:3], s33 offset:168 ; 4-byte Folded Spill
	v_cmp_lt_i64_e32 vcc, v[6:7], v[10:11]
	s_mov_b64 s[28:29], exec
	v_mov_b32_e32 v15, v4
	s_and_b64 s[26:27], s[28:29], vcc
	v_mov_b32_e32 v14, v3
	s_mov_b64 exec, s[26:27]
	s_cbranch_execz .LBB2_53
; %bb.48:                               ;   in Loop: Header=BB2_47 Depth=1
	buffer_load_dword v6, off, s[0:3], s33 offset:164 ; 4-byte Folded Reload
	buffer_load_dword v7, off, s[0:3], s33 offset:168 ; 4-byte Folded Reload
	v_mov_b32_e32 v3, s71
	s_waitcnt vmcnt(0)
	v_add_co_u32_e32 v1, vcc, s8, v6
	s_waitcnt vmcnt(0)
	v_addc_co_u32_e32 v6, vcc, v3, v7, vcc
	v_or_b32_e32 v8, s69, v6
	v_mov_b32_e32 v7, v35
	v_cmp_ne_u64_e32 vcc, 0, v[7:8]
                                        ; implicit-def: $vgpr8_vgpr9
	s_and_saveexec_b64 s[26:27], vcc
	s_xor_b64 s[40:41], exec, s[26:27]
	s_cbranch_execz .LBB2_50
; %bb.49:                               ;   in Loop: Header=BB2_47 Depth=1
	s_ashr_i32 s42, s69, 31
	s_add_u32 s26, s68, s42
	s_mov_b32 s43, s42
	s_addc_u32 s27, s69, s42
	s_xor_b64 s[44:45], s[26:27], s[42:43]
	v_cvt_f32_u32_e32 v3, s44
	v_cvt_f32_u32_e32 v4, s45
	s_sub_u32 s9, 0, s44
	s_subb_u32 s43, 0, s45
	v_mac_f32_e32 v3, 0x4f800000, v4
	v_rcp_f32_e32 v3, v3
	v_mul_f32_e32 v3, 0x5f7ffffc, v3
	v_mul_f32_e32 v4, 0x2f800000, v3
	v_trunc_f32_e32 v4, v4
	v_mac_f32_e32 v3, 0xcf800000, v4
	v_cvt_u32_f32_e32 v4, v4
	v_cvt_u32_f32_e32 v3, v3
	v_readfirstlane_b32 s46, v4
	v_readfirstlane_b32 s26, v3
	s_mul_i32 s27, s9, s46
	s_mul_hi_u32 s57, s9, s26
	s_mul_i32 s47, s43, s26
	s_add_i32 s27, s57, s27
	s_add_i32 s27, s27, s47
	s_mul_i32 vcc_lo, s9, s26
	s_mul_i32 s57, s26, s27
	s_mul_hi_u32 vcc_hi, s26, vcc_lo
	s_mul_hi_u32 s47, s26, s27
	s_add_u32 s57, vcc_hi, s57
	s_addc_u32 s47, 0, s47
	s_mul_hi_u32 s30, s46, vcc_lo
	s_mul_i32 vcc_lo, s46, vcc_lo
	s_add_u32 s57, s57, vcc_lo
	s_mul_hi_u32 vcc_hi, s46, s27
	s_addc_u32 s47, s47, s30
	s_addc_u32 s57, vcc_hi, 0
	s_mul_i32 s27, s46, s27
	s_add_u32 s27, s47, s27
	s_addc_u32 s47, 0, s57
	s_add_u32 s57, s26, s27
	s_cselect_b64 s[26:27], -1, 0
	s_cmp_lg_u64 s[26:27], 0
	s_addc_u32 s46, s46, s47
	s_mul_i32 s26, s9, s46
	s_mul_hi_u32 s27, s9, s57
	s_add_i32 s26, s27, s26
	s_mul_i32 s43, s43, s57
	s_add_i32 s26, s26, s43
	s_mul_i32 s9, s9, s57
	s_mul_hi_u32 s43, s46, s9
	s_mul_i32 s47, s46, s9
	s_mul_i32 vcc_hi, s57, s26
	s_mul_hi_u32 s9, s57, s9
	s_mul_hi_u32 vcc_lo, s57, s26
	s_add_u32 s9, s9, vcc_hi
	s_addc_u32 vcc_lo, 0, vcc_lo
	s_add_u32 s9, s9, s47
	s_mul_hi_u32 s27, s46, s26
	s_addc_u32 s9, vcc_lo, s43
	s_addc_u32 s27, s27, 0
	s_mul_i32 s26, s46, s26
	s_add_u32 s9, s9, s26
	s_addc_u32 s43, 0, s27
	s_add_u32 s9, s57, s9
	s_cselect_b64 s[26:27], -1, 0
	v_ashrrev_i32_e32 v3, 31, v6
	s_cmp_lg_u64 s[26:27], 0
	v_add_co_u32_e32 v1, vcc, v1, v3
	s_addc_u32 s43, s46, s43
	v_xor_b32_e32 v1, v1, v3
	v_addc_co_u32_e32 v4, vcc, v6, v3, vcc
	v_mad_u64_u32 v[6:7], s[26:27], v1, s43, 0
	v_mul_hi_u32 v8, v1, s9
	v_xor_b32_e32 v4, v4, v3
	v_xor_b32_e32 v3, s42, v3
	v_add_co_u32_e32 v10, vcc, v8, v6
	v_addc_co_u32_e32 v11, vcc, 0, v7, vcc
	v_mad_u64_u32 v[6:7], s[26:27], v4, s9, 0
	v_mad_u64_u32 v[8:9], s[26:27], v4, s43, 0
	v_add_co_u32_e32 v6, vcc, v10, v6
	v_addc_co_u32_e32 v6, vcc, v11, v7, vcc
	v_addc_co_u32_e32 v7, vcc, 0, v9, vcc
	v_add_co_u32_e32 v8, vcc, v6, v8
	v_addc_co_u32_e32 v9, vcc, 0, v7, vcc
	v_mul_lo_u32 v10, s45, v8
	v_mul_lo_u32 v11, s44, v9
	v_mad_u64_u32 v[6:7], s[26:27], s44, v8, 0
	v_add3_u32 v7, v7, v11, v10
	v_sub_u32_e32 v10, v4, v7
	v_mov_b32_e32 v11, s45
	v_sub_co_u32_e32 v1, vcc, v1, v6
	v_subb_co_u32_e64 v6, s[26:27], v10, v11, vcc
	v_subrev_co_u32_e64 v10, s[26:27], s44, v1
	v_subbrev_co_u32_e64 v6, s[26:27], 0, v6, s[26:27]
	v_cmp_le_u32_e64 s[26:27], s45, v6
	v_cndmask_b32_e64 v11, 0, -1, s[26:27]
	v_cmp_le_u32_e64 s[26:27], s44, v10
	v_cndmask_b32_e64 v10, 0, -1, s[26:27]
	v_cmp_eq_u32_e64 s[26:27], s45, v6
	v_cndmask_b32_e64 v6, v11, v10, s[26:27]
	v_add_co_u32_e64 v10, s[26:27], 2, v8
	v_subb_co_u32_e32 v4, vcc, v4, v7, vcc
	v_addc_co_u32_e64 v11, s[26:27], 0, v9, s[26:27]
	v_cmp_le_u32_e32 vcc, s45, v4
	v_add_co_u32_e64 v12, s[26:27], 1, v8
	v_cndmask_b32_e64 v7, 0, -1, vcc
	v_cmp_le_u32_e32 vcc, s44, v1
	v_addc_co_u32_e64 v13, s[26:27], 0, v9, s[26:27]
	v_cndmask_b32_e64 v1, 0, -1, vcc
	v_cmp_eq_u32_e32 vcc, s45, v4
	v_cmp_ne_u32_e64 s[26:27], 0, v6
	v_cndmask_b32_e32 v1, v7, v1, vcc
	v_cmp_ne_u32_e32 vcc, 0, v1
	v_cndmask_b32_e64 v4, v12, v10, s[26:27]
	v_cndmask_b32_e64 v6, v13, v11, s[26:27]
	v_cndmask_b32_e32 v4, v8, v4, vcc
	v_cndmask_b32_e32 v1, v9, v6, vcc
	v_xor_b32_e32 v4, v4, v3
	v_xor_b32_e32 v1, v1, v3
	v_sub_co_u32_e32 v8, vcc, v4, v3
	v_subb_co_u32_e32 v9, vcc, v1, v3, vcc
                                        ; implicit-def: $vgpr1
.LBB2_50:                               ;   in Loop: Header=BB2_47 Depth=1
	s_andn2_saveexec_b64 s[40:41], s[40:41]
	s_cbranch_execz .LBB2_52
; %bb.51:                               ;   in Loop: Header=BB2_47 Depth=1
	v_cvt_f32_u32_e32 v3, s68
	s_sub_i32 s9, 0, s68
	v_rcp_iflag_f32_e32 v3, v3
	v_mul_f32_e32 v3, 0x4f7ffffe, v3
	v_cvt_u32_f32_e32 v3, v3
	v_mul_lo_u32 v4, s9, v3
	v_mul_hi_u32 v4, v3, v4
	v_add_u32_e32 v3, v3, v4
	v_mul_hi_u32 v3, v1, v3
	v_mul_lo_u32 v4, v3, s68
	v_sub_u32_e32 v1, v1, v4
	v_cmp_le_u32_e32 vcc, s68, v1
	v_subrev_u32_e32 v4, s68, v1
	v_cndmask_b32_e32 v1, v1, v4, vcc
	v_cmp_le_u32_e64 s[26:27], s68, v1
	v_add_u32_e32 v1, 1, v3
	v_cndmask_b32_e32 v1, v3, v1, vcc
	v_add_u32_e32 v3, 1, v1
	v_cndmask_b32_e64 v34, v1, v3, s[26:27]
	v_mov_b32_e32 v8, v34
	v_mov_b32_e32 v9, v35
.LBB2_52:                               ;   in Loop: Header=BB2_47 Depth=1
	s_or_b64 exec, exec, s[40:41]
	v_add_co_u32_e32 v1, vcc, 15, v8
	v_addc_co_u32_e32 v4, vcc, 0, v9, vcc
	v_and_b32_e32 v3, -16, v1
	buffer_store_dword v3, off, s[0:3], s33 offset:180 ; 4-byte Folded Spill
	s_nop 0
	buffer_store_dword v4, off, s[0:3], s33 offset:184 ; 4-byte Folded Spill
.LBB2_53:                               ;   in Loop: Header=BB2_47 Depth=1
	s_or_b64 exec, exec, s[28:29]
	buffer_load_dword v8, off, s[0:3], s33 offset:180 ; 4-byte Folded Reload
	buffer_load_dword v9, off, s[0:3], s33 offset:184 ; 4-byte Folded Reload
	s_waitcnt vmcnt(0)
	v_mul_lo_u32 v3, v8, s82
	s_waitcnt vmcnt(0)
	v_mul_lo_u32 v1, v9, s81
	v_mad_u64_u32 v[10:11], s[26:27], v8, s81, 0
	v_add3_u32 v11, v11, v3, v1
	buffer_load_dword v3, off, s[0:3], s33 offset:220 ; 4-byte Folded Reload
	buffer_load_dword v4, off, s[0:3], s33 offset:224 ; 4-byte Folded Reload
	s_waitcnt vmcnt(0)
	v_add_co_u32_e32 v1, vcc, v14, v3
	buffer_store_dword v1, off, s[0:3], s33 offset:132 ; 4-byte Folded Spill
	buffer_store_dword v14, off, s[0:3], s33 offset:204 ; 4-byte Folded Spill
	s_nop 0
	buffer_store_dword v15, off, s[0:3], s33 offset:208 ; 4-byte Folded Spill
	s_waitcnt vmcnt(3)
	v_addc_co_u32_e32 v1, vcc, v15, v4, vcc
	buffer_store_dword v1, off, s[0:3], s33 offset:136 ; 4-byte Folded Spill
	buffer_load_dword v3, off, s[0:3], s33 offset:164 ; 4-byte Folded Reload
	buffer_load_dword v4, off, s[0:3], s33 offset:168 ; 4-byte Folded Reload
	s_waitcnt vmcnt(0)
	v_sub_co_u32_e32 v6, vcc, v3, v10
	s_waitcnt vmcnt(0)
	v_subb_co_u32_e32 v7, vcc, v4, v11, vcc
	v_cmp_lt_i64_e32 vcc, v[8:9], v[6:7]
	v_mov_b32_e32 v7, 0
	v_cndmask_b32_e32 v3, v6, v8, vcc
	v_max_i32_e32 v1, 0, v3
	v_add_u32_e32 v4, 31, v1
	v_lshrrev_b32_e32 v4, 1, v4
	v_and_b32_e32 v4, 0x3ffffff0, v4
	v_cmp_lt_i32_e32 vcc, 0, v3
	v_max_i32_e32 v8, s83, v4
	s_and_b64 s[26:27], s[88:89], vcc
	v_mov_b32_e32 v6, 0
	s_and_saveexec_b64 s[28:29], s[26:27]
	s_cbranch_execz .LBB2_193
; %bb.54:                               ;   in Loop: Header=BB2_47 Depth=1
	s_mov_b32 s9, 1
	s_mov_b64 s[42:43], -1
	v_mov_b32_e32 v6, 0
	s_mov_b64 s[40:41], 0
	s_branch .LBB2_57
.LBB2_55:                               ;   in Loop: Header=BB2_57 Depth=2
	s_or_b64 exec, exec, s[44:45]
	v_add_co_u32_e32 v50, vcc, 2, v50
	v_addc_co_u32_e32 v51, vcc, 0, v51, vcc
	flat_store_dwordx2 v[22:23], v[50:51]
.LBB2_56:                               ;   in Loop: Header=BB2_57 Depth=2
	s_or_b64 exec, exec, s[26:27]
	v_add_u32_e32 v6, v8, v6
	v_cmp_ge_i32_e32 vcc, v6, v1
	s_xor_b64 s[26:27], s[42:43], -1
	s_or_b64 s[26:27], s[26:27], vcc
	s_and_b64 s[26:27], exec, s[26:27]
	s_or_b64 s[40:41], s[26:27], s[40:41]
	s_mov_b64 s[42:43], 0
	v_mov_b32_e32 v7, s9
	s_mov_b32 s9, 2
	s_andn2_b64 exec, exec, s[40:41]
	s_cbranch_execz .LBB2_192
.LBB2_57:                               ;   Parent Loop BB2_47 Depth=1
                                        ; =>  This Loop Header: Depth=2
                                        ;       Child Loop BB2_65 Depth 3
                                        ;       Child Loop BB2_89 Depth 3
	;; [unrolled: 1-line block ×9, first 2 shown]
	s_and_saveexec_b64 s[26:27], s[4:5]
	s_cbranch_execz .LBB2_59
; %bb.58:                               ;   in Loop: Header=BB2_57 Depth=2
	s_trap 2
	buffer_load_dword v3, off, s[0:3], s33 offset:132 ; 4-byte Folded Reload
	buffer_load_dword v4, off, s[0:3], s33 offset:136 ; 4-byte Folded Reload
	ds_read_b64 v[12:13], v0
	v_ashrrev_i32_e32 v7, 31, v6
	v_mov_b32_e32 v34, v35
	ds_write_b64 v0, v[34:35]
	s_waitcnt vmcnt(0) lgkmcnt(0)
	v_add_co_u32_e32 v3, vcc, v12, v3
	s_waitcnt vmcnt(0)
	v_addc_co_u32_e32 v4, vcc, v13, v4, vcc
	v_add_co_u32_e32 v3, vcc, v3, v10
	v_addc_co_u32_e32 v4, vcc, v4, v11, vcc
	v_add_co_u32_e32 v12, vcc, v3, v6
	v_addc_co_u32_e32 v13, vcc, v4, v7, vcc
	ds_write_b64 v0, v[12:13]
.LBB2_59:                               ;   in Loop: Header=BB2_57 Depth=2
	s_or_b64 exec, exec, s[26:27]
	v_sub_u32_e32 v3, v1, v6
	v_min_i32_e32 v8, v8, v3
	v_and_b32_e32 v3, 8, v20
	v_cmp_ne_u32_e32 vcc, 0, v3
	s_and_saveexec_b64 s[44:45], vcc
	s_cbranch_execz .LBB2_81
; %bb.60:                               ;   in Loop: Header=BB2_57 Depth=2
	s_waitcnt lgkmcnt(0)
	v_add_co_u32_e32 v14, vcc, 8, v28
	v_addc_co_u32_e32 v15, vcc, 0, v29, vcc
	v_add_co_u32_e32 v12, vcc, 2, v50
	v_addc_co_u32_e32 v13, vcc, 0, v51, vcc
	v_cmp_lt_u64_e32 vcc, v[14:15], v[12:13]
	s_and_saveexec_b64 s[46:47], vcc
	s_cbranch_execz .LBB2_72
; %bb.61:                               ;   in Loop: Header=BB2_57 Depth=2
	v_and_b32_e32 v3, 64, v20
	s_mov_b32 s57, 0
	v_cmp_eq_u32_e32 vcc, 0, v3
	s_mov_b64 s[30:31], 0
                                        ; implicit-def: $sgpr34_sgpr35
                                        ; implicit-def: $sgpr36_sgpr37
                                        ; implicit-def: $sgpr38_sgpr39
	s_branch .LBB2_65
.LBB2_62:                               ;   in Loop: Header=BB2_65 Depth=3
	s_waitcnt vmcnt(0) lgkmcnt(0)
	v_add_co_u32_e64 v14, s[26:27], 8, v28
	v_addc_co_u32_e64 v15, s[26:27], 0, v29, s[26:27]
	v_cmp_ge_u64_e64 s[26:27], v[14:15], v[12:13]
	s_or_b64 s[52:53], s[52:53], exec
	s_orn2_b64 s[50:51], s[26:27], exec
.LBB2_63:                               ;   in Loop: Header=BB2_65 Depth=3
	s_or_b64 exec, exec, s[64:65]
	s_andn2_b64 s[26:27], s[38:39], exec
	s_and_b64 s[38:39], s[52:53], exec
	s_or_b64 s[38:39], s[26:27], s[38:39]
	s_andn2_b64 s[26:27], s[36:37], exec
	s_and_b64 s[36:37], s[50:51], exec
	s_or_b64 s[36:37], s[26:27], s[36:37]
.LBB2_64:                               ;   in Loop: Header=BB2_65 Depth=3
	s_or_b64 exec, exec, s[48:49]
	s_and_b64 s[26:27], exec, s[36:37]
	s_or_b64 s[30:31], s[26:27], s[30:31]
	s_andn2_b64 s[26:27], s[34:35], exec
	s_and_b64 s[34:35], s[38:39], exec
	s_or_b64 s[34:35], s[26:27], s[34:35]
	s_andn2_b64 exec, exec, s[30:31]
	s_cbranch_execz .LBB2_69
.LBB2_65:                               ;   Parent Loop BB2_47 Depth=1
                                        ;     Parent Loop BB2_57 Depth=2
                                        ; =>    This Inner Loop Header: Depth=3
	s_sleep 1
	s_waitcnt vmcnt(0) lgkmcnt(0)
	flat_load_dwordx2 v[28:29], v[22:23] glc
	s_or_b64 s[38:39], s[38:39], exec
	s_or_b64 s[36:37], s[36:37], exec
                                        ; implicit-def: $vgpr7
	s_and_saveexec_b64 s[48:49], vcc
	s_cbranch_execz .LBB2_64
; %bb.66:                               ;   in Loop: Header=BB2_65 Depth=3
	s_cmpk_lt_i32 s57, 0x270f
	s_cselect_b64 s[54:55], -1, 0
	s_cmpk_gt_i32 s57, 0x270e
	s_mov_b64 s[50:51], -1
	s_cbranch_scc0 .LBB2_68
; %bb.67:                               ;   in Loop: Header=BB2_65 Depth=3
	s_trap 2
	ds_read_b64 v[14:15], v0
	s_andn2_b64 s[54:55], s[54:55], exec
	s_mov_b32 s57, 0
	s_mov_b64 s[52:53], 0
	s_waitcnt vmcnt(0) lgkmcnt(0)
	flat_load_dword v7, v[14:15] glc
	s_waitcnt vmcnt(0) lgkmcnt(0)
	buffer_wbinvl1_vol
	v_cmp_eq_u32_e64 s[26:27], 0, v7
	s_and_b64 s[26:27], s[26:27], exec
	s_or_b64 s[54:55], s[54:55], s[26:27]
	s_and_saveexec_b64 s[64:65], s[54:55]
	s_cbranch_execz .LBB2_63
	s_branch .LBB2_62
.LBB2_68:                               ;   in Loop: Header=BB2_65 Depth=3
	s_add_i32 s57, s57, 1
	s_mov_b64 s[52:53], -1
                                        ; implicit-def: $vgpr7
	s_and_saveexec_b64 s[64:65], s[54:55]
	s_cbranch_execz .LBB2_63
	s_branch .LBB2_62
.LBB2_69:                               ;   in Loop: Header=BB2_57 Depth=2
	s_or_b64 exec, exec, s[30:31]
	s_xor_b64 s[26:27], s[34:35], -1
	s_and_saveexec_b64 vcc, s[26:27]
	s_xor_b64 s[26:27], exec, vcc
	s_cbranch_execz .LBB2_71
; %bb.70:                               ;   in Loop: Header=BB2_57 Depth=2
	v_or_b32_e32 v20, 64, v20
	s_waitcnt lgkmcnt(0)
	ds_write_b32 v0, v7
	s_trap 2
.LBB2_71:                               ;   in Loop: Header=BB2_57 Depth=2
	s_or_b64 exec, exec, s[26:27]
.LBB2_72:                               ;   in Loop: Header=BB2_57 Depth=2
	s_or_b64 exec, exec, s[46:47]
	v_and_b32_e32 v3, 0x100, v20
	v_cmp_ne_u32_e32 vcc, 0, v3
	v_and_b32_e32 v7, 7, v50
	s_mov_b64 s[26:27], -1
	;;#ASMSTART
	s_wakeup
	;;#ASMEND
                                        ; implicit-def: $vgpr14_vgpr15
	s_and_saveexec_b64 s[46:47], vcc
	s_cbranch_execz .LBB2_76
; %bb.73:                               ;   in Loop: Header=BB2_57 Depth=2
	buffer_load_dword v24, off, s[0:3], s33 offset:80 ; 4-byte Folded Reload
	buffer_load_dword v25, off, s[0:3], s33 offset:84 ; 4-byte Folded Reload
	;; [unrolled: 1-line block ×4, first 2 shown]
	v_ashrrev_i32_e32 v9, 31, v8
                                        ; implicit-def: $vgpr14_vgpr15
	s_waitcnt vmcnt(0)
	v_mad_u64_u32 v[18:19], s[26:27], v7, 24, v[24:25]
	flat_load_dword v3, v[18:19]
	s_nop 0
	flat_store_dwordx2 v[18:19], v[8:9] offset:8
	s_waitcnt vmcnt(0) lgkmcnt(0)
	v_cmp_ne_u32_e32 vcc, 1, v3
	v_cmp_eq_u32_e64 s[26:27], 1, v3
	s_and_saveexec_b64 s[30:31], s[26:27]
	s_cbranch_execz .LBB2_75
; %bb.74:                               ;   in Loop: Header=BB2_57 Depth=2
	flat_load_dword v14, v[18:19] offset:4 glc
	s_waitcnt vmcnt(0) lgkmcnt(0)
	v_ashrrev_i32_e32 v15, 31, v14
.LBB2_75:                               ;   in Loop: Header=BB2_57 Depth=2
	s_or_b64 exec, exec, s[30:31]
	buffer_load_dword v26, off, s[0:3], s33 offset:56 ; 4-byte Folded Reload
	s_orn2_b64 s[26:27], vcc, exec
.LBB2_76:                               ;   in Loop: Header=BB2_57 Depth=2
	s_or_b64 exec, exec, s[46:47]
	s_and_saveexec_b64 s[46:47], s[26:27]
	s_cbranch_execz .LBB2_78
; %bb.77:                               ;   in Loop: Header=BB2_57 Depth=2
	buffer_load_dword v3, off, s[0:3], s33 offset:104 ; 4-byte Folded Reload
	s_waitcnt vmcnt(0)
	v_mad_i64_i32 v[14:15], s[26:27], v7, v3, 0
.LBB2_78:                               ;   in Loop: Header=BB2_57 Depth=2
	s_or_b64 exec, exec, s[46:47]
	buffer_load_dword v3, off, s[0:3], s33 offset:72 ; 4-byte Folded Reload
	buffer_load_dword v4, off, s[0:3], s33 offset:76 ; 4-byte Folded Reload
	s_waitcnt vmcnt(0)
	v_add_co_u32_e32 v14, vcc, v3, v14
	v_addc_co_u32_e32 v15, vcc, v4, v15, vcc
	v_and_b32_e32 v3, 0x2000, v20
	v_cmp_ne_u32_e32 vcc, 0, v3
	ds_write_b64 v0, v[14:15] offset:784
	s_and_saveexec_b64 s[26:27], vcc
	s_cbranch_execz .LBB2_80
; %bb.79:                               ;   in Loop: Header=BB2_57 Depth=2
	ds_read_b64 v[14:15], v0 offset:872
	s_waitcnt lgkmcnt(0)
	v_add_co_u32_e32 v14, vcc, 1, v14
	v_addc_co_u32_e32 v15, vcc, 0, v15, vcc
	ds_write_b64 v0, v[14:15] offset:872
.LBB2_80:                               ;   in Loop: Header=BB2_57 Depth=2
	s_or_b64 exec, exec, s[26:27]
	v_mov_b32_e32 v51, v13
	v_mov_b32_e32 v50, v12
.LBB2_81:                               ;   in Loop: Header=BB2_57 Depth=2
	s_or_b64 exec, exec, s[44:45]
	s_and_saveexec_b64 s[26:27], s[12:13]
	s_cbranch_execz .LBB2_100
; %bb.82:                               ;   in Loop: Header=BB2_57 Depth=2
	s_and_saveexec_b64 s[44:45], s[72:73]
	s_xor_b64 s[44:45], exec, s[44:45]
	s_cbranch_execz .LBB2_97
; %bb.83:                               ;   in Loop: Header=BB2_57 Depth=2
	s_and_saveexec_b64 s[46:47], s[6:7]
	s_cbranch_execz .LBB2_96
; %bb.84:                               ;   in Loop: Header=BB2_57 Depth=2
	s_mov_b64 s[34:35], exec
	v_mbcnt_lo_u32_b32 v3, s34, 0
	v_mbcnt_hi_u32_b32 v3, s35, v3
	v_cmp_eq_u32_e32 vcc, 0, v3
	s_waitcnt vmcnt(0) lgkmcnt(0)
	buffer_wbinvl1_vol
	s_and_saveexec_b64 s[30:31], vcc
	s_cbranch_execz .LBB2_86
; %bb.85:                               ;   in Loop: Header=BB2_57 Depth=2
	s_bcnt1_i32_b64 s57, s[34:35]
	v_mov_b32_e32 v34, s57
	ds_add_u64 v0, v[34:35]
	s_trap 2
.LBB2_86:                               ;   in Loop: Header=BB2_57 Depth=2
	s_or_b64 exec, exec, s[30:31]
	s_trap 2
	ds_read_b64 v[12:13], v0
	s_waitcnt lgkmcnt(0)
	v_add_co_u32_e32 v32, vcc, v32, v17
	v_addc_co_u32_e32 v33, vcc, 0, v33, vcc
	v_cmp_lt_u64_e32 vcc, v[12:13], v[32:33]
	s_and_saveexec_b64 s[30:31], vcc
	s_cbranch_execz .LBB2_95
; %bb.87:                               ;   in Loop: Header=BB2_57 Depth=2
	s_mov_b32 s57, 0
	s_mov_b64 s[34:35], 0
                                        ; implicit-def: $sgpr36_sgpr37
                                        ; implicit-def: $sgpr38_sgpr39
	s_branch .LBB2_89
.LBB2_88:                               ;   in Loop: Header=BB2_89 Depth=3
	s_or_b64 exec, exec, s[50:51]
	s_and_b64 vcc, exec, vcc
	s_or_b64 s[34:35], vcc, s[34:35]
	s_andn2_b64 vcc, s[36:37], exec
	s_and_b64 s[36:37], s[38:39], exec
	s_or_b64 s[36:37], vcc, s[36:37]
	s_andn2_b64 exec, exec, s[34:35]
	s_cbranch_execz .LBB2_93
.LBB2_89:                               ;   Parent Loop BB2_47 Depth=1
                                        ;     Parent Loop BB2_57 Depth=2
                                        ; =>    This Inner Loop Header: Depth=3
	s_add_i32 s57, s57, 1
	s_cmpk_lg_i32 s57, 0x2710
	s_cselect_b64 s[48:49], -1, 0
	s_and_b64 vcc, exec, s[48:49]
	s_cbranch_vccz .LBB2_91
; %bb.90:                               ;   in Loop: Header=BB2_89 Depth=3
	s_mov_b64 vcc, -1
	s_or_b64 s[38:39], s[38:39], exec
	s_and_saveexec_b64 s[50:51], s[48:49]
	s_cbranch_execz .LBB2_88
	s_branch .LBB2_92
.LBB2_91:                               ;   in Loop: Header=BB2_89 Depth=3
	s_trap 2
	ds_read_b64 v[12:13], v0
	s_andn2_b64 s[48:49], s[48:49], exec
	s_mov_b32 s57, 0
	s_waitcnt lgkmcnt(0)
	flat_load_dword v3, v[12:13] glc
	s_waitcnt vmcnt(0) lgkmcnt(0)
	buffer_wbinvl1_vol
	v_cmp_eq_u32_e32 vcc, 0, v3
	s_and_b64 vcc, vcc, exec
	s_or_b64 s[48:49], s[48:49], vcc
	s_mov_b64 vcc, -1
	s_or_b64 s[38:39], s[38:39], exec
	s_and_saveexec_b64 s[50:51], s[48:49]
	s_cbranch_execz .LBB2_88
.LBB2_92:                               ;   in Loop: Header=BB2_89 Depth=3
	s_sleep 1
	s_trap 2
	ds_read_b64 v[12:13], v0
	s_waitcnt lgkmcnt(0)
	s_andn2_b64 s[38:39], s[38:39], exec
	v_cmp_ge_u64_e32 vcc, v[12:13], v[32:33]
	s_orn2_b64 vcc, vcc, exec
	s_branch .LBB2_88
.LBB2_93:                               ;   in Loop: Header=BB2_57 Depth=2
	s_or_b64 exec, exec, s[34:35]
	s_and_saveexec_b64 vcc, s[36:37]
	s_xor_b64 vcc, exec, vcc
	s_cbranch_execz .LBB2_95
; %bb.94:                               ;   in Loop: Header=BB2_57 Depth=2
	v_mov_b32_e32 v3, 1
	ds_write_b32 v0, v3
	s_trap 2
.LBB2_95:                               ;   in Loop: Header=BB2_57 Depth=2
	s_or_b64 exec, exec, s[30:31]
	;;#ASMSTART
	s_wakeup
	;;#ASMEND
.LBB2_96:                               ;   in Loop: Header=BB2_57 Depth=2
	s_or_b64 exec, exec, s[46:47]
.LBB2_97:                               ;   in Loop: Header=BB2_57 Depth=2
	s_andn2_saveexec_b64 s[44:45], s[44:45]
	s_cbranch_execz .LBB2_99
; %bb.98:                               ;   in Loop: Header=BB2_57 Depth=2
	s_waitcnt vmcnt(0) lgkmcnt(0)
	buffer_wbinvl1_vol
	s_barrier
.LBB2_99:                               ;   in Loop: Header=BB2_57 Depth=2
	s_or_b64 exec, exec, s[44:45]
.LBB2_100:                              ;   in Loop: Header=BB2_57 Depth=2
	s_or_b64 exec, exec, s[26:27]
	s_trap 2
	ds_read_b32 v7, v0
	v_and_b32_e32 v3, 0x4000, v20
	v_cmp_ne_u32_e32 vcc, 0, v3
	s_xor_b64 s[26:27], s[10:11], -1
	s_and_b64 s[44:45], s[26:27], vcc
	s_and_saveexec_b64 s[26:27], s[44:45]
	s_cbranch_execz .LBB2_119
; %bb.101:                              ;   in Loop: Header=BB2_57 Depth=2
	s_and_saveexec_b64 s[44:45], s[72:73]
	s_xor_b64 s[44:45], exec, s[44:45]
	s_cbranch_execz .LBB2_116
; %bb.102:                              ;   in Loop: Header=BB2_57 Depth=2
	s_and_saveexec_b64 s[46:47], s[6:7]
	s_cbranch_execz .LBB2_115
; %bb.103:                              ;   in Loop: Header=BB2_57 Depth=2
	s_mov_b64 s[34:35], exec
	v_mbcnt_lo_u32_b32 v3, s34, 0
	v_mbcnt_hi_u32_b32 v3, s35, v3
	v_cmp_eq_u32_e32 vcc, 0, v3
	s_waitcnt vmcnt(0) lgkmcnt(0)
	buffer_wbinvl1_vol
	s_and_saveexec_b64 s[30:31], vcc
	s_cbranch_execz .LBB2_105
; %bb.104:                              ;   in Loop: Header=BB2_57 Depth=2
	s_bcnt1_i32_b64 s57, s[34:35]
	v_mov_b32_e32 v34, s57
	ds_add_u64 v0, v[34:35]
	s_trap 2
.LBB2_105:                              ;   in Loop: Header=BB2_57 Depth=2
	s_or_b64 exec, exec, s[30:31]
	s_trap 2
	ds_read_b64 v[12:13], v0
	s_waitcnt lgkmcnt(0)
	v_add_co_u32_e32 v32, vcc, v32, v17
	v_addc_co_u32_e32 v33, vcc, 0, v33, vcc
	v_cmp_lt_u64_e32 vcc, v[12:13], v[32:33]
	s_and_saveexec_b64 s[30:31], vcc
	s_cbranch_execz .LBB2_114
; %bb.106:                              ;   in Loop: Header=BB2_57 Depth=2
	s_mov_b32 s57, 0
	s_mov_b64 s[34:35], 0
                                        ; implicit-def: $sgpr36_sgpr37
                                        ; implicit-def: $sgpr38_sgpr39
	s_branch .LBB2_108
.LBB2_107:                              ;   in Loop: Header=BB2_108 Depth=3
	s_or_b64 exec, exec, s[50:51]
	s_and_b64 vcc, exec, vcc
	s_or_b64 s[34:35], vcc, s[34:35]
	s_andn2_b64 vcc, s[36:37], exec
	s_and_b64 s[36:37], s[38:39], exec
	s_or_b64 s[36:37], vcc, s[36:37]
	s_andn2_b64 exec, exec, s[34:35]
	s_cbranch_execz .LBB2_112
.LBB2_108:                              ;   Parent Loop BB2_47 Depth=1
                                        ;     Parent Loop BB2_57 Depth=2
                                        ; =>    This Inner Loop Header: Depth=3
	s_add_i32 s57, s57, 1
	s_cmpk_lg_i32 s57, 0x2710
	s_cselect_b64 s[48:49], -1, 0
	s_and_b64 vcc, exec, s[48:49]
	s_cbranch_vccz .LBB2_110
; %bb.109:                              ;   in Loop: Header=BB2_108 Depth=3
	s_mov_b64 vcc, -1
	s_or_b64 s[38:39], s[38:39], exec
	s_and_saveexec_b64 s[50:51], s[48:49]
	s_cbranch_execz .LBB2_107
	s_branch .LBB2_111
.LBB2_110:                              ;   in Loop: Header=BB2_108 Depth=3
	s_trap 2
	ds_read_b64 v[12:13], v0
	s_andn2_b64 s[48:49], s[48:49], exec
	s_mov_b32 s57, 0
	s_waitcnt lgkmcnt(0)
	flat_load_dword v3, v[12:13] glc
	s_waitcnt vmcnt(0) lgkmcnt(0)
	buffer_wbinvl1_vol
	v_cmp_eq_u32_e32 vcc, 0, v3
	s_and_b64 vcc, vcc, exec
	s_or_b64 s[48:49], s[48:49], vcc
	s_mov_b64 vcc, -1
	s_or_b64 s[38:39], s[38:39], exec
	s_and_saveexec_b64 s[50:51], s[48:49]
	s_cbranch_execz .LBB2_107
.LBB2_111:                              ;   in Loop: Header=BB2_108 Depth=3
	s_sleep 1
	s_trap 2
	ds_read_b64 v[12:13], v0
	s_waitcnt lgkmcnt(0)
	s_andn2_b64 s[38:39], s[38:39], exec
	v_cmp_ge_u64_e32 vcc, v[12:13], v[32:33]
	s_orn2_b64 vcc, vcc, exec
	s_branch .LBB2_107
.LBB2_112:                              ;   in Loop: Header=BB2_57 Depth=2
	s_or_b64 exec, exec, s[34:35]
	s_and_saveexec_b64 vcc, s[36:37]
	s_xor_b64 vcc, exec, vcc
	s_cbranch_execz .LBB2_114
; %bb.113:                              ;   in Loop: Header=BB2_57 Depth=2
	v_mov_b32_e32 v3, 1
	ds_write_b32 v0, v3
	s_trap 2
.LBB2_114:                              ;   in Loop: Header=BB2_57 Depth=2
	s_or_b64 exec, exec, s[30:31]
	;;#ASMSTART
	s_wakeup
	;;#ASMEND
.LBB2_115:                              ;   in Loop: Header=BB2_57 Depth=2
	s_or_b64 exec, exec, s[46:47]
.LBB2_116:                              ;   in Loop: Header=BB2_57 Depth=2
	s_andn2_saveexec_b64 s[44:45], s[44:45]
	s_cbranch_execz .LBB2_118
; %bb.117:                              ;   in Loop: Header=BB2_57 Depth=2
	s_waitcnt vmcnt(0) lgkmcnt(0)
	buffer_wbinvl1_vol
	s_barrier
.LBB2_118:                              ;   in Loop: Header=BB2_57 Depth=2
	s_or_b64 exec, exec, s[44:45]
.LBB2_119:                              ;   in Loop: Header=BB2_57 Depth=2
	s_or_b64 exec, exec, s[26:27]
	s_trap 2
	ds_read_b64 v[12:13], v0
	s_waitcnt lgkmcnt(0)
	v_cmp_eq_u64_e32 vcc, 0, v[12:13]
	s_cbranch_vccnz .LBB2_127
; %bb.120:                              ;   in Loop: Header=BB2_57 Depth=2
	s_trap 2
	ds_read_b64 v[14:15], v0
	s_waitcnt lgkmcnt(0)
	v_cmp_eq_u64_e32 vcc, 0, v[14:15]
	s_cbranch_vccnz .LBB2_127
; %bb.121:                              ;   in Loop: Header=BB2_57 Depth=2
	s_mov_b64 s[26:27], -1
	s_and_saveexec_b64 s[44:45], s[14:15]
	s_cbranch_execz .LBB2_123
; %bb.122:                              ;   in Loop: Header=BB2_57 Depth=2
	ds_read_b32 v3, v0 offset:720
	s_waitcnt lgkmcnt(0)
	v_and_b32_e32 v3, 15, v3
	v_cmp_eq_u32_e32 vcc, 0, v3
	s_orn2_b64 s[26:27], vcc, exec
.LBB2_123:                              ;   in Loop: Header=BB2_57 Depth=2
	s_or_b64 exec, exec, s[44:45]
	s_and_saveexec_b64 s[44:45], s[16:17]
	s_cbranch_execz .LBB2_125
; %bb.124:                              ;   in Loop: Header=BB2_57 Depth=2
	ds_read_b32 v3, v0 offset:784
	s_waitcnt lgkmcnt(0)
	v_and_b32_e32 v3, 15, v3
	v_cmp_eq_u32_e32 vcc, 0, v3
	s_and_b64 s[46:47], s[26:27], vcc
	s_andn2_b64 s[26:27], s[26:27], exec
	s_and_b64 s[46:47], s[46:47], exec
	s_or_b64 s[26:27], s[26:27], s[46:47]
.LBB2_125:                              ;   in Loop: Header=BB2_57 Depth=2
	s_or_b64 exec, exec, s[44:45]
	buffer_load_dword v18, off, s[0:3], s33 offset:128 ; 4-byte Folded Reload
	v_cmp_eq_u32_e32 vcc, 0, v7
	s_xor_b64 s[26:27], s[26:27], -1
	v_cndmask_b32_e32 v7, 0, v8, vcc
	v_cndmask_b32_e64 v3, 0, 1, s[26:27]
	s_mov_b64 s[46:47], -1
	v_cmp_ne_u32_e32 vcc, 0, v3
	v_mov_b32_e32 v9, 0
	v_mov_b32_e32 v16, v7
	s_cbranch_vccz .LBB2_128
; %bb.126:                              ;   in Loop: Header=BB2_57 Depth=2
	s_and_saveexec_b64 s[26:27], s[46:47]
	s_cbranch_execnz .LBB2_139
	s_branch .LBB2_147
.LBB2_127:                              ;   in Loop: Header=BB2_57 Depth=2
	s_mov_b64 s[26:27], 0
	s_and_saveexec_b64 s[44:45], s[12:13]
	s_cbranch_execnz .LBB2_148
	s_branch .LBB2_166
.LBB2_128:                              ;   in Loop: Header=BB2_57 Depth=2
	v_ashrrev_i32_e32 v3, 31, v7
	v_lshrrev_b32_e32 v3, 21, v3
	v_add_u32_e32 v3, v7, v3
	v_ashrrev_i32_e32 v9, 11, v3
	buffer_load_dword v3, off, s[0:3], s33 offset:144 ; 4-byte Folded Reload
	s_waitcnt vmcnt(0)
	v_sub_u32_e32 v21, v9, v3
	v_cmp_lt_i32_e32 vcc, 0, v21
	s_and_saveexec_b64 s[26:27], vcc
	s_cbranch_execz .LBB2_132
; %bb.129:                              ;   in Loop: Header=BB2_57 Depth=2
	buffer_load_dword v54, off, s[0:3], s33 offset:196 ; 4-byte Folded Reload
	buffer_load_dword v55, off, s[0:3], s33 offset:200 ; 4-byte Folded Reload
	s_mov_b64 s[44:45], 0
	v_lshlrev_b32_e32 v3, 11, v17
.LBB2_130:                              ;   Parent Loop BB2_47 Depth=1
                                        ;     Parent Loop BB2_57 Depth=2
                                        ; =>    This Inner Loop Header: Depth=3
	s_waitcnt vmcnt(1)
	v_add_co_u32_e32 v18, vcc, v12, v54
	s_waitcnt vmcnt(0)
	v_addc_co_u32_e32 v19, vcc, v13, v55, vcc
	global_load_dwordx4 v[24:27], v[18:19], off glc slc
	global_load_dwordx4 v[36:39], v[18:19], off offset:1024 glc slc
	v_add_co_u32_e32 v18, vcc, v14, v54
	v_addc_co_u32_e32 v19, vcc, v15, v55, vcc
	v_add_co_u32_e32 v54, vcc, v54, v3
	v_sub_u32_e32 v21, v21, v17
	v_addc_co_u32_e32 v55, vcc, 0, v55, vcc
	v_cmp_gt_i32_e32 vcc, 1, v21
	s_or_b64 s[44:45], vcc, s[44:45]
	s_waitcnt vmcnt(1)
	global_store_dwordx4 v[18:19], v[24:27], off glc slc
	s_waitcnt vmcnt(1)
	global_store_dwordx4 v[18:19], v[36:39], off offset:1024 glc slc
	s_andn2_b64 exec, exec, s[44:45]
	s_cbranch_execnz .LBB2_130
; %bb.131:                              ;   in Loop: Header=BB2_57 Depth=2
	s_or_b64 exec, exec, s[44:45]
	buffer_load_dword v26, off, s[0:3], s33 offset:56 ; 4-byte Folded Reload
.LBB2_132:                              ;   in Loop: Header=BB2_57 Depth=2
	s_or_b64 exec, exec, s[26:27]
	v_lshlrev_b32_e32 v19, 11, v9
	v_cmp_ne_u32_e32 vcc, v7, v19
	s_mov_b64 s[46:47], 0
	v_mov_b32_e32 v9, 0
                                        ; implicit-def: $vgpr16
                                        ; implicit-def: $vgpr18
	s_and_saveexec_b64 s[44:45], vcc
	s_cbranch_execz .LBB2_138
; %bb.133:                              ;   in Loop: Header=BB2_57 Depth=2
	buffer_load_dword v9, off, s[0:3], s33 offset:148 ; 4-byte Folded Reload
	v_lshlrev_b32_e32 v4, 6, v21
	v_sub_u32_e32 v3, v7, v19
	s_waitcnt vmcnt(0)
	v_sub_u32_e32 v4, v9, v4
	v_ashrrev_i32_e32 v9, 31, v4
	v_lshrrev_b32_e32 v9, 26, v9
	v_add_u32_e32 v9, v4, v9
	v_ashrrev_i32_e32 v21, 6, v9
	v_and_b32_e32 v9, 0xffffffc0, v9
	v_sub_u32_e32 v18, v4, v9
	v_lshlrev_b32_e32 v4, 4, v18
	v_lshl_add_u32 v25, v21, 10, v4
	v_ashrrev_i32_e32 v4, 31, v3
	v_lshrrev_b32_e32 v4, 22, v4
	v_add_u32_e32 v4, v3, v4
	v_and_b32_e32 v9, 0xfffffc00, v4
	v_sub_u32_e32 v16, v3, v9
	v_ashrrev_i32_e32 v26, 10, v4
	v_cmp_lt_i32_e32 vcc, 15, v16
	v_sub_u32_e32 v24, v3, v25
	v_addc_co_u32_e64 v3, s[26:27], 0, v26, vcc
	v_sub_u32_e32 v21, v3, v21
	v_cmp_lt_i32_e64 s[26:27], 15, v24
	s_and_saveexec_b64 s[46:47], s[26:27]
	s_cbranch_execz .LBB2_137
; %bb.134:                              ;   in Loop: Header=BB2_57 Depth=2
	v_add_u32_e32 v25, v25, v19
	v_ashrrev_i32_e32 v26, 31, v25
	s_mov_b64 s[30:31], 0
.LBB2_135:                              ;   Parent Loop BB2_47 Depth=1
                                        ;     Parent Loop BB2_57 Depth=2
                                        ; =>    This Inner Loop Header: Depth=3
	v_add_co_u32_e64 v30, s[26:27], v12, v25
	v_addc_co_u32_e64 v31, s[26:27], v13, v26, s[26:27]
	global_load_dwordx4 v[36:39], v[30:31], off glc slc
	v_add_co_u32_e64 v30, s[26:27], v14, v25
	v_addc_co_u32_e64 v31, s[26:27], v15, v26, s[26:27]
	v_add_co_u32_e64 v25, s[26:27], v25, v5
	v_sub_u32_e32 v24, v24, v5
	v_addc_co_u32_e64 v26, s[26:27], 0, v26, s[26:27]
	v_cmp_gt_i32_e64 s[26:27], 16, v24
	v_sub_u32_e32 v21, v21, v17
	s_or_b64 s[30:31], s[26:27], s[30:31]
	s_waitcnt vmcnt(0)
	global_store_dwordx4 v[30:31], v[36:39], off glc slc
	s_andn2_b64 exec, exec, s[30:31]
	s_cbranch_execnz .LBB2_135
; %bb.136:                              ;   in Loop: Header=BB2_57 Depth=2
	s_or_b64 exec, exec, s[30:31]
.LBB2_137:                              ;   in Loop: Header=BB2_57 Depth=2
	s_or_b64 exec, exec, s[46:47]
	buffer_load_dword v26, off, s[0:3], s33 offset:56 ; 4-byte Folded Reload
	v_and_b32_e32 v3, 15, v7
	v_sub_u32_e32 v4, v16, v3
	v_cndmask_b32_e32 v4, 0, v4, vcc
	v_cndmask_b32_e32 v16, v16, v3, vcc
	v_cmp_lt_i32_e32 vcc, 0, v21
	v_cndmask_b32_e32 v3, 0, v17, vcc
	v_sub_u32_e32 v3, v3, v21
	v_cmp_ne_u32_e32 vcc, 0, v16
	v_add3_u32 v9, v9, v19, v4
	v_lshl_add_u32 v18, v3, 6, v18
	s_and_b64 s[46:47], vcc, exec
.LBB2_138:                              ;   in Loop: Header=BB2_57 Depth=2
	s_or_b64 exec, exec, s[44:45]
	s_and_saveexec_b64 s[26:27], s[46:47]
	s_cbranch_execz .LBB2_147
.LBB2_139:                              ;   in Loop: Header=BB2_57 Depth=2
	s_waitcnt vmcnt(0)
	v_ashrrev_i32_e32 v3, 31, v18
	v_lshrrev_b32_e32 v3, 26, v3
	v_add_u32_e32 v25, v18, v3
	v_ashrrev_i32_e32 v3, 31, v16
	v_lshrrev_b32_e32 v3, 23, v3
	v_add_u32_e32 v3, v16, v3
	v_ashrrev_i32_e32 v19, 6, v25
	v_ashrrev_i32_e32 v24, 9, v3
	v_sub_u32_e32 v21, v24, v19
	v_cmp_lt_i32_e32 vcc, 0, v21
	s_and_saveexec_b64 s[44:45], vcc
	s_cbranch_execz .LBB2_143
; %bb.140:                              ;   in Loop: Header=BB2_57 Depth=2
	v_and_b32_e32 v3, 0xffffffc0, v25
	v_sub_u32_e32 v3, v18, v3
	v_lshlrev_b32_e32 v4, 9, v19
	v_add3_u32 v25, v9, v3, v4
	v_ashrrev_i32_e32 v26, 31, v25
	s_mov_b64 s[46:47], 0
.LBB2_141:                              ;   Parent Loop BB2_47 Depth=1
                                        ;     Parent Loop BB2_57 Depth=2
                                        ; =>    This Inner Loop Header: Depth=3
	v_add_co_u32_e32 v30, vcc, v25, v12
	v_addc_co_u32_e32 v31, vcc, v26, v13, vcc
	flat_load_ubyte v3, v[30:31] glc slc
	flat_load_ubyte v4, v[30:31] offset:64 glc slc
	flat_load_ubyte v27, v[30:31] offset:128 glc slc
	;; [unrolled: 1-line block ×7, first 2 shown]
	v_add_co_u32_e32 v30, vcc, v25, v14
	v_addc_co_u32_e32 v31, vcc, v26, v15, vcc
	v_add_co_u32_e32 v12, vcc, v12, v2
	v_addc_co_u32_e32 v13, vcc, 0, v13, vcc
	v_add_co_u32_e32 v14, vcc, v14, v2
	v_sub_u32_e32 v21, v21, v17
	v_addc_co_u32_e32 v15, vcc, 0, v15, vcc
	v_cmp_gt_i32_e32 vcc, 1, v21
	s_or_b64 s[46:47], vcc, s[46:47]
	s_waitcnt vmcnt(0) lgkmcnt(0)
	flat_store_byte v[30:31], v3 glc slc
	flat_store_byte v[30:31], v4 offset:64 glc slc
	flat_store_byte v[30:31], v27 offset:128 glc slc
	;; [unrolled: 1-line block ×7, first 2 shown]
	s_andn2_b64 exec, exec, s[46:47]
	s_cbranch_execnz .LBB2_141
; %bb.142:                              ;   in Loop: Header=BB2_57 Depth=2
	s_or_b64 exec, exec, s[46:47]
	buffer_load_dword v26, off, s[0:3], s33 offset:56 ; 4-byte Folded Reload
.LBB2_143:                              ;   in Loop: Header=BB2_57 Depth=2
	s_or_b64 exec, exec, s[44:45]
	v_lshlrev_b32_e32 v12, 9, v24
	v_cmp_ne_u32_e32 vcc, v16, v12
	s_and_b64 exec, exec, vcc
	s_cbranch_execz .LBB2_147
; %bb.144:                              ;   in Loop: Header=BB2_57 Depth=2
	v_lshlrev_b32_e32 v3, 6, v19
	v_sub_u32_e32 v3, v18, v3
	v_lshlrev_b32_e32 v4, 6, v21
	v_sub_u32_e32 v3, v3, v4
	v_add_u32_e32 v12, v12, v3
	v_sub_u32_e32 v14, v16, v12
	v_cmp_lt_i32_e32 vcc, 0, v14
	s_and_b64 exec, exec, vcc
	s_cbranch_execz .LBB2_147
; %bb.145:                              ;   in Loop: Header=BB2_57 Depth=2
	v_add_u32_e32 v9, v12, v9
	s_trap 2
	ds_read_b64 v[12:13], v0
	v_ashrrev_i32_e32 v15, 31, v9
	s_mov_b64 s[44:45], 0
.LBB2_146:                              ;   Parent Loop BB2_47 Depth=1
                                        ;     Parent Loop BB2_57 Depth=2
                                        ; =>    This Inner Loop Header: Depth=3
	s_waitcnt lgkmcnt(0)
	v_add_co_u32_e32 v18, vcc, v12, v9
	v_addc_co_u32_e32 v19, vcc, v13, v15, vcc
	flat_load_ubyte v3, v[18:19] glc slc
	s_waitcnt vmcnt(0)
	v_add_co_u32_e32 v9, vcc, v9, v26
	v_sub_u32_e32 v14, v14, v26
	v_addc_co_u32_e32 v15, vcc, 0, v15, vcc
	v_cmp_gt_i32_e32 vcc, 1, v14
	s_or_b64 s[44:45], vcc, s[44:45]
	s_waitcnt lgkmcnt(0)
	flat_store_byte v[18:19], v3 glc slc
	s_andn2_b64 exec, exec, s[44:45]
	s_cbranch_execnz .LBB2_146
.LBB2_147:                              ;   in Loop: Header=BB2_57 Depth=2
	s_or_b64 exec, exec, s[26:27]
	v_cmp_lt_i32_e64 s[26:27], 0, v7
	s_and_saveexec_b64 s[44:45], s[12:13]
	s_cbranch_execz .LBB2_166
.LBB2_148:                              ;   in Loop: Header=BB2_57 Depth=2
	s_and_saveexec_b64 s[46:47], s[72:73]
	s_xor_b64 s[46:47], exec, s[46:47]
	s_cbranch_execz .LBB2_163
; %bb.149:                              ;   in Loop: Header=BB2_57 Depth=2
	s_and_saveexec_b64 s[30:31], s[6:7]
	s_cbranch_execz .LBB2_162
; %bb.150:                              ;   in Loop: Header=BB2_57 Depth=2
	s_mov_b64 s[36:37], exec
	v_mbcnt_lo_u32_b32 v3, s36, 0
	v_mbcnt_hi_u32_b32 v3, s37, v3
	v_cmp_eq_u32_e32 vcc, 0, v3
	s_waitcnt vmcnt(0) lgkmcnt(0)
	buffer_wbinvl1_vol
	s_and_saveexec_b64 s[34:35], vcc
	s_cbranch_execz .LBB2_152
; %bb.151:                              ;   in Loop: Header=BB2_57 Depth=2
	s_bcnt1_i32_b64 s57, s[36:37]
	v_mov_b32_e32 v34, s57
	ds_add_u64 v0, v[34:35]
	s_trap 2
.LBB2_152:                              ;   in Loop: Header=BB2_57 Depth=2
	s_or_b64 exec, exec, s[34:35]
	s_trap 2
	ds_read_b64 v[12:13], v0
	s_waitcnt lgkmcnt(0)
	v_add_co_u32_e32 v32, vcc, v32, v17
	v_addc_co_u32_e32 v33, vcc, 0, v33, vcc
	v_cmp_lt_u64_e32 vcc, v[12:13], v[32:33]
	s_and_saveexec_b64 s[34:35], vcc
	s_cbranch_execz .LBB2_161
; %bb.153:                              ;   in Loop: Header=BB2_57 Depth=2
	s_mov_b32 s57, 0
	s_mov_b64 s[36:37], 0
                                        ; implicit-def: $sgpr38_sgpr39
                                        ; implicit-def: $sgpr48_sgpr49
	s_branch .LBB2_155
.LBB2_154:                              ;   in Loop: Header=BB2_155 Depth=3
	s_or_b64 exec, exec, s[52:53]
	s_and_b64 vcc, exec, vcc
	s_or_b64 s[36:37], vcc, s[36:37]
	s_andn2_b64 vcc, s[38:39], exec
	s_and_b64 s[38:39], s[48:49], exec
	s_or_b64 s[38:39], vcc, s[38:39]
	s_andn2_b64 exec, exec, s[36:37]
	s_cbranch_execz .LBB2_159
.LBB2_155:                              ;   Parent Loop BB2_47 Depth=1
                                        ;     Parent Loop BB2_57 Depth=2
                                        ; =>    This Inner Loop Header: Depth=3
	s_add_i32 s57, s57, 1
	s_cmpk_lg_i32 s57, 0x2710
	s_cselect_b64 s[50:51], -1, 0
	s_and_b64 vcc, exec, s[50:51]
	s_cbranch_vccz .LBB2_157
; %bb.156:                              ;   in Loop: Header=BB2_155 Depth=3
	s_mov_b64 vcc, -1
	s_or_b64 s[48:49], s[48:49], exec
	s_and_saveexec_b64 s[52:53], s[50:51]
	s_cbranch_execz .LBB2_154
	s_branch .LBB2_158
.LBB2_157:                              ;   in Loop: Header=BB2_155 Depth=3
	s_trap 2
	ds_read_b64 v[12:13], v0
	s_andn2_b64 s[50:51], s[50:51], exec
	s_mov_b32 s57, 0
	s_waitcnt lgkmcnt(0)
	flat_load_dword v3, v[12:13] glc
	s_waitcnt vmcnt(0) lgkmcnt(0)
	buffer_wbinvl1_vol
	v_cmp_eq_u32_e32 vcc, 0, v3
	s_and_b64 vcc, vcc, exec
	s_or_b64 s[50:51], s[50:51], vcc
	s_mov_b64 vcc, -1
	s_or_b64 s[48:49], s[48:49], exec
	s_and_saveexec_b64 s[52:53], s[50:51]
	s_cbranch_execz .LBB2_154
.LBB2_158:                              ;   in Loop: Header=BB2_155 Depth=3
	s_sleep 1
	s_trap 2
	ds_read_b64 v[12:13], v0
	s_waitcnt lgkmcnt(0)
	s_andn2_b64 s[48:49], s[48:49], exec
	v_cmp_ge_u64_e32 vcc, v[12:13], v[32:33]
	s_orn2_b64 vcc, vcc, exec
	s_branch .LBB2_154
.LBB2_159:                              ;   in Loop: Header=BB2_57 Depth=2
	s_or_b64 exec, exec, s[36:37]
	s_and_saveexec_b64 vcc, s[38:39]
	s_xor_b64 vcc, exec, vcc
	s_cbranch_execz .LBB2_161
; %bb.160:                              ;   in Loop: Header=BB2_57 Depth=2
	v_mov_b32_e32 v3, 1
	ds_write_b32 v0, v3
	s_trap 2
.LBB2_161:                              ;   in Loop: Header=BB2_57 Depth=2
	s_or_b64 exec, exec, s[34:35]
	;;#ASMSTART
	s_wakeup
	;;#ASMEND
.LBB2_162:                              ;   in Loop: Header=BB2_57 Depth=2
	s_or_b64 exec, exec, s[30:31]
.LBB2_163:                              ;   in Loop: Header=BB2_57 Depth=2
	s_andn2_saveexec_b64 s[46:47], s[46:47]
	s_cbranch_execz .LBB2_165
; %bb.164:                              ;   in Loop: Header=BB2_57 Depth=2
	s_waitcnt vmcnt(0) lgkmcnt(0)
	buffer_wbinvl1_vol
	s_barrier
.LBB2_165:                              ;   in Loop: Header=BB2_57 Depth=2
	s_or_b64 exec, exec, s[46:47]
.LBB2_166:                              ;   in Loop: Header=BB2_57 Depth=2
	s_or_b64 exec, exec, s[44:45]
	v_and_b32_e32 v7, 16, v20
	s_and_saveexec_b64 s[44:45], s[18:19]
	s_xor_b64 s[44:45], exec, s[44:45]
	s_cbranch_execz .LBB2_171
; %bb.167:                              ;   in Loop: Header=BB2_57 Depth=2
	v_and_b32_e32 v3, 16, v20
	v_cmp_ne_u32_e32 vcc, 0, v3
	v_and_b32_e32 v7, 16, v20
	s_and_b64 s[46:47], vcc, s[26:27]
	s_and_saveexec_b64 s[26:27], s[46:47]
	s_cbranch_execz .LBB2_169
; %bb.168:                              ;   in Loop: Header=BB2_57 Depth=2
	v_mov_b32_e32 v7, 1
	s_waitcnt vmcnt(0) lgkmcnt(0)
	buffer_wbinvl1_vol
.LBB2_169:                              ;   in Loop: Header=BB2_57 Depth=2
	s_or_b64 exec, exec, s[26:27]
	s_andn2_saveexec_b64 s[26:27], s[44:45]
	s_cbranch_execnz .LBB2_172
.LBB2_170:                              ;   in Loop: Header=BB2_57 Depth=2
	s_or_b64 exec, exec, s[26:27]
	v_cmp_ne_u32_e32 vcc, 0, v7
	s_and_saveexec_b64 s[26:27], vcc
	s_cbranch_execz .LBB2_56
	s_branch .LBB2_190
.LBB2_171:                              ;   in Loop: Header=BB2_57 Depth=2
	s_andn2_saveexec_b64 s[26:27], s[44:45]
	s_cbranch_execz .LBB2_170
.LBB2_172:                              ;   in Loop: Header=BB2_57 Depth=2
	s_and_saveexec_b64 s[44:45], s[72:73]
	s_xor_b64 s[44:45], exec, s[44:45]
	s_cbranch_execz .LBB2_187
; %bb.173:                              ;   in Loop: Header=BB2_57 Depth=2
	s_and_saveexec_b64 s[46:47], s[6:7]
	s_cbranch_execz .LBB2_186
; %bb.174:                              ;   in Loop: Header=BB2_57 Depth=2
	s_mov_b64 s[34:35], exec
	v_mbcnt_lo_u32_b32 v3, s34, 0
	v_mbcnt_hi_u32_b32 v3, s35, v3
	v_cmp_eq_u32_e32 vcc, 0, v3
	;;#ASMSTART
	s_waitcnt lgkmcnt(0) vmcnt(0)
	;;#ASMEND
	s_and_saveexec_b64 s[30:31], vcc
	s_cbranch_execz .LBB2_176
; %bb.175:                              ;   in Loop: Header=BB2_57 Depth=2
	s_bcnt1_i32_b64 s57, s[34:35]
	v_mov_b32_e32 v34, s57
	s_waitcnt lgkmcnt(0)
	ds_add_u64 v0, v[34:35]
	s_trap 2
.LBB2_176:                              ;   in Loop: Header=BB2_57 Depth=2
	s_or_b64 exec, exec, s[30:31]
	s_trap 2
	ds_read_b64 v[12:13], v0
	s_waitcnt lgkmcnt(0)
	v_add_co_u32_e32 v32, vcc, v32, v17
	v_addc_co_u32_e32 v33, vcc, 0, v33, vcc
	v_cmp_lt_u64_e32 vcc, v[12:13], v[32:33]
	s_and_saveexec_b64 s[30:31], vcc
	s_cbranch_execz .LBB2_185
; %bb.177:                              ;   in Loop: Header=BB2_57 Depth=2
	s_mov_b32 s57, 0
	s_mov_b64 s[34:35], 0
                                        ; implicit-def: $sgpr36_sgpr37
                                        ; implicit-def: $sgpr38_sgpr39
	s_branch .LBB2_179
.LBB2_178:                              ;   in Loop: Header=BB2_179 Depth=3
	s_or_b64 exec, exec, s[50:51]
	s_and_b64 vcc, exec, vcc
	s_or_b64 s[34:35], vcc, s[34:35]
	s_andn2_b64 vcc, s[36:37], exec
	s_and_b64 s[36:37], s[38:39], exec
	s_or_b64 s[36:37], vcc, s[36:37]
	s_andn2_b64 exec, exec, s[34:35]
	s_cbranch_execz .LBB2_183
.LBB2_179:                              ;   Parent Loop BB2_47 Depth=1
                                        ;     Parent Loop BB2_57 Depth=2
                                        ; =>    This Inner Loop Header: Depth=3
	s_add_i32 s57, s57, 1
	s_cmpk_lg_i32 s57, 0x2710
	s_cselect_b64 s[48:49], -1, 0
	s_and_b64 vcc, exec, s[48:49]
	s_cbranch_vccz .LBB2_181
; %bb.180:                              ;   in Loop: Header=BB2_179 Depth=3
	s_mov_b64 vcc, -1
	s_or_b64 s[38:39], s[38:39], exec
	s_and_saveexec_b64 s[50:51], s[48:49]
	s_cbranch_execz .LBB2_178
	s_branch .LBB2_182
.LBB2_181:                              ;   in Loop: Header=BB2_179 Depth=3
	s_trap 2
	ds_read_b64 v[12:13], v0
	s_andn2_b64 s[48:49], s[48:49], exec
	s_mov_b32 s57, 0
	s_waitcnt vmcnt(0) lgkmcnt(0)
	flat_load_dword v3, v[12:13] glc
	s_waitcnt vmcnt(0) lgkmcnt(0)
	buffer_wbinvl1_vol
	v_cmp_eq_u32_e32 vcc, 0, v3
	s_and_b64 vcc, vcc, exec
	s_or_b64 s[48:49], s[48:49], vcc
	s_mov_b64 vcc, -1
	s_or_b64 s[38:39], s[38:39], exec
	s_and_saveexec_b64 s[50:51], s[48:49]
	s_cbranch_execz .LBB2_178
.LBB2_182:                              ;   in Loop: Header=BB2_179 Depth=3
	s_sleep 1
	s_trap 2
	ds_read_b64 v[12:13], v0
	s_waitcnt lgkmcnt(0)
	s_andn2_b64 s[38:39], s[38:39], exec
	v_cmp_ge_u64_e32 vcc, v[12:13], v[32:33]
	s_orn2_b64 vcc, vcc, exec
	s_branch .LBB2_178
.LBB2_183:                              ;   in Loop: Header=BB2_57 Depth=2
	s_or_b64 exec, exec, s[34:35]
	s_and_saveexec_b64 vcc, s[36:37]
	s_xor_b64 vcc, exec, vcc
	s_cbranch_execz .LBB2_185
; %bb.184:                              ;   in Loop: Header=BB2_57 Depth=2
	v_mov_b32_e32 v3, 1
	ds_write_b32 v0, v3
	s_trap 2
.LBB2_185:                              ;   in Loop: Header=BB2_57 Depth=2
	s_or_b64 exec, exec, s[30:31]
	;;#ASMSTART
	s_wakeup
	;;#ASMEND
.LBB2_186:                              ;   in Loop: Header=BB2_57 Depth=2
	s_or_b64 exec, exec, s[46:47]
.LBB2_187:                              ;   in Loop: Header=BB2_57 Depth=2
	s_andn2_saveexec_b64 s[44:45], s[44:45]
	s_cbranch_execz .LBB2_189
; %bb.188:                              ;   in Loop: Header=BB2_57 Depth=2
	;;#ASMSTART
	s_waitcnt lgkmcnt(0) vmcnt(0)
	;;#ASMEND
	s_waitcnt vmcnt(0) lgkmcnt(0)
	s_barrier
.LBB2_189:                              ;   in Loop: Header=BB2_57 Depth=2
	s_or_b64 exec, exec, s[44:45]
	s_or_b64 exec, exec, s[26:27]
	v_cmp_ne_u32_e32 vcc, 0, v7
	s_and_saveexec_b64 s[26:27], vcc
	s_cbranch_execz .LBB2_56
.LBB2_190:                              ;   in Loop: Header=BB2_57 Depth=2
	s_and_saveexec_b64 s[44:45], s[22:23]
	s_cbranch_execz .LBB2_55
; %bb.191:                              ;   in Loop: Header=BB2_57 Depth=2
	buffer_load_dword v3, off, s[0:3], s33 offset:96 ; 4-byte Folded Reload
	buffer_load_dword v4, off, s[0:3], s33 offset:100 ; 4-byte Folded Reload
	v_mov_b32_e32 v7, 1
	s_waitcnt vmcnt(0)
	flat_store_dword v[3:4], v7
	s_branch .LBB2_55
.LBB2_192:                              ;   in Loop: Header=BB2_47 Depth=1
	s_or_b64 exec, exec, s[40:41]
.LBB2_193:                              ;   in Loop: Header=BB2_47 Depth=1
	s_or_b64 exec, exec, s[28:29]
	v_cmp_gt_i32_e32 vcc, 2, v7
	s_and_saveexec_b64 s[28:29], vcc
	s_cbranch_execz .LBB2_265
; %bb.194:                              ;   in Loop: Header=BB2_47 Depth=1
	v_cmp_eq_u32_e64 s[42:43], 0, v7
	s_mov_b64 s[40:41], 0
	s_branch .LBB2_197
.LBB2_195:                              ;   in Loop: Header=BB2_197 Depth=2
	s_or_b64 exec, exec, s[42:43]
	v_add_co_u32_e32 v50, vcc, 2, v50
	v_addc_co_u32_e32 v51, vcc, 0, v51, vcc
	flat_store_dwordx2 v[22:23], v[50:51]
.LBB2_196:                              ;   in Loop: Header=BB2_197 Depth=2
	s_or_b64 exec, exec, s[26:27]
	v_add_u32_e32 v6, v8, v6
	s_mov_b64 s[42:43], 0
	s_andn2_b64 exec, exec, s[40:41]
	s_cbranch_execz .LBB2_264
.LBB2_197:                              ;   Parent Loop BB2_47 Depth=1
                                        ; =>  This Loop Header: Depth=2
                                        ;       Child Loop BB2_203 Depth 3
                                        ;       Child Loop BB2_227 Depth 3
	;; [unrolled: 1-line block ×3, first 2 shown]
	v_sub_u32_e32 v3, v1, v6
	v_min_i32_e32 v8, v8, v3
	v_and_b32_e32 v3, 8, v20
	v_cmp_ne_u32_e32 vcc, 0, v3
	s_and_saveexec_b64 s[44:45], vcc
	s_cbranch_execz .LBB2_219
; %bb.198:                              ;   in Loop: Header=BB2_197 Depth=2
	s_waitcnt lgkmcnt(0)
	v_add_co_u32_e32 v12, vcc, 8, v28
	v_addc_co_u32_e32 v13, vcc, 0, v29, vcc
	v_add_co_u32_e32 v10, vcc, 2, v50
	v_addc_co_u32_e32 v11, vcc, 0, v51, vcc
	v_cmp_lt_u64_e32 vcc, v[12:13], v[10:11]
	s_and_saveexec_b64 s[46:47], vcc
	s_cbranch_execz .LBB2_210
; %bb.199:                              ;   in Loop: Header=BB2_197 Depth=2
	v_and_b32_e32 v3, 64, v20
	s_mov_b32 s9, 0
	v_cmp_eq_u32_e32 vcc, 0, v3
	s_mov_b64 s[30:31], 0
                                        ; implicit-def: $sgpr34_sgpr35
                                        ; implicit-def: $sgpr36_sgpr37
                                        ; implicit-def: $sgpr38_sgpr39
	s_branch .LBB2_203
.LBB2_200:                              ;   in Loop: Header=BB2_203 Depth=3
	s_waitcnt vmcnt(0) lgkmcnt(0)
	v_add_co_u32_e64 v12, s[26:27], 8, v28
	v_addc_co_u32_e64 v13, s[26:27], 0, v29, s[26:27]
	v_cmp_ge_u64_e64 s[26:27], v[12:13], v[10:11]
	s_or_b64 s[52:53], s[52:53], exec
	s_orn2_b64 s[50:51], s[26:27], exec
.LBB2_201:                              ;   in Loop: Header=BB2_203 Depth=3
	s_or_b64 exec, exec, s[64:65]
	s_andn2_b64 s[26:27], s[38:39], exec
	s_and_b64 s[38:39], s[52:53], exec
	s_or_b64 s[38:39], s[26:27], s[38:39]
	s_andn2_b64 s[26:27], s[36:37], exec
	s_and_b64 s[36:37], s[50:51], exec
	s_or_b64 s[36:37], s[26:27], s[36:37]
.LBB2_202:                              ;   in Loop: Header=BB2_203 Depth=3
	s_or_b64 exec, exec, s[48:49]
	s_and_b64 s[26:27], exec, s[36:37]
	s_or_b64 s[30:31], s[26:27], s[30:31]
	s_andn2_b64 s[26:27], s[34:35], exec
	s_and_b64 s[34:35], s[38:39], exec
	s_or_b64 s[34:35], s[26:27], s[34:35]
	s_andn2_b64 exec, exec, s[30:31]
	s_cbranch_execz .LBB2_207
.LBB2_203:                              ;   Parent Loop BB2_47 Depth=1
                                        ;     Parent Loop BB2_197 Depth=2
                                        ; =>    This Inner Loop Header: Depth=3
	s_sleep 1
	s_waitcnt vmcnt(0) lgkmcnt(0)
	flat_load_dwordx2 v[28:29], v[22:23] glc
	s_or_b64 s[38:39], s[38:39], exec
	s_or_b64 s[36:37], s[36:37], exec
                                        ; implicit-def: $vgpr7
	s_and_saveexec_b64 s[48:49], vcc
	s_cbranch_execz .LBB2_202
; %bb.204:                              ;   in Loop: Header=BB2_203 Depth=3
	s_cmpk_lt_i32 s9, 0x270f
	s_cselect_b64 s[54:55], -1, 0
	s_cmpk_gt_i32 s9, 0x270e
	s_mov_b64 s[50:51], -1
	s_cbranch_scc0 .LBB2_206
; %bb.205:                              ;   in Loop: Header=BB2_203 Depth=3
	s_trap 2
	ds_read_b64 v[12:13], v0
	s_andn2_b64 s[54:55], s[54:55], exec
	s_mov_b32 s9, 0
	s_mov_b64 s[52:53], 0
	s_waitcnt vmcnt(0) lgkmcnt(0)
	flat_load_dword v7, v[12:13] glc
	s_waitcnt vmcnt(0) lgkmcnt(0)
	buffer_wbinvl1_vol
	v_cmp_eq_u32_e64 s[26:27], 0, v7
	s_and_b64 s[26:27], s[26:27], exec
	s_or_b64 s[54:55], s[54:55], s[26:27]
	s_and_saveexec_b64 s[64:65], s[54:55]
	s_cbranch_execz .LBB2_201
	s_branch .LBB2_200
.LBB2_206:                              ;   in Loop: Header=BB2_203 Depth=3
	s_add_i32 s9, s9, 1
	s_mov_b64 s[52:53], -1
                                        ; implicit-def: $vgpr7
	s_and_saveexec_b64 s[64:65], s[54:55]
	s_cbranch_execz .LBB2_201
	s_branch .LBB2_200
.LBB2_207:                              ;   in Loop: Header=BB2_197 Depth=2
	s_or_b64 exec, exec, s[30:31]
	s_xor_b64 s[26:27], s[34:35], -1
	s_and_saveexec_b64 vcc, s[26:27]
	s_xor_b64 s[26:27], exec, vcc
	s_cbranch_execz .LBB2_209
; %bb.208:                              ;   in Loop: Header=BB2_197 Depth=2
	v_or_b32_e32 v20, 64, v20
	s_waitcnt lgkmcnt(0)
	ds_write_b32 v0, v7
	s_trap 2
.LBB2_209:                              ;   in Loop: Header=BB2_197 Depth=2
	s_or_b64 exec, exec, s[26:27]
.LBB2_210:                              ;   in Loop: Header=BB2_197 Depth=2
	s_or_b64 exec, exec, s[46:47]
	v_and_b32_e32 v3, 0x100, v20
	v_cmp_ne_u32_e32 vcc, 0, v3
	v_and_b32_e32 v7, 7, v50
	s_mov_b64 s[26:27], -1
	;;#ASMSTART
	s_wakeup
	;;#ASMEND
                                        ; implicit-def: $vgpr12_vgpr13
	s_and_saveexec_b64 s[46:47], vcc
	s_cbranch_execz .LBB2_214
; %bb.211:                              ;   in Loop: Header=BB2_197 Depth=2
	buffer_load_dword v12, off, s[0:3], s33 offset:80 ; 4-byte Folded Reload
	buffer_load_dword v13, off, s[0:3], s33 offset:84 ; 4-byte Folded Reload
	;; [unrolled: 1-line block ×4, first 2 shown]
	v_ashrrev_i32_e32 v9, 31, v8
	s_waitcnt vmcnt(0)
	v_mad_u64_u32 v[14:15], s[26:27], v7, 24, v[12:13]
                                        ; implicit-def: $vgpr12_vgpr13
	flat_load_dword v3, v[14:15]
	s_nop 0
	flat_store_dwordx2 v[14:15], v[8:9] offset:8
	s_waitcnt vmcnt(0) lgkmcnt(0)
	v_cmp_ne_u32_e32 vcc, 1, v3
	v_cmp_eq_u32_e64 s[26:27], 1, v3
	s_and_saveexec_b64 s[30:31], s[26:27]
	s_cbranch_execz .LBB2_213
; %bb.212:                              ;   in Loop: Header=BB2_197 Depth=2
	flat_load_dword v12, v[14:15] offset:4 glc
	s_waitcnt vmcnt(0) lgkmcnt(0)
	v_ashrrev_i32_e32 v13, 31, v12
.LBB2_213:                              ;   in Loop: Header=BB2_197 Depth=2
	s_or_b64 exec, exec, s[30:31]
	s_orn2_b64 s[26:27], vcc, exec
.LBB2_214:                              ;   in Loop: Header=BB2_197 Depth=2
	s_or_b64 exec, exec, s[46:47]
	s_and_saveexec_b64 s[46:47], s[26:27]
	s_cbranch_execz .LBB2_216
; %bb.215:                              ;   in Loop: Header=BB2_197 Depth=2
	buffer_load_dword v3, off, s[0:3], s33 offset:104 ; 4-byte Folded Reload
	s_waitcnt vmcnt(0)
	v_mad_i64_i32 v[12:13], s[26:27], v7, v3, 0
.LBB2_216:                              ;   in Loop: Header=BB2_197 Depth=2
	s_or_b64 exec, exec, s[46:47]
	buffer_load_dword v3, off, s[0:3], s33 offset:72 ; 4-byte Folded Reload
	buffer_load_dword v4, off, s[0:3], s33 offset:76 ; 4-byte Folded Reload
	s_waitcnt vmcnt(0)
	v_add_co_u32_e32 v12, vcc, v3, v12
	v_addc_co_u32_e32 v13, vcc, v4, v13, vcc
	v_and_b32_e32 v3, 0x2000, v20
	v_cmp_ne_u32_e32 vcc, 0, v3
	ds_write_b64 v0, v[12:13] offset:784
	s_and_saveexec_b64 s[26:27], vcc
	s_cbranch_execz .LBB2_218
; %bb.217:                              ;   in Loop: Header=BB2_197 Depth=2
	ds_read_b64 v[12:13], v0 offset:872
	s_waitcnt lgkmcnt(0)
	v_add_co_u32_e32 v12, vcc, 1, v12
	v_addc_co_u32_e32 v13, vcc, 0, v13, vcc
	ds_write_b64 v0, v[12:13] offset:872
.LBB2_218:                              ;   in Loop: Header=BB2_197 Depth=2
	s_or_b64 exec, exec, s[26:27]
	v_mov_b32_e32 v51, v11
	v_mov_b32_e32 v50, v10
.LBB2_219:                              ;   in Loop: Header=BB2_197 Depth=2
	s_or_b64 exec, exec, s[44:45]
	s_xor_b64 s[26:27], s[42:43], -1
	s_and_b64 s[26:27], exec, s[26:27]
	s_or_b64 s[40:41], s[26:27], s[40:41]
	s_and_saveexec_b64 s[26:27], s[12:13]
	s_cbranch_execz .LBB2_238
; %bb.220:                              ;   in Loop: Header=BB2_197 Depth=2
	s_and_saveexec_b64 s[42:43], s[72:73]
	s_xor_b64 s[42:43], exec, s[42:43]
	s_cbranch_execz .LBB2_235
; %bb.221:                              ;   in Loop: Header=BB2_197 Depth=2
	s_and_saveexec_b64 s[44:45], s[6:7]
	s_cbranch_execz .LBB2_234
; %bb.222:                              ;   in Loop: Header=BB2_197 Depth=2
	s_mov_b64 s[30:31], exec
	v_mbcnt_lo_u32_b32 v3, s30, 0
	v_mbcnt_hi_u32_b32 v3, s31, v3
	v_cmp_eq_u32_e32 vcc, 0, v3
	s_waitcnt vmcnt(0) lgkmcnt(0)
	buffer_wbinvl1_vol
	s_and_saveexec_b64 s[46:47], vcc
	s_cbranch_execz .LBB2_224
; %bb.223:                              ;   in Loop: Header=BB2_197 Depth=2
	s_bcnt1_i32_b64 s9, s[30:31]
	v_mov_b32_e32 v34, s9
	ds_add_u64 v0, v[34:35]
	s_trap 2
.LBB2_224:                              ;   in Loop: Header=BB2_197 Depth=2
	s_or_b64 exec, exec, s[46:47]
	s_trap 2
	ds_read_b64 v[9:10], v0
	s_waitcnt lgkmcnt(0)
	v_add_co_u32_e32 v32, vcc, v32, v17
	v_addc_co_u32_e32 v33, vcc, 0, v33, vcc
	v_cmp_lt_u64_e32 vcc, v[9:10], v[32:33]
	s_and_saveexec_b64 s[46:47], vcc
	s_cbranch_execz .LBB2_233
; %bb.225:                              ;   in Loop: Header=BB2_197 Depth=2
	s_mov_b32 s9, 0
	s_mov_b64 s[30:31], 0
                                        ; implicit-def: $sgpr34_sgpr35
                                        ; implicit-def: $sgpr36_sgpr37
	s_branch .LBB2_227
.LBB2_226:                              ;   in Loop: Header=BB2_227 Depth=3
	s_or_b64 exec, exec, s[48:49]
	s_and_b64 vcc, exec, vcc
	s_or_b64 s[30:31], vcc, s[30:31]
	s_andn2_b64 vcc, s[34:35], exec
	s_and_b64 s[34:35], s[36:37], exec
	s_or_b64 s[34:35], vcc, s[34:35]
	s_andn2_b64 exec, exec, s[30:31]
	s_cbranch_execz .LBB2_231
.LBB2_227:                              ;   Parent Loop BB2_47 Depth=1
                                        ;     Parent Loop BB2_197 Depth=2
                                        ; =>    This Inner Loop Header: Depth=3
	s_add_i32 s9, s9, 1
	s_cmpk_lg_i32 s9, 0x2710
	s_cselect_b64 s[38:39], -1, 0
	s_and_b64 vcc, exec, s[38:39]
	s_cbranch_vccz .LBB2_229
; %bb.228:                              ;   in Loop: Header=BB2_227 Depth=3
	s_mov_b64 vcc, -1
	s_or_b64 s[36:37], s[36:37], exec
	s_and_saveexec_b64 s[48:49], s[38:39]
	s_cbranch_execz .LBB2_226
	s_branch .LBB2_230
.LBB2_229:                              ;   in Loop: Header=BB2_227 Depth=3
	s_trap 2
	ds_read_b64 v[9:10], v0
	s_andn2_b64 s[38:39], s[38:39], exec
	s_mov_b32 s9, 0
	s_waitcnt lgkmcnt(0)
	flat_load_dword v3, v[9:10] glc
	s_waitcnt vmcnt(0) lgkmcnt(0)
	buffer_wbinvl1_vol
	v_cmp_eq_u32_e32 vcc, 0, v3
	s_and_b64 vcc, vcc, exec
	s_or_b64 s[38:39], s[38:39], vcc
	s_mov_b64 vcc, -1
	s_or_b64 s[36:37], s[36:37], exec
	s_and_saveexec_b64 s[48:49], s[38:39]
	s_cbranch_execz .LBB2_226
.LBB2_230:                              ;   in Loop: Header=BB2_227 Depth=3
	s_sleep 1
	s_trap 2
	ds_read_b64 v[9:10], v0
	s_waitcnt lgkmcnt(0)
	s_andn2_b64 s[36:37], s[36:37], exec
	v_cmp_ge_u64_e32 vcc, v[9:10], v[32:33]
	s_orn2_b64 vcc, vcc, exec
	s_branch .LBB2_226
.LBB2_231:                              ;   in Loop: Header=BB2_197 Depth=2
	s_or_b64 exec, exec, s[30:31]
	s_and_saveexec_b64 vcc, s[34:35]
	s_xor_b64 vcc, exec, vcc
	s_cbranch_execz .LBB2_233
; %bb.232:                              ;   in Loop: Header=BB2_197 Depth=2
	v_mov_b32_e32 v3, 1
	ds_write_b32 v0, v3
	s_trap 2
.LBB2_233:                              ;   in Loop: Header=BB2_197 Depth=2
	s_or_b64 exec, exec, s[46:47]
	;;#ASMSTART
	s_wakeup
	;;#ASMEND
.LBB2_234:                              ;   in Loop: Header=BB2_197 Depth=2
	s_or_b64 exec, exec, s[44:45]
.LBB2_235:                              ;   in Loop: Header=BB2_197 Depth=2
	s_andn2_saveexec_b64 s[42:43], s[42:43]
	s_cbranch_execz .LBB2_237
; %bb.236:                              ;   in Loop: Header=BB2_197 Depth=2
	s_waitcnt vmcnt(0) lgkmcnt(0)
	buffer_wbinvl1_vol
	s_barrier
.LBB2_237:                              ;   in Loop: Header=BB2_197 Depth=2
	s_or_b64 exec, exec, s[42:43]
.LBB2_238:                              ;   in Loop: Header=BB2_197 Depth=2
	s_or_b64 exec, exec, s[26:27]
	v_and_b32_e32 v7, 16, v20
	s_and_saveexec_b64 s[26:27], s[18:19]
	s_xor_b64 s[26:27], exec, s[26:27]
	s_cbranch_execz .LBB2_243
; %bb.239:                              ;   in Loop: Header=BB2_197 Depth=2
	s_trap 2
	ds_read_b32 v3, v0
	v_cmp_lt_i32_e32 vcc, 0, v8
	v_and_b32_e32 v7, 16, v20
	s_waitcnt lgkmcnt(0)
	v_readfirstlane_b32 s9, v3
	s_cmp_eq_u32 s9, 0
	s_cselect_b64 s[42:43], -1, 0
	v_and_b32_e32 v3, 16, v20
	s_and_b64 s[42:43], vcc, s[42:43]
	v_cmp_ne_u32_e32 vcc, 0, v3
	s_and_b64 s[44:45], vcc, s[42:43]
	s_and_saveexec_b64 s[42:43], s[44:45]
	s_cbranch_execz .LBB2_241
; %bb.240:                              ;   in Loop: Header=BB2_197 Depth=2
	v_mov_b32_e32 v7, 1
	s_waitcnt vmcnt(0)
	buffer_wbinvl1_vol
.LBB2_241:                              ;   in Loop: Header=BB2_197 Depth=2
	s_or_b64 exec, exec, s[42:43]
	s_andn2_saveexec_b64 s[26:27], s[26:27]
	s_cbranch_execnz .LBB2_244
.LBB2_242:                              ;   in Loop: Header=BB2_197 Depth=2
	s_or_b64 exec, exec, s[26:27]
	v_cmp_ne_u32_e32 vcc, 0, v7
	s_and_saveexec_b64 s[26:27], vcc
	s_cbranch_execz .LBB2_196
	s_branch .LBB2_262
.LBB2_243:                              ;   in Loop: Header=BB2_197 Depth=2
	s_andn2_saveexec_b64 s[26:27], s[26:27]
	s_cbranch_execz .LBB2_242
.LBB2_244:                              ;   in Loop: Header=BB2_197 Depth=2
	s_and_saveexec_b64 s[42:43], s[72:73]
	s_xor_b64 s[42:43], exec, s[42:43]
	s_cbranch_execz .LBB2_259
; %bb.245:                              ;   in Loop: Header=BB2_197 Depth=2
	s_and_saveexec_b64 s[44:45], s[6:7]
	s_cbranch_execz .LBB2_258
; %bb.246:                              ;   in Loop: Header=BB2_197 Depth=2
	s_mov_b64 s[30:31], exec
	v_mbcnt_lo_u32_b32 v3, s30, 0
	v_mbcnt_hi_u32_b32 v3, s31, v3
	v_cmp_eq_u32_e32 vcc, 0, v3
	;;#ASMSTART
	s_waitcnt lgkmcnt(0) vmcnt(0)
	;;#ASMEND
	s_and_saveexec_b64 s[46:47], vcc
	s_cbranch_execz .LBB2_248
; %bb.247:                              ;   in Loop: Header=BB2_197 Depth=2
	s_bcnt1_i32_b64 s9, s[30:31]
	v_mov_b32_e32 v34, s9
	s_waitcnt lgkmcnt(0)
	ds_add_u64 v0, v[34:35]
	s_trap 2
.LBB2_248:                              ;   in Loop: Header=BB2_197 Depth=2
	s_or_b64 exec, exec, s[46:47]
	s_trap 2
	ds_read_b64 v[9:10], v0
	s_waitcnt lgkmcnt(0)
	v_add_co_u32_e32 v32, vcc, v32, v17
	v_addc_co_u32_e32 v33, vcc, 0, v33, vcc
	v_cmp_lt_u64_e32 vcc, v[9:10], v[32:33]
	s_and_saveexec_b64 s[46:47], vcc
	s_cbranch_execz .LBB2_257
; %bb.249:                              ;   in Loop: Header=BB2_197 Depth=2
	s_mov_b32 s9, 0
	s_mov_b64 s[30:31], 0
                                        ; implicit-def: $sgpr34_sgpr35
                                        ; implicit-def: $sgpr36_sgpr37
	s_branch .LBB2_251
.LBB2_250:                              ;   in Loop: Header=BB2_251 Depth=3
	s_or_b64 exec, exec, s[48:49]
	s_and_b64 vcc, exec, vcc
	s_or_b64 s[30:31], vcc, s[30:31]
	s_andn2_b64 vcc, s[34:35], exec
	s_and_b64 s[34:35], s[36:37], exec
	s_or_b64 s[34:35], vcc, s[34:35]
	s_andn2_b64 exec, exec, s[30:31]
	s_cbranch_execz .LBB2_255
.LBB2_251:                              ;   Parent Loop BB2_47 Depth=1
                                        ;     Parent Loop BB2_197 Depth=2
                                        ; =>    This Inner Loop Header: Depth=3
	s_add_i32 s9, s9, 1
	s_cmpk_lg_i32 s9, 0x2710
	s_cselect_b64 s[38:39], -1, 0
	s_and_b64 vcc, exec, s[38:39]
	s_cbranch_vccz .LBB2_253
; %bb.252:                              ;   in Loop: Header=BB2_251 Depth=3
	s_mov_b64 vcc, -1
	s_or_b64 s[36:37], s[36:37], exec
	s_and_saveexec_b64 s[48:49], s[38:39]
	s_cbranch_execz .LBB2_250
	s_branch .LBB2_254
.LBB2_253:                              ;   in Loop: Header=BB2_251 Depth=3
	s_trap 2
	ds_read_b64 v[9:10], v0
	s_andn2_b64 s[38:39], s[38:39], exec
	s_mov_b32 s9, 0
	s_waitcnt vmcnt(0) lgkmcnt(0)
	flat_load_dword v3, v[9:10] glc
	s_waitcnt vmcnt(0) lgkmcnt(0)
	buffer_wbinvl1_vol
	v_cmp_eq_u32_e32 vcc, 0, v3
	s_and_b64 vcc, vcc, exec
	s_or_b64 s[38:39], s[38:39], vcc
	s_mov_b64 vcc, -1
	s_or_b64 s[36:37], s[36:37], exec
	s_and_saveexec_b64 s[48:49], s[38:39]
	s_cbranch_execz .LBB2_250
.LBB2_254:                              ;   in Loop: Header=BB2_251 Depth=3
	s_sleep 1
	s_trap 2
	ds_read_b64 v[9:10], v0
	s_waitcnt lgkmcnt(0)
	s_andn2_b64 s[36:37], s[36:37], exec
	v_cmp_ge_u64_e32 vcc, v[9:10], v[32:33]
	s_orn2_b64 vcc, vcc, exec
	s_branch .LBB2_250
.LBB2_255:                              ;   in Loop: Header=BB2_197 Depth=2
	s_or_b64 exec, exec, s[30:31]
	s_and_saveexec_b64 vcc, s[34:35]
	s_xor_b64 vcc, exec, vcc
	s_cbranch_execz .LBB2_257
; %bb.256:                              ;   in Loop: Header=BB2_197 Depth=2
	v_mov_b32_e32 v3, 1
	ds_write_b32 v0, v3
	s_trap 2
.LBB2_257:                              ;   in Loop: Header=BB2_197 Depth=2
	s_or_b64 exec, exec, s[46:47]
	;;#ASMSTART
	s_wakeup
	;;#ASMEND
.LBB2_258:                              ;   in Loop: Header=BB2_197 Depth=2
	s_or_b64 exec, exec, s[44:45]
.LBB2_259:                              ;   in Loop: Header=BB2_197 Depth=2
	s_andn2_saveexec_b64 s[42:43], s[42:43]
	s_cbranch_execz .LBB2_261
; %bb.260:                              ;   in Loop: Header=BB2_197 Depth=2
	;;#ASMSTART
	s_waitcnt lgkmcnt(0) vmcnt(0)
	;;#ASMEND
	s_waitcnt vmcnt(0) lgkmcnt(0)
	s_barrier
.LBB2_261:                              ;   in Loop: Header=BB2_197 Depth=2
	s_or_b64 exec, exec, s[42:43]
	s_or_b64 exec, exec, s[26:27]
	v_cmp_ne_u32_e32 vcc, 0, v7
	s_and_saveexec_b64 s[26:27], vcc
	s_cbranch_execz .LBB2_196
.LBB2_262:                              ;   in Loop: Header=BB2_197 Depth=2
	s_and_saveexec_b64 s[42:43], s[22:23]
	s_cbranch_execz .LBB2_195
; %bb.263:                              ;   in Loop: Header=BB2_197 Depth=2
	buffer_load_dword v3, off, s[0:3], s33 offset:96 ; 4-byte Folded Reload
	buffer_load_dword v4, off, s[0:3], s33 offset:100 ; 4-byte Folded Reload
	v_mov_b32_e32 v7, 1
	s_waitcnt vmcnt(0)
	flat_store_dword v[3:4], v7
	s_branch .LBB2_195
.LBB2_264:                              ;   in Loop: Header=BB2_47 Depth=1
	s_or_b64 exec, exec, s[40:41]
.LBB2_265:                              ;   in Loop: Header=BB2_47 Depth=1
	s_or_b64 exec, exec, s[28:29]
	v_cndmask_b32_e64 v1, 0, 1, s[76:77]
	v_cmp_ne_u32_e64 s[26:27], 1, v1
	s_andn2_b64 vcc, exec, s[76:77]
	s_cbranch_vccnz .LBB2_2328
; %bb.266:                              ;   in Loop: Header=BB2_47 Depth=1
	s_mov_b32 s9, 2
	s_branch .LBB2_269
.LBB2_267:                              ;   in Loop: Header=BB2_269 Depth=2
	s_or_b64 exec, exec, s[42:43]
.LBB2_268:                              ;   in Loop: Header=BB2_269 Depth=2
	s_or_b64 exec, exec, s[40:41]
	s_add_i32 s9, s9, 1
	s_cmp_eq_u32 s9, s68
	s_cbranch_scc1 .LBB2_2328
.LBB2_269:                              ;   Parent Loop BB2_47 Depth=1
                                        ; =>  This Loop Header: Depth=2
                                        ;       Child Loop BB2_272 Depth 3
                                        ;         Child Loop BB2_280 Depth 4
                                        ;         Child Loop BB2_308 Depth 4
	;; [unrolled: 1-line block ×9, first 2 shown]
                                        ;       Child Loop BB2_2256 Depth 3
                                        ;         Child Loop BB2_2262 Depth 4
                                        ;         Child Loop BB2_2290 Depth 4
	;; [unrolled: 1-line block ×3, first 2 shown]
	buffer_load_dword v8, off, s[0:3], s33 offset:180 ; 4-byte Folded Reload
	buffer_load_dword v9, off, s[0:3], s33 offset:184 ; 4-byte Folded Reload
	s_sub_i32 s28, s80, s9
	s_cmp_ge_i32 s28, s68
	s_cselect_b32 s29, s68, 0
	s_sub_i32 s28, s28, s29
	s_ashr_i32 s40, s28, 31
	v_mov_b32_e32 v53, 0
	s_waitcnt vmcnt(0)
	v_mul_lo_u32 v3, v8, s40
	v_mul_lo_u32 v1, v9, s28
	v_mad_u64_u32 v[58:59], s[28:29], v8, s28, 0
	v_add3_u32 v59, v59, v3, v1
	buffer_load_dword v3, off, s[0:3], s33 offset:164 ; 4-byte Folded Reload
	buffer_load_dword v4, off, s[0:3], s33 offset:168 ; 4-byte Folded Reload
	s_waitcnt vmcnt(0)
	v_sub_co_u32_e32 v6, vcc, v3, v58
	v_subb_co_u32_e32 v7, vcc, v4, v59, vcc
	v_cmp_lt_i64_e32 vcc, v[8:9], v[6:7]
	v_cndmask_b32_e32 v1, v6, v8, vcc
	v_max_i32_e32 v37, 0, v1
	v_add_u32_e32 v3, 31, v37
	v_lshrrev_b32_e32 v3, 1, v3
	v_and_b32_e32 v3, 0x3ffffff0, v3
	v_cmp_lt_i32_e32 vcc, 0, v1
	v_max_i32_e32 v54, s83, v3
	s_and_b64 s[28:29], s[88:89], vcc
	v_mov_b32_e32 v1, 0
	s_and_saveexec_b64 s[30:31], s[28:29]
	s_cbranch_execz .LBB2_2253
; %bb.270:                              ;   in Loop: Header=BB2_269 Depth=2
	s_mov_b32 s57, 1
	s_mov_b64 s[36:37], -1
	v_mov_b32_e32 v53, 0
	s_mov_b64 s[34:35], 0
	buffer_store_dword v58, off, s[0:3], s33 offset:172 ; 4-byte Folded Spill
	s_nop 0
	buffer_store_dword v59, off, s[0:3], s33 offset:176 ; 4-byte Folded Spill
	s_branch .LBB2_272
.LBB2_271:                              ;   in Loop: Header=BB2_272 Depth=3
	s_or_b64 exec, exec, s[28:29]
	v_add_u32_e32 v53, v54, v53
	v_cmp_ge_i32_e32 vcc, v53, v37
	s_xor_b64 s[28:29], s[36:37], -1
	s_or_b64 s[28:29], s[28:29], vcc
	s_and_b64 s[28:29], exec, s[28:29]
	s_or_b64 s[34:35], s[28:29], s[34:35]
	s_mov_b64 s[36:37], 0
	v_mov_b32_e32 v1, s57
	s_mov_b32 s57, 2
	s_andn2_b64 exec, exec, s[34:35]
	s_cbranch_execz .LBB2_2252
.LBB2_272:                              ;   Parent Loop BB2_47 Depth=1
                                        ;     Parent Loop BB2_269 Depth=2
                                        ; =>    This Loop Header: Depth=3
                                        ;         Child Loop BB2_280 Depth 4
                                        ;         Child Loop BB2_308 Depth 4
                                        ;         Child Loop BB2_327 Depth 4
                                        ;         Child Loop BB2_350 Depth 4
                                        ;         Child Loop BB2_1059 Depth 4
                                        ;         Child Loop BB2_1769 Depth 4
                                        ;         Child Loop BB2_2158 Depth 4
                                        ;         Child Loop BB2_2214 Depth 4
                                        ;         Child Loop BB2_2237 Depth 4
	s_and_saveexec_b64 s[28:29], s[4:5]
	s_cbranch_execz .LBB2_274
; %bb.273:                              ;   in Loop: Header=BB2_272 Depth=3
	s_trap 2
	buffer_load_dword v1, off, s[0:3], s33 offset:132 ; 4-byte Folded Reload
	buffer_load_dword v3, off, s[0:3], s33 offset:136 ; 4-byte Folded Reload
	ds_read_b64 v[6:7], v0
	v_ashrrev_i32_e32 v4, 31, v53
	v_mov_b32_e32 v34, v35
	ds_write_b64 v0, v[34:35]
	s_waitcnt vmcnt(0) lgkmcnt(0)
	v_add_co_u32_e32 v1, vcc, v6, v1
	v_addc_co_u32_e32 v3, vcc, v7, v3, vcc
	v_add_co_u32_e32 v1, vcc, v1, v58
	v_addc_co_u32_e32 v3, vcc, v3, v59, vcc
	v_add_co_u32_e32 v6, vcc, v1, v53
	v_addc_co_u32_e32 v7, vcc, v3, v4, vcc
	ds_write_b64 v0, v[6:7]
.LBB2_274:                              ;   in Loop: Header=BB2_272 Depth=3
	s_or_b64 exec, exec, s[28:29]
	v_sub_u32_e32 v1, v37, v53
	v_min_i32_e32 v54, v54, v1
	v_and_b32_e32 v1, 12, v20
	v_cmp_ne_u32_e32 vcc, 0, v1
	s_and_saveexec_b64 s[40:41], vcc
	s_cbranch_execz .LBB2_300
; %bb.275:                              ;   in Loop: Header=BB2_272 Depth=3
	v_and_b32_e32 v1, 8, v20
	s_waitcnt lgkmcnt(0)
	v_add_co_u32_e32 v6, vcc, v28, v1
	v_addc_co_u32_e32 v7, vcc, 0, v29, vcc
	v_add_co_u32_e32 v8, vcc, 2, v50
	v_addc_co_u32_e32 v9, vcc, 0, v51, vcc
	v_cmp_lt_u64_e32 vcc, v[6:7], v[8:9]
	s_and_saveexec_b64 s[42:43], vcc
	s_cbranch_execz .LBB2_287
; %bb.276:                              ;   in Loop: Header=BB2_272 Depth=3
	v_and_b32_e32 v3, 64, v20
	s_mov_b32 s70, 0
	v_cmp_eq_u32_e32 vcc, 0, v3
	s_mov_b64 s[44:45], 0
                                        ; implicit-def: $sgpr46_sgpr47
                                        ; implicit-def: $sgpr38_sgpr39
                                        ; implicit-def: $sgpr48_sgpr49
	s_branch .LBB2_280
.LBB2_277:                              ;   in Loop: Header=BB2_280 Depth=4
	s_waitcnt vmcnt(0) lgkmcnt(0)
	v_add_co_u32_e64 v10, s[28:29], v28, v1
	v_addc_co_u32_e64 v11, s[28:29], 0, v29, s[28:29]
	v_cmp_ge_u64_e64 s[28:29], v[10:11], v[8:9]
	s_or_b64 s[54:55], s[54:55], exec
	s_orn2_b64 s[52:53], s[28:29], exec
.LBB2_278:                              ;   in Loop: Header=BB2_280 Depth=4
	s_or_b64 exec, exec, s[66:67]
	s_andn2_b64 s[28:29], s[48:49], exec
	s_and_b64 s[48:49], s[54:55], exec
	s_or_b64 s[48:49], s[28:29], s[48:49]
	s_andn2_b64 s[28:29], s[38:39], exec
	s_and_b64 s[38:39], s[52:53], exec
	s_or_b64 s[38:39], s[28:29], s[38:39]
.LBB2_279:                              ;   in Loop: Header=BB2_280 Depth=4
	s_or_b64 exec, exec, s[50:51]
	s_and_b64 s[28:29], exec, s[38:39]
	s_or_b64 s[44:45], s[28:29], s[44:45]
	s_andn2_b64 s[28:29], s[46:47], exec
	s_and_b64 s[46:47], s[48:49], exec
	s_or_b64 s[46:47], s[28:29], s[46:47]
	s_andn2_b64 exec, exec, s[44:45]
	s_cbranch_execz .LBB2_284
.LBB2_280:                              ;   Parent Loop BB2_47 Depth=1
                                        ;     Parent Loop BB2_269 Depth=2
                                        ;       Parent Loop BB2_272 Depth=3
                                        ; =>      This Inner Loop Header: Depth=4
	s_sleep 1
	s_waitcnt vmcnt(0) lgkmcnt(0)
	flat_load_dwordx2 v[28:29], v[22:23] glc
	s_or_b64 s[48:49], s[48:49], exec
	s_or_b64 s[38:39], s[38:39], exec
                                        ; implicit-def: $vgpr6
	s_and_saveexec_b64 s[50:51], vcc
	s_cbranch_execz .LBB2_279
; %bb.281:                              ;   in Loop: Header=BB2_280 Depth=4
	s_cmpk_lt_i32 s70, 0x270f
	s_cselect_b64 s[64:65], -1, 0
	s_cmpk_gt_i32 s70, 0x270e
	s_mov_b64 s[52:53], -1
	s_cbranch_scc0 .LBB2_283
; %bb.282:                              ;   in Loop: Header=BB2_280 Depth=4
	s_trap 2
	ds_read_b64 v[6:7], v0
	s_andn2_b64 s[64:65], s[64:65], exec
	s_mov_b32 s70, 0
	s_mov_b64 s[54:55], 0
	s_waitcnt vmcnt(0) lgkmcnt(0)
	flat_load_dword v6, v[6:7] glc
	s_waitcnt vmcnt(0) lgkmcnt(0)
	buffer_wbinvl1_vol
	v_cmp_eq_u32_e64 s[28:29], 0, v6
	s_and_b64 s[28:29], s[28:29], exec
	s_or_b64 s[64:65], s[64:65], s[28:29]
	s_and_saveexec_b64 s[66:67], s[64:65]
	s_cbranch_execz .LBB2_278
	s_branch .LBB2_277
.LBB2_283:                              ;   in Loop: Header=BB2_280 Depth=4
	s_add_i32 s70, s70, 1
	s_mov_b64 s[54:55], -1
                                        ; implicit-def: $vgpr6
	s_and_saveexec_b64 s[66:67], s[64:65]
	s_cbranch_execz .LBB2_278
	s_branch .LBB2_277
.LBB2_284:                              ;   in Loop: Header=BB2_272 Depth=3
	s_or_b64 exec, exec, s[44:45]
	s_xor_b64 s[28:29], s[46:47], -1
	s_and_saveexec_b64 s[44:45], s[28:29]
	s_xor_b64 s[28:29], exec, s[44:45]
	s_cbranch_execz .LBB2_286
; %bb.285:                              ;   in Loop: Header=BB2_272 Depth=3
	v_or_b32_e32 v20, 64, v20
	s_waitcnt lgkmcnt(0)
	ds_write_b32 v0, v6
	s_trap 2
.LBB2_286:                              ;   in Loop: Header=BB2_272 Depth=3
	s_or_b64 exec, exec, s[28:29]
.LBB2_287:                              ;   in Loop: Header=BB2_272 Depth=3
	s_or_b64 exec, exec, s[42:43]
	v_and_b32_e32 v3, 0x108, v20
	v_cmp_ne_u32_e32 vcc, s96, v3
	;;#ASMSTART
	s_wakeup
	;;#ASMEND
	s_and_saveexec_b64 s[28:29], vcc
	s_xor_b64 s[28:29], exec, s[28:29]
                                        ; implicit-def: $vgpr6
; %bb.288:                              ;   in Loop: Header=BB2_272 Depth=3
	v_and_b32_e32 v6, 7, v50
                                        ; implicit-def: $vgpr50_vgpr51
; %bb.289:                              ;   in Loop: Header=BB2_272 Depth=3
	s_andn2_saveexec_b64 s[28:29], s[28:29]
	s_cbranch_execz .LBB2_291
; %bb.290:                              ;   in Loop: Header=BB2_272 Depth=3
	buffer_load_dword v10, off, s[0:3], s33 offset:80 ; 4-byte Folded Reload
	buffer_load_dword v11, off, s[0:3], s33 offset:84 ; 4-byte Folded Reload
	;; [unrolled: 1-line block ×4, first 2 shown]
	v_and_b32_e32 v6, 7, v50
	v_ashrrev_i32_e32 v55, 31, v54
	s_waitcnt vmcnt(0)
	v_mad_u64_u32 v[10:11], s[42:43], v6, 24, v[10:11]
	flat_store_dwordx2 v[10:11], v[54:55] offset:8
.LBB2_291:                              ;   in Loop: Header=BB2_272 Depth=3
	s_or_b64 exec, exec, s[28:29]
	v_and_b32_e32 v3, 0x100, v20
	v_cmp_ne_u32_e32 vcc, 0, v3
	s_mov_b64 s[28:29], -1
                                        ; implicit-def: $vgpr10_vgpr11
	s_and_saveexec_b64 s[42:43], vcc
	s_cbranch_execz .LBB2_295
; %bb.292:                              ;   in Loop: Header=BB2_272 Depth=3
	buffer_load_dword v10, off, s[0:3], s33 offset:80 ; 4-byte Folded Reload
	buffer_load_dword v11, off, s[0:3], s33 offset:84 ; 4-byte Folded Reload
	;; [unrolled: 1-line block ×4, first 2 shown]
	s_waitcnt vmcnt(0)
	v_mad_u64_u32 v[12:13], s[28:29], v6, 24, v[10:11]
	v_mov_b32_e32 v7, v13
	v_mad_u64_u32 v[10:11], s[28:29], v35, 24, v[7:8]
	v_mov_b32_e32 v13, v10
	flat_load_dword v3, v[12:13]
                                        ; implicit-def: $vgpr10_vgpr11
	s_waitcnt vmcnt(0) lgkmcnt(0)
	v_cmp_ne_u32_e32 vcc, 1, v3
	v_cmp_eq_u32_e64 s[28:29], 1, v3
	s_and_saveexec_b64 s[44:45], s[28:29]
	s_cbranch_execz .LBB2_294
; %bb.293:                              ;   in Loop: Header=BB2_272 Depth=3
	flat_load_dword v10, v[12:13] offset:4 glc
	s_waitcnt vmcnt(0) lgkmcnt(0)
	v_ashrrev_i32_e32 v11, 31, v10
.LBB2_294:                              ;   in Loop: Header=BB2_272 Depth=3
	s_or_b64 exec, exec, s[44:45]
	s_orn2_b64 s[28:29], vcc, exec
.LBB2_295:                              ;   in Loop: Header=BB2_272 Depth=3
	s_or_b64 exec, exec, s[42:43]
	s_and_saveexec_b64 s[42:43], s[28:29]
	s_cbranch_execz .LBB2_297
; %bb.296:                              ;   in Loop: Header=BB2_272 Depth=3
	buffer_load_dword v7, off, s[0:3], s33 offset:104 ; 4-byte Folded Reload
	buffer_load_dword v4, off, s[0:3], s33 offset:124 ; 4-byte Folded Reload
	s_waitcnt vmcnt(0)
	v_mul_lo_u32 v3, v35, v7
	v_mul_lo_u32 v4, v6, v4
	v_mad_u64_u32 v[10:11], s[28:29], v6, v7, 0
	v_add3_u32 v11, v11, v4, v3
.LBB2_297:                              ;   in Loop: Header=BB2_272 Depth=3
	s_or_b64 exec, exec, s[42:43]
	v_cmp_eq_u32_e32 vcc, 0, v1
	v_mov_b32_e32 v1, 0xc8
	v_mov_b32_e32 v3, 0x90
	v_cndmask_b32_e32 v1, v1, v3, vcc
	buffer_load_dword v3, off, s[0:3], s33 offset:72 ; 4-byte Folded Reload
	buffer_load_dword v4, off, s[0:3], s33 offset:76 ; 4-byte Folded Reload
	v_add_u32_e32 v1, v0, v1
	s_waitcnt vmcnt(0)
	v_add_co_u32_e32 v6, vcc, v3, v10
	v_addc_co_u32_e32 v7, vcc, v4, v11, vcc
	ds_write_b64 v1, v[6:7] offset:584
	v_and_b32_e32 v1, 0x2000, v20
	v_cmp_ne_u32_e32 vcc, 0, v1
	s_and_saveexec_b64 s[28:29], vcc
	s_cbranch_execz .LBB2_299
; %bb.298:                              ;   in Loop: Header=BB2_272 Depth=3
	ds_read_b64 v[6:7], v0 offset:872
	s_waitcnt lgkmcnt(0)
	v_add_co_u32_e32 v6, vcc, 1, v6
	v_addc_co_u32_e32 v7, vcc, 0, v7, vcc
	ds_write_b64 v0, v[6:7] offset:872
.LBB2_299:                              ;   in Loop: Header=BB2_272 Depth=3
	s_or_b64 exec, exec, s[28:29]
	v_mov_b32_e32 v51, v9
	v_mov_b32_e32 v50, v8
.LBB2_300:                              ;   in Loop: Header=BB2_272 Depth=3
	s_or_b64 exec, exec, s[40:41]
	s_and_saveexec_b64 s[28:29], s[12:13]
	s_cbranch_execz .LBB2_319
; %bb.301:                              ;   in Loop: Header=BB2_272 Depth=3
	s_and_saveexec_b64 s[40:41], s[72:73]
	s_xor_b64 s[40:41], exec, s[40:41]
	s_cbranch_execz .LBB2_316
; %bb.302:                              ;   in Loop: Header=BB2_272 Depth=3
	s_and_saveexec_b64 s[42:43], s[6:7]
	s_cbranch_execz .LBB2_315
; %bb.303:                              ;   in Loop: Header=BB2_272 Depth=3
	s_mov_b64 s[46:47], exec
	v_mbcnt_lo_u32_b32 v1, s46, 0
	v_mbcnt_hi_u32_b32 v1, s47, v1
	v_cmp_eq_u32_e32 vcc, 0, v1
	s_waitcnt vmcnt(0) lgkmcnt(0)
	buffer_wbinvl1_vol
	s_and_saveexec_b64 s[44:45], vcc
	s_cbranch_execz .LBB2_305
; %bb.304:                              ;   in Loop: Header=BB2_272 Depth=3
	s_bcnt1_i32_b64 s46, s[46:47]
	v_mov_b32_e32 v34, s46
	ds_add_u64 v0, v[34:35]
	s_trap 2
.LBB2_305:                              ;   in Loop: Header=BB2_272 Depth=3
	s_or_b64 exec, exec, s[44:45]
	s_trap 2
	ds_read_b64 v[6:7], v0
	s_waitcnt lgkmcnt(0)
	v_add_co_u32_e32 v32, vcc, v32, v17
	v_addc_co_u32_e32 v33, vcc, 0, v33, vcc
	v_cmp_lt_u64_e32 vcc, v[6:7], v[32:33]
	s_and_saveexec_b64 s[44:45], vcc
	s_cbranch_execz .LBB2_314
; %bb.306:                              ;   in Loop: Header=BB2_272 Depth=3
	s_mov_b32 s54, 0
	s_mov_b64 s[46:47], 0
                                        ; implicit-def: $sgpr38_sgpr39
                                        ; implicit-def: $sgpr48_sgpr49
	s_branch .LBB2_308
.LBB2_307:                              ;   in Loop: Header=BB2_308 Depth=4
	s_or_b64 exec, exec, s[52:53]
	s_and_b64 vcc, exec, vcc
	s_or_b64 s[46:47], vcc, s[46:47]
	s_andn2_b64 vcc, s[38:39], exec
	s_and_b64 s[38:39], s[48:49], exec
	s_or_b64 s[38:39], vcc, s[38:39]
	s_andn2_b64 exec, exec, s[46:47]
	s_cbranch_execz .LBB2_312
.LBB2_308:                              ;   Parent Loop BB2_47 Depth=1
                                        ;     Parent Loop BB2_269 Depth=2
                                        ;       Parent Loop BB2_272 Depth=3
                                        ; =>      This Inner Loop Header: Depth=4
	s_add_i32 s54, s54, 1
	s_cmpk_lg_i32 s54, 0x2710
	s_cselect_b64 s[50:51], -1, 0
	s_and_b64 vcc, exec, s[50:51]
	s_cbranch_vccz .LBB2_310
; %bb.309:                              ;   in Loop: Header=BB2_308 Depth=4
	s_mov_b64 vcc, -1
	s_or_b64 s[48:49], s[48:49], exec
	s_and_saveexec_b64 s[52:53], s[50:51]
	s_cbranch_execz .LBB2_307
	s_branch .LBB2_311
.LBB2_310:                              ;   in Loop: Header=BB2_308 Depth=4
	s_trap 2
	ds_read_b64 v[6:7], v0
	s_andn2_b64 s[50:51], s[50:51], exec
	s_mov_b32 s54, 0
	s_waitcnt lgkmcnt(0)
	flat_load_dword v1, v[6:7] glc
	s_waitcnt vmcnt(0) lgkmcnt(0)
	buffer_wbinvl1_vol
	v_cmp_eq_u32_e32 vcc, 0, v1
	s_and_b64 vcc, vcc, exec
	s_or_b64 s[50:51], s[50:51], vcc
	s_mov_b64 vcc, -1
	s_or_b64 s[48:49], s[48:49], exec
	s_and_saveexec_b64 s[52:53], s[50:51]
	s_cbranch_execz .LBB2_307
.LBB2_311:                              ;   in Loop: Header=BB2_308 Depth=4
	s_sleep 1
	s_trap 2
	ds_read_b64 v[6:7], v0
	s_waitcnt lgkmcnt(0)
	s_andn2_b64 s[48:49], s[48:49], exec
	v_cmp_ge_u64_e32 vcc, v[6:7], v[32:33]
	s_orn2_b64 vcc, vcc, exec
	s_branch .LBB2_307
.LBB2_312:                              ;   in Loop: Header=BB2_272 Depth=3
	s_or_b64 exec, exec, s[46:47]
	s_and_saveexec_b64 s[46:47], s[38:39]
	s_xor_b64 s[46:47], exec, s[46:47]
	s_cbranch_execz .LBB2_314
; %bb.313:                              ;   in Loop: Header=BB2_272 Depth=3
	v_mov_b32_e32 v1, 1
	ds_write_b32 v0, v1
	s_trap 2
.LBB2_314:                              ;   in Loop: Header=BB2_272 Depth=3
	s_or_b64 exec, exec, s[44:45]
	;;#ASMSTART
	s_wakeup
	;;#ASMEND
.LBB2_315:                              ;   in Loop: Header=BB2_272 Depth=3
	s_or_b64 exec, exec, s[42:43]
.LBB2_316:                              ;   in Loop: Header=BB2_272 Depth=3
	s_andn2_saveexec_b64 s[40:41], s[40:41]
	s_cbranch_execz .LBB2_318
; %bb.317:                              ;   in Loop: Header=BB2_272 Depth=3
	s_waitcnt vmcnt(0) lgkmcnt(0)
	buffer_wbinvl1_vol
	s_barrier
.LBB2_318:                              ;   in Loop: Header=BB2_272 Depth=3
	s_or_b64 exec, exec, s[40:41]
.LBB2_319:                              ;   in Loop: Header=BB2_272 Depth=3
	s_or_b64 exec, exec, s[28:29]
	s_trap 2
	ds_read_b32 v1, v0
	v_and_b32_e32 v3, 0x4000, v20
	v_cmp_ne_u32_e32 vcc, 0, v3
	s_xor_b64 s[28:29], s[10:11], -1
	s_and_b64 s[40:41], s[28:29], vcc
	s_and_saveexec_b64 s[28:29], s[40:41]
	s_cbranch_execz .LBB2_338
; %bb.320:                              ;   in Loop: Header=BB2_272 Depth=3
	s_and_saveexec_b64 s[40:41], s[72:73]
	s_xor_b64 s[40:41], exec, s[40:41]
	s_cbranch_execz .LBB2_335
; %bb.321:                              ;   in Loop: Header=BB2_272 Depth=3
	s_and_saveexec_b64 s[42:43], s[6:7]
	s_cbranch_execz .LBB2_334
; %bb.322:                              ;   in Loop: Header=BB2_272 Depth=3
	s_mov_b64 s[46:47], exec
	v_mbcnt_lo_u32_b32 v3, s46, 0
	v_mbcnt_hi_u32_b32 v3, s47, v3
	v_cmp_eq_u32_e32 vcc, 0, v3
	s_waitcnt vmcnt(0) lgkmcnt(0)
	buffer_wbinvl1_vol
	s_and_saveexec_b64 s[44:45], vcc
	s_cbranch_execz .LBB2_324
; %bb.323:                              ;   in Loop: Header=BB2_272 Depth=3
	s_bcnt1_i32_b64 s46, s[46:47]
	v_mov_b32_e32 v34, s46
	ds_add_u64 v0, v[34:35]
	s_trap 2
.LBB2_324:                              ;   in Loop: Header=BB2_272 Depth=3
	s_or_b64 exec, exec, s[44:45]
	s_trap 2
	ds_read_b64 v[6:7], v0
	s_waitcnt lgkmcnt(0)
	v_add_co_u32_e32 v32, vcc, v32, v17
	v_addc_co_u32_e32 v33, vcc, 0, v33, vcc
	v_cmp_lt_u64_e32 vcc, v[6:7], v[32:33]
	s_and_saveexec_b64 s[44:45], vcc
	s_cbranch_execz .LBB2_333
; %bb.325:                              ;   in Loop: Header=BB2_272 Depth=3
	s_mov_b32 s54, 0
	s_mov_b64 s[46:47], 0
                                        ; implicit-def: $sgpr38_sgpr39
                                        ; implicit-def: $sgpr48_sgpr49
	s_branch .LBB2_327
.LBB2_326:                              ;   in Loop: Header=BB2_327 Depth=4
	s_or_b64 exec, exec, s[52:53]
	s_and_b64 vcc, exec, vcc
	s_or_b64 s[46:47], vcc, s[46:47]
	s_andn2_b64 vcc, s[38:39], exec
	s_and_b64 s[38:39], s[48:49], exec
	s_or_b64 s[38:39], vcc, s[38:39]
	s_andn2_b64 exec, exec, s[46:47]
	s_cbranch_execz .LBB2_331
.LBB2_327:                              ;   Parent Loop BB2_47 Depth=1
                                        ;     Parent Loop BB2_269 Depth=2
                                        ;       Parent Loop BB2_272 Depth=3
                                        ; =>      This Inner Loop Header: Depth=4
	s_add_i32 s54, s54, 1
	s_cmpk_lg_i32 s54, 0x2710
	s_cselect_b64 s[50:51], -1, 0
	s_and_b64 vcc, exec, s[50:51]
	s_cbranch_vccz .LBB2_329
; %bb.328:                              ;   in Loop: Header=BB2_327 Depth=4
	s_mov_b64 vcc, -1
	s_or_b64 s[48:49], s[48:49], exec
	s_and_saveexec_b64 s[52:53], s[50:51]
	s_cbranch_execz .LBB2_326
	s_branch .LBB2_330
.LBB2_329:                              ;   in Loop: Header=BB2_327 Depth=4
	s_trap 2
	ds_read_b64 v[6:7], v0
	s_andn2_b64 s[50:51], s[50:51], exec
	s_mov_b32 s54, 0
	s_waitcnt lgkmcnt(0)
	flat_load_dword v3, v[6:7] glc
	s_waitcnt vmcnt(0) lgkmcnt(0)
	buffer_wbinvl1_vol
	v_cmp_eq_u32_e32 vcc, 0, v3
	s_and_b64 vcc, vcc, exec
	s_or_b64 s[50:51], s[50:51], vcc
	s_mov_b64 vcc, -1
	s_or_b64 s[48:49], s[48:49], exec
	s_and_saveexec_b64 s[52:53], s[50:51]
	s_cbranch_execz .LBB2_326
.LBB2_330:                              ;   in Loop: Header=BB2_327 Depth=4
	s_sleep 1
	s_trap 2
	ds_read_b64 v[6:7], v0
	s_waitcnt lgkmcnt(0)
	s_andn2_b64 s[48:49], s[48:49], exec
	v_cmp_ge_u64_e32 vcc, v[6:7], v[32:33]
	s_orn2_b64 vcc, vcc, exec
	s_branch .LBB2_326
.LBB2_331:                              ;   in Loop: Header=BB2_272 Depth=3
	s_or_b64 exec, exec, s[46:47]
	s_and_saveexec_b64 s[46:47], s[38:39]
	s_xor_b64 s[46:47], exec, s[46:47]
	s_cbranch_execz .LBB2_333
; %bb.332:                              ;   in Loop: Header=BB2_272 Depth=3
	v_mov_b32_e32 v3, 1
	ds_write_b32 v0, v3
	s_trap 2
.LBB2_333:                              ;   in Loop: Header=BB2_272 Depth=3
	s_or_b64 exec, exec, s[44:45]
	;;#ASMSTART
	s_wakeup
	;;#ASMEND
.LBB2_334:                              ;   in Loop: Header=BB2_272 Depth=3
	s_or_b64 exec, exec, s[42:43]
.LBB2_335:                              ;   in Loop: Header=BB2_272 Depth=3
	s_andn2_saveexec_b64 s[40:41], s[40:41]
	s_cbranch_execz .LBB2_337
; %bb.336:                              ;   in Loop: Header=BB2_272 Depth=3
	s_waitcnt vmcnt(0) lgkmcnt(0)
	buffer_wbinvl1_vol
	s_barrier
.LBB2_337:                              ;   in Loop: Header=BB2_272 Depth=3
	s_or_b64 exec, exec, s[40:41]
.LBB2_338:                              ;   in Loop: Header=BB2_272 Depth=3
	s_or_b64 exec, exec, s[28:29]
	s_trap 2
	ds_read_b64 v[44:45], v0
	s_waitcnt lgkmcnt(0)
	v_cmp_eq_u64_e32 vcc, 0, v[44:45]
	s_cbranch_vccnz .LBB2_346
; %bb.339:                              ;   in Loop: Header=BB2_272 Depth=3
	s_trap 2
	ds_read_b64 v[42:43], v0
	s_waitcnt lgkmcnt(0)
	v_cmp_eq_u64_e32 vcc, 0, v[42:43]
	s_cbranch_vccnz .LBB2_346
; %bb.340:                              ;   in Loop: Header=BB2_272 Depth=3
	s_trap 2
	ds_read_b64 v[6:7], v0
	s_mov_b64 s[28:29], -1
	s_waitcnt lgkmcnt(0)
	v_readfirstlane_b32 s70, v6
	s_and_saveexec_b64 s[40:41], s[24:25]
	s_cbranch_execz .LBB2_342
; %bb.341:                              ;   in Loop: Header=BB2_272 Depth=3
	ds_read_b32 v3, v0 offset:720
	s_waitcnt lgkmcnt(0)
	v_and_b32_e32 v3, 15, v3
	v_cmp_eq_u32_e32 vcc, 0, v3
	s_orn2_b64 s[28:29], vcc, exec
.LBB2_342:                              ;   in Loop: Header=BB2_272 Depth=3
	s_or_b64 exec, exec, s[40:41]
	s_and_saveexec_b64 s[40:41], s[16:17]
	s_cbranch_execz .LBB2_344
; %bb.343:                              ;   in Loop: Header=BB2_272 Depth=3
	ds_read_b32 v3, v0 offset:784
	s_waitcnt lgkmcnt(0)
	v_and_b32_e32 v3, 15, v3
	v_cmp_eq_u32_e32 vcc, 0, v3
	s_and_b64 s[42:43], s[28:29], vcc
	s_andn2_b64 s[28:29], s[28:29], exec
	s_and_b64 s[42:43], s[42:43], exec
	s_or_b64 s[28:29], s[28:29], s[42:43]
.LBB2_344:                              ;   in Loop: Header=BB2_272 Depth=3
	s_or_b64 exec, exec, s[40:41]
	buffer_load_dword v21, off, s[0:3], s33 offset:128 ; 4-byte Folded Reload
	v_cmp_eq_u32_e32 vcc, 0, v1
	s_xor_b64 s[28:29], s[28:29], -1
	v_cndmask_b32_e32 v38, 0, v54, vcc
	v_cndmask_b32_e64 v1, 0, 1, s[28:29]
	s_mov_b64 s[40:41], -1
	v_cmp_ne_u32_e32 vcc, 0, v1
	v_mov_b32_e32 v6, 0
	v_mov_b32_e32 v7, v38
	s_cbranch_vccz .LBB2_347
; %bb.345:                              ;   in Loop: Header=BB2_272 Depth=3
	s_and_saveexec_b64 s[44:45], s[40:41]
	s_cbranch_execnz .LBB2_1766
	s_branch .LBB2_2206
.LBB2_346:                              ;   in Loop: Header=BB2_272 Depth=3
	s_mov_b64 s[28:29], 0
	s_and_saveexec_b64 s[40:41], s[12:13]
	s_cbranch_execnz .LBB2_2207
	s_branch .LBB2_2225
.LBB2_347:                              ;   in Loop: Header=BB2_272 Depth=3
	buffer_load_dword v1, off, s[0:3], s33 offset:140 ; 4-byte Folded Reload
	s_waitcnt vmcnt(0)
	v_sub_u32_e32 v7, v38, v1
	v_ashrrev_i32_e32 v1, 31, v38
	v_lshrrev_b32_e32 v1, 22, v1
	v_add_u32_e32 v1, v38, v1
	v_ashrrev_i32_e32 v3, 10, v1
	v_and_b32_e32 v4, 0xfffffc00, v1
	buffer_load_dword v1, off, s[0:3], s33 offset:144 ; 4-byte Folded Reload
	v_sub_u32_e32 v8, v38, v4
	v_cmp_lt_i32_e64 s[28:29], 15, v8
	s_waitcnt vmcnt(0)
	v_sub_u32_e32 v1, v3, v1
	v_addc_co_u32_e64 v27, vcc, 0, v1, s[28:29]
	v_cmp_lt_i32_e32 vcc, 15, v7
	s_and_saveexec_b64 s[38:39], vcc
	s_cbranch_execz .LBB2_1055
; %bb.348:                              ;   in Loop: Header=BB2_272 Depth=3
	buffer_store_dword v8, off, s[0:3], s33 offset:156 ; 4-byte Folded Spill
	buffer_store_dword v4, off, s[0:3], s33 offset:152 ; 4-byte Folded Spill
	s_trap 2
	buffer_load_dword v1, off, s[0:3], s33 offset:140 ; 4-byte Folded Reload
	ds_read_b64 v[8:9], v0
	s_bitcmp1_b32 s70, 0
	s_mov_b64 s[48:49], 0
	s_cselect_b64 s[50:51], -1, 0
	s_waitcnt vmcnt(0)
	v_add_co_u32_e32 v46, vcc, v44, v1
	v_addc_co_u32_e32 v47, vcc, 0, v45, vcc
	s_waitcnt lgkmcnt(0)
	v_add_co_u32_e32 v55, vcc, v8, v1
	v_addc_co_u32_e32 v56, vcc, 0, v9, vcc
	v_add_co_u32_e32 v57, vcc, v42, v1
	v_addc_co_u32_e32 v58, vcc, 0, v43, vcc
	s_branch .LBB2_350
.LBB2_349:                              ;   in Loop: Header=BB2_350 Depth=4
	s_or_b64 exec, exec, s[40:41]
	v_lshl_or_b32 v3, v6, 8, v61
	v_lshlrev_b32_e32 v4, 16, v31
	v_lshlrev_b32_e32 v6, 24, v30
	v_or3_b32 v10, v3, v4, v6
	v_lshl_or_b32 v3, v21, 8, v16
	v_lshlrev_b32_e32 v4, 16, v36
	v_lshlrev_b32_e32 v6, 24, v39
	v_add_co_u32_e32 v46, vcc, v46, v5
	v_or3_b32 v9, v3, v4, v6
	v_lshl_or_b32 v3, v60, 8, v59
	v_lshlrev_b32_e32 v1, 16, v1
	v_lshlrev_b32_e32 v4, 24, v26
	v_addc_co_u32_e32 v47, vcc, 0, v47, vcc
	v_or3_b32 v11, v3, v1, v4
	v_lshlrev_b32_e32 v1, 24, v8
	v_lshlrev_b32_e32 v3, 16, v12
	v_lshl_or_b32 v4, v19, 8, v18
	v_add_co_u32_e32 v55, vcc, v55, v5
	v_or3_b32 v12, v4, v3, v1
	v_addc_co_u32_e32 v56, vcc, 0, v56, vcc
	global_store_dwordx4 v[57:58], v[9:12], off glc slc
	v_add_co_u32_e32 v57, vcc, v57, v5
	v_addc_co_u32_e32 v58, vcc, 0, v58, vcc
	v_sub_u32_e32 v7, v7, v5
	v_cmp_gt_i32_e32 vcc, 16, v7
	s_or_b64 s[48:49], vcc, s[48:49]
	v_sub_u32_e32 v27, v27, v17
	s_andn2_b64 exec, exec, s[48:49]
	s_cbranch_execz .LBB2_1054
.LBB2_350:                              ;   Parent Loop BB2_47 Depth=1
                                        ;     Parent Loop BB2_269 Depth=2
                                        ;       Parent Loop BB2_272 Depth=3
                                        ; =>      This Inner Loop Header: Depth=4
	global_load_dwordx4 v[8:11], v[46:47], off glc slc
	global_load_dwordx4 v[12:15], v[55:56], off glc slc
	s_mov_b64 s[44:45], -1
                                        ; implicit-def: $vgpr6
	s_waitcnt vmcnt(1)
	v_cmp_ne_u16_sdwa s[42:43], v8, v35 src0_sel:BYTE_0 src1_sel:DWORD
	s_waitcnt vmcnt(0)
	v_and_b32_e32 v1, 7, v12
	v_ffbh_u32_e32 v1, v1
	v_and_b32_e32 v3, 0x7f, v12
	v_min_u32_e32 v1, 32, v1
	v_cmp_eq_u32_e64 s[40:41], s97, v3
	v_cmp_gt_u32_e32 vcc, 8, v3
	v_subrev_u32_e32 v3, 28, v1
	v_cndmask_b32_e32 v3, 0, v3, vcc
	v_lshlrev_b64 v[18:19], v3, v[12:13]
	v_bfe_u32 v4, v12, 3, 4
	v_sub_u32_e32 v1, 29, v1
	v_cndmask_b32_e32 v1, v4, v1, vcc
	v_lshlrev_b32_e32 v3, 20, v18
	v_lshlrev_b32_e32 v4, 24, v12
	v_and_b32_e32 v3, 0x700000, v3
	v_and_b32_e32 v4, 0x80000000, v4
	v_lshl_add_u32 v1, v1, 23, v48
	v_or3_b32 v1, v4, v1, v3
	s_and_b64 vcc, exec, s[50:51]
	s_cbranch_vccz .LBB2_364
; %bb.351:                              ;   in Loop: Header=BB2_350 Depth=4
	v_mov_b32_e32 v6, 0
	s_and_saveexec_b64 s[44:45], s[42:43]
	s_cbranch_execz .LBB2_357
; %bb.352:                              ;   in Loop: Header=BB2_350 Depth=4
	v_cmp_ne_u16_sdwa vcc, v8, s59 src0_sel:BYTE_0 src1_sel:DWORD
	v_bfrev_b32_e32 v6, 1
	s_and_saveexec_b64 s[46:47], vcc
	s_cbranch_execz .LBB2_356
; %bb.353:                              ;   in Loop: Header=BB2_350 Depth=4
	v_and_b32_e32 v16, 0x7f, v8
	v_cmp_ne_u32_e32 vcc, s97, v16
	v_mov_b32_e32 v6, 0x7f800001
	s_and_saveexec_b64 s[52:53], vcc
	s_cbranch_execz .LBB2_355
; %bb.354:                              ;   in Loop: Header=BB2_350 Depth=4
	v_and_b32_e32 v3, 7, v8
	v_ffbh_u32_e32 v3, v3
	v_min_u32_e32 v3, 32, v3
	v_lshrrev_b32_e32 v4, 3, v16
	v_cmp_gt_u32_e32 vcc, 8, v16
	v_subrev_u32_e32 v6, 28, v3
	v_sub_u32_e32 v3, 29, v3
	v_cndmask_b32_e32 v3, v4, v3, vcc
	v_cndmask_b32_e32 v4, 0, v6, vcc
	v_lshlrev_b64 v[18:19], v4, v[8:9]
	v_lshlrev_b32_e32 v6, 24, v8
	v_lshlrev_b32_e32 v4, 20, v18
	v_and_b32_e32 v4, 0x700000, v4
	v_and_b32_e32 v6, 0x80000000, v6
	v_lshl_add_u32 v3, v3, 23, v48
	v_or3_b32 v6, v6, v3, v4
.LBB2_355:                              ;   in Loop: Header=BB2_350 Depth=4
	s_or_b64 exec, exec, s[52:53]
.LBB2_356:                              ;   in Loop: Header=BB2_350 Depth=4
	s_or_b64 exec, exec, s[46:47]
.LBB2_357:                              ;   in Loop: Header=BB2_350 Depth=4
	s_or_b64 exec, exec, s[44:45]
	v_cmp_gt_i16_sdwa s[46:47], v12, s97 src0_sel:BYTE_0 src1_sel:DWORD
	s_mov_b64 s[44:45], 0
	s_and_saveexec_b64 vcc, s[46:47]
	s_xor_b64 s[46:47], exec, vcc
	s_cbranch_execz .LBB2_1006
; %bb.358:                              ;   in Loop: Header=BB2_350 Depth=4
	v_cmp_eq_u16_sdwa s[52:53], v12, s59 src0_sel:BYTE_0 src1_sel:DWORD
	s_mov_b64 s[44:45], -1
	s_and_saveexec_b64 vcc, s[52:53]
; %bb.359:                              ;   in Loop: Header=BB2_350 Depth=4
	s_xor_b64 s[44:45], exec, -1
; %bb.360:                              ;   in Loop: Header=BB2_350 Depth=4
	s_or_b64 exec, exec, vcc
	s_and_b64 s[44:45], s[44:45], exec
	s_or_saveexec_b64 s[46:47], s[46:47]
	v_bfrev_b32_e32 v16, 1
	s_xor_b64 exec, exec, s[46:47]
	s_cbranch_execnz .LBB2_1007
.LBB2_361:                              ;   in Loop: Header=BB2_350 Depth=4
	s_or_b64 exec, exec, s[46:47]
	s_and_saveexec_b64 s[46:47], s[44:45]
.LBB2_362:                              ;   in Loop: Header=BB2_350 Depth=4
	v_cndmask_b32_e64 v16, v1, v49, s[40:41]
.LBB2_363:                              ;   in Loop: Header=BB2_350 Depth=4
	s_or_b64 exec, exec, s[46:47]
	v_max_f32_e32 v3, v16, v16
	v_max_f32_e32 v4, v6, v6
	;; [unrolled: 1-line block ×3, first 2 shown]
	s_mov_b64 s[44:45], 0
.LBB2_364:                              ;   in Loop: Header=BB2_350 Depth=4
	s_and_b64 vcc, exec, s[44:45]
	s_cbranch_vccz .LBB2_378
; %bb.365:                              ;   in Loop: Header=BB2_350 Depth=4
	v_mov_b32_e32 v6, 0
	s_and_saveexec_b64 s[44:45], s[42:43]
	s_cbranch_execz .LBB2_371
; %bb.366:                              ;   in Loop: Header=BB2_350 Depth=4
	v_cmp_ne_u16_sdwa s[46:47], v8, s59 src0_sel:BYTE_0 src1_sel:DWORD
	v_bfrev_b32_e32 v6, 1
	s_and_saveexec_b64 s[42:43], s[46:47]
	s_cbranch_execz .LBB2_370
; %bb.367:                              ;   in Loop: Header=BB2_350 Depth=4
	v_and_b32_e32 v16, 0x7f, v8
	v_cmp_ne_u32_e32 vcc, s97, v16
	v_mov_b32_e32 v6, 0x7f800001
	s_and_saveexec_b64 s[46:47], vcc
	s_cbranch_execz .LBB2_369
; %bb.368:                              ;   in Loop: Header=BB2_350 Depth=4
	v_and_b32_e32 v3, 7, v8
	v_ffbh_u32_e32 v3, v3
	v_min_u32_e32 v3, 32, v3
	v_lshrrev_b32_e32 v4, 3, v16
	v_cmp_gt_u32_e32 vcc, 8, v16
	v_subrev_u32_e32 v6, 28, v3
	v_sub_u32_e32 v3, 29, v3
	v_cndmask_b32_e32 v3, v4, v3, vcc
	v_cndmask_b32_e32 v4, 0, v6, vcc
	v_lshlrev_b64 v[18:19], v4, v[8:9]
	v_lshlrev_b32_e32 v6, 24, v8
	v_lshlrev_b32_e32 v4, 20, v18
	v_and_b32_e32 v4, 0x700000, v4
	v_and_b32_e32 v6, 0x80000000, v6
	v_lshl_add_u32 v3, v3, 23, v48
	v_or3_b32 v6, v6, v3, v4
.LBB2_369:                              ;   in Loop: Header=BB2_350 Depth=4
	s_or_b64 exec, exec, s[46:47]
.LBB2_370:                              ;   in Loop: Header=BB2_350 Depth=4
	s_or_b64 exec, exec, s[42:43]
.LBB2_371:                              ;   in Loop: Header=BB2_350 Depth=4
	s_or_b64 exec, exec, s[44:45]
	v_cmp_gt_i16_sdwa s[44:45], v12, s97 src0_sel:BYTE_0 src1_sel:DWORD
	s_mov_b64 s[42:43], 0
	s_and_saveexec_b64 s[46:47], s[44:45]
	s_xor_b64 s[44:45], exec, s[46:47]
	s_cbranch_execz .LBB2_1008
; %bb.372:                              ;   in Loop: Header=BB2_350 Depth=4
	v_cmp_eq_u16_sdwa vcc, v12, s59 src0_sel:BYTE_0 src1_sel:DWORD
	s_mov_b64 s[42:43], -1
	s_and_saveexec_b64 s[46:47], vcc
; %bb.373:                              ;   in Loop: Header=BB2_350 Depth=4
	s_xor_b64 s[42:43], exec, -1
; %bb.374:                              ;   in Loop: Header=BB2_350 Depth=4
	s_or_b64 exec, exec, s[46:47]
	s_and_b64 s[42:43], s[42:43], exec
	s_or_saveexec_b64 s[44:45], s[44:45]
	v_bfrev_b32_e32 v16, 1
	s_xor_b64 exec, exec, s[44:45]
	s_cbranch_execnz .LBB2_1009
.LBB2_375:                              ;   in Loop: Header=BB2_350 Depth=4
	s_or_b64 exec, exec, s[44:45]
	s_and_saveexec_b64 s[44:45], s[42:43]
.LBB2_376:                              ;   in Loop: Header=BB2_350 Depth=4
	v_cndmask_b32_e64 v16, v1, v49, s[40:41]
.LBB2_377:                              ;   in Loop: Header=BB2_350 Depth=4
	s_or_b64 exec, exec, s[44:45]
	v_max_f32_e32 v1, v16, v16
	v_max_f32_e32 v3, v6, v6
	v_min_f32_e32 v6, v3, v1
.LBB2_378:                              ;   in Loop: Header=BB2_350 Depth=4
	v_and_b32_e32 v34, 0x7f800000, v6
	v_cmp_ne_u64_e32 vcc, s[90:91], v[34:35]
                                        ; implicit-def: $vgpr16
	s_and_saveexec_b64 s[40:41], vcc
	s_xor_b64 s[42:43], exec, s[40:41]
	s_cbranch_execz .LBB2_392
; %bb.379:                              ;   in Loop: Header=BB2_350 Depth=4
	v_and_b32_e32 v34, 0x7fffffff, v6
	v_cmp_gt_u64_e32 vcc, s[92:93], v[34:35]
	v_and_b32_sdwa v1, v6, s59 dst_sel:DWORD dst_unused:UNUSED_PAD src0_sel:BYTE_3 src1_sel:DWORD
                                        ; implicit-def: $vgpr16
	s_and_saveexec_b64 s[40:41], vcc
	s_xor_b64 s[44:45], exec, s[40:41]
	s_cbranch_execz .LBB2_389
; %bb.380:                              ;   in Loop: Header=BB2_350 Depth=4
	v_mov_b32_e32 v16, 0
	v_cmp_ne_u32_e32 vcc, 0, v6
	s_and_saveexec_b64 s[46:47], vcc
	s_cbranch_execz .LBB2_388
; %bb.381:                              ;   in Loop: Header=BB2_350 Depth=4
	v_and_b32_e32 v3, 0x7fffff, v6
	v_bfe_u32 v6, v6, 23, 8
	v_cmp_gt_u32_e64 s[40:41], s56, v6
	v_sub_u32_e32 v4, 0x79, v6
	v_cmp_eq_u32_e32 vcc, 0, v6
	v_cndmask_b32_e64 v4, 0, v4, s[40:41]
	v_mov_b32_e32 v16, 0x78
	v_or_b32_e32 v18, 0x800000, v3
	v_cndmask_b32_e32 v16, v4, v16, vcc
	v_cndmask_b32_e32 v34, v18, v3, vcc
	v_add_u32_e32 v3, 20, v16
	v_lshlrev_b64 v[18:19], v3, -1
	v_add_u32_e32 v3, 19, v16
	v_lshlrev_b64 v[24:25], v3, 1
	v_lshrrev_b64 v[59:60], v16, v[34:35]
	v_bfi_b32 v19, v19, 0, 0
	v_bfi_b32 v18, v18, 0, v34
	v_cmp_eq_u64_e64 s[40:41], v[18:19], v[24:25]
	v_mov_b32_e32 v61, v60
	v_mov_b32_e32 v60, v59
	s_and_saveexec_b64 s[52:53], s[40:41]
; %bb.382:                              ;   in Loop: Header=BB2_350 Depth=4
	v_bfe_u32 v3, v59, 20, 1
	v_add_co_u32_e64 v3, s[40:41], v59, v3
	v_add_co_u32_e64 v60, s[40:41], -1, v3
; %bb.383:                              ;   in Loop: Header=BB2_350 Depth=4
	s_or_b64 exec, exec, s[52:53]
	v_add_u32_e32 v3, 0xffffff81, v6
	v_cndmask_b32_e32 v3, v3, v52, vcc
	v_lshrrev_b32_e32 v4, 23, v59
	v_add3_u32 v18, v16, v3, v4
	v_add_u32_e32 v16, 6, v18
	v_and_b32_e32 v3, 0xfffff, v60
	v_add_u32_e32 v34, v3, v59
	v_cmp_ne_u32_e32 vcc, 0, v16
                                        ; implicit-def: $vgpr59_vgpr60
                                        ; implicit-def: $vgpr6
	s_and_saveexec_b64 s[40:41], vcc
	s_xor_b64 s[40:41], exec, s[40:41]
; %bb.384:                              ;   in Loop: Header=BB2_350 Depth=4
	v_cmp_lt_u64_e32 vcc, s[94:95], v[34:35]
	v_add_u32_e32 v3, 7, v18
	v_cndmask_b32_e32 v6, v16, v3, vcc
	v_cndmask_b32_e64 v3, 0, 1, vcc
	v_lshrrev_b64 v[59:60], v3, v[34:35]
; %bb.385:                              ;   in Loop: Header=BB2_350 Depth=4
	s_andn2_saveexec_b64 s[40:41], s[40:41]
; %bb.386:                              ;   in Loop: Header=BB2_350 Depth=4
	v_mov_b32_e32 v60, v35
	v_bfe_u32 v6, v34, 23, 1
	v_mov_b32_e32 v59, v34
; %bb.387:                              ;   in Loop: Header=BB2_350 Depth=4
	s_or_b64 exec, exec, s[40:41]
	v_lshrrev_b64 v[18:19], 20, v[59:60]
	v_cmp_gt_i32_e32 vcc, 16, v6
	v_cndmask_b32_e32 v19, 0, v19, vcc
	v_cndmask_b32_e32 v18, 7, v18, vcc
	v_min_i32_e32 v3, 15, v6
	v_cmp_eq_u64_e64 s[40:41], 0, v[18:19]
	v_lshlrev_b32_e32 v3, 3, v3
	v_cmp_eq_u32_e32 vcc, 0, v6
	v_and_b32_e32 v3, 0xf8, v3
	v_and_or_b32 v3, v18, 7, v3
	s_and_b64 s[40:41], vcc, s[40:41]
	v_cndmask_b32_e64 v3, v3, 0, s[40:41]
	v_or_b32_e32 v16, v3, v1
.LBB2_388:                              ;   in Loop: Header=BB2_350 Depth=4
	s_or_b64 exec, exec, s[46:47]
                                        ; implicit-def: $vgpr1
.LBB2_389:                              ;   in Loop: Header=BB2_350 Depth=4
	s_andn2_saveexec_b64 s[40:41], s[44:45]
; %bb.390:                              ;   in Loop: Header=BB2_350 Depth=4
	v_or_b32_e32 v16, 0x7e, v1
; %bb.391:                              ;   in Loop: Header=BB2_350 Depth=4
	s_or_b64 exec, exec, s[40:41]
                                        ; implicit-def: $vgpr6
.LBB2_392:                              ;   in Loop: Header=BB2_350 Depth=4
	s_andn2_saveexec_b64 s[40:41], s[42:43]
; %bb.393:                              ;   in Loop: Header=BB2_350 Depth=4
	v_or_b32_sdwa v16, v6, s97 dst_sel:DWORD dst_unused:UNUSED_PAD src0_sel:BYTE_3 src1_sel:DWORD
; %bb.394:                              ;   in Loop: Header=BB2_350 Depth=4
	s_or_b64 exec, exec, s[40:41]
	v_lshrrev_b16_e32 v34, 8, v12
	v_and_b32_e32 v1, 7, v34
	v_and_b32_e32 v3, 0x7f, v34
	v_cmp_eq_u32_e64 s[40:41], s97, v3
	v_cmp_gt_u32_e32 vcc, 8, v3
	v_ffbh_u32_e32 v3, v1
	v_min_u32_e32 v3, 32, v3
	v_subrev_u32_e32 v6, 28, v3
	v_lshlrev_b64 v[18:19], v6, v[34:35]
	v_bfe_u32 v4, v34, 3, 4
	v_sub_u32_e32 v3, 29, v3
	v_and_b32_e32 v6, 7, v18
	v_cndmask_b32_e32 v3, v4, v3, vcc
	v_cndmask_b32_e32 v1, v1, v6, vcc
	v_lshlrev_b32_e32 v4, 24, v34
	v_lshlrev_b32_e32 v1, 20, v1
	v_and_b32_e32 v4, 0x80000000, v4
	v_lshl_add_u32 v3, v3, 23, v48
	v_lshrrev_b16_e32 v30, 8, v8
	v_or3_b32 v1, v4, v3, v1
	v_cmp_ne_u16_e64 s[42:43], 0, v30
	s_mov_b64 s[44:45], -1
	s_and_b64 vcc, exec, s[50:51]
                                        ; implicit-def: $vgpr6
	s_cbranch_vccz .LBB2_408
; %bb.395:                              ;   in Loop: Header=BB2_350 Depth=4
	v_mov_b32_e32 v6, 0
	s_and_saveexec_b64 s[44:45], s[42:43]
	s_cbranch_execz .LBB2_401
; %bb.396:                              ;   in Loop: Header=BB2_350 Depth=4
	v_cmp_ne_u16_e32 vcc, s59, v30
	v_bfrev_b32_e32 v6, 1
	s_and_saveexec_b64 s[46:47], vcc
	s_cbranch_execz .LBB2_400
; %bb.397:                              ;   in Loop: Header=BB2_350 Depth=4
	v_and_b32_e32 v18, 0x7f, v30
	v_cmp_ne_u32_e32 vcc, s97, v18
	v_mov_b32_e32 v6, 0x7f800001
	s_and_saveexec_b64 s[52:53], vcc
	s_cbranch_execz .LBB2_399
; %bb.398:                              ;   in Loop: Header=BB2_350 Depth=4
	v_and_b32_e32 v3, 7, v30
	v_ffbh_u32_e32 v6, v3
	v_min_u32_e32 v6, 32, v6
	v_lshrrev_b32_e32 v4, 3, v18
	v_cmp_gt_u32_e32 vcc, 8, v18
	v_subrev_u32_e32 v18, 28, v6
	v_lshlrev_b64 v[18:19], v18, v[30:31]
	v_sub_u32_e32 v6, 29, v6
	v_and_b32_e32 v18, 7, v18
	v_cndmask_b32_e32 v4, v4, v6, vcc
	v_cndmask_b32_e32 v3, v3, v18, vcc
	v_lshlrev_b32_e32 v6, 16, v8
	v_lshlrev_b32_e32 v3, 20, v3
	v_and_b32_e32 v6, 0x80000000, v6
	v_lshl_add_u32 v4, v4, 23, v48
	v_or3_b32 v6, v6, v4, v3
.LBB2_399:                              ;   in Loop: Header=BB2_350 Depth=4
	s_or_b64 exec, exec, s[52:53]
.LBB2_400:                              ;   in Loop: Header=BB2_350 Depth=4
	s_or_b64 exec, exec, s[46:47]
.LBB2_401:                              ;   in Loop: Header=BB2_350 Depth=4
	s_or_b64 exec, exec, s[44:45]
	v_cmp_lt_i16_e32 vcc, s97, v34
	s_mov_b64 s[44:45], 0
	s_and_saveexec_b64 s[46:47], vcc
	s_xor_b64 s[46:47], exec, s[46:47]
	s_cbranch_execz .LBB2_1010
; %bb.402:                              ;   in Loop: Header=BB2_350 Depth=4
	v_cmp_eq_u16_e32 vcc, s59, v34
	s_mov_b64 s[44:45], -1
	s_and_saveexec_b64 s[52:53], vcc
; %bb.403:                              ;   in Loop: Header=BB2_350 Depth=4
	s_xor_b64 s[44:45], exec, -1
; %bb.404:                              ;   in Loop: Header=BB2_350 Depth=4
	s_or_b64 exec, exec, s[52:53]
	s_and_b64 s[44:45], s[44:45], exec
	s_or_saveexec_b64 s[46:47], s[46:47]
	v_bfrev_b32_e32 v18, 1
	s_xor_b64 exec, exec, s[46:47]
	s_cbranch_execnz .LBB2_1011
.LBB2_405:                              ;   in Loop: Header=BB2_350 Depth=4
	s_or_b64 exec, exec, s[46:47]
	s_and_saveexec_b64 s[46:47], s[44:45]
.LBB2_406:                              ;   in Loop: Header=BB2_350 Depth=4
	v_cndmask_b32_e64 v18, v1, v49, s[40:41]
.LBB2_407:                              ;   in Loop: Header=BB2_350 Depth=4
	s_or_b64 exec, exec, s[46:47]
	v_max_f32_e32 v3, v18, v18
	v_max_f32_e32 v4, v6, v6
	;; [unrolled: 1-line block ×3, first 2 shown]
	s_mov_b64 s[44:45], 0
.LBB2_408:                              ;   in Loop: Header=BB2_350 Depth=4
	s_and_b64 vcc, exec, s[44:45]
	s_cbranch_vccz .LBB2_422
; %bb.409:                              ;   in Loop: Header=BB2_350 Depth=4
	v_mov_b32_e32 v6, 0
	s_and_saveexec_b64 s[44:45], s[42:43]
	s_cbranch_execz .LBB2_415
; %bb.410:                              ;   in Loop: Header=BB2_350 Depth=4
	v_cmp_ne_u16_e32 vcc, s59, v30
	v_bfrev_b32_e32 v6, 1
	s_and_saveexec_b64 s[42:43], vcc
	s_cbranch_execz .LBB2_414
; %bb.411:                              ;   in Loop: Header=BB2_350 Depth=4
	v_and_b32_e32 v18, 0x7f, v30
	v_cmp_ne_u32_e32 vcc, s97, v18
	v_mov_b32_e32 v6, 0x7f800001
	s_and_saveexec_b64 s[46:47], vcc
	s_cbranch_execz .LBB2_413
; %bb.412:                              ;   in Loop: Header=BB2_350 Depth=4
	v_and_b32_e32 v3, 7, v30
	v_ffbh_u32_e32 v6, v3
	v_min_u32_e32 v6, 32, v6
	v_lshrrev_b32_e32 v4, 3, v18
	v_cmp_gt_u32_e32 vcc, 8, v18
	v_subrev_u32_e32 v18, 28, v6
	v_lshlrev_b64 v[18:19], v18, v[30:31]
	v_sub_u32_e32 v6, 29, v6
	v_and_b32_e32 v18, 7, v18
	v_cndmask_b32_e32 v4, v4, v6, vcc
	v_cndmask_b32_e32 v3, v3, v18, vcc
	v_lshlrev_b32_e32 v6, 16, v8
	v_lshlrev_b32_e32 v3, 20, v3
	v_and_b32_e32 v6, 0x80000000, v6
	v_lshl_add_u32 v4, v4, 23, v48
	v_or3_b32 v6, v6, v4, v3
.LBB2_413:                              ;   in Loop: Header=BB2_350 Depth=4
	s_or_b64 exec, exec, s[46:47]
.LBB2_414:                              ;   in Loop: Header=BB2_350 Depth=4
	s_or_b64 exec, exec, s[42:43]
.LBB2_415:                              ;   in Loop: Header=BB2_350 Depth=4
	s_or_b64 exec, exec, s[44:45]
	v_cmp_lt_i16_e32 vcc, s97, v34
	s_mov_b64 s[42:43], 0
	s_and_saveexec_b64 s[44:45], vcc
	s_xor_b64 s[44:45], exec, s[44:45]
	s_cbranch_execz .LBB2_1012
; %bb.416:                              ;   in Loop: Header=BB2_350 Depth=4
	v_cmp_eq_u16_e32 vcc, s59, v34
	s_mov_b64 s[42:43], -1
	s_and_saveexec_b64 s[46:47], vcc
; %bb.417:                              ;   in Loop: Header=BB2_350 Depth=4
	s_xor_b64 s[42:43], exec, -1
; %bb.418:                              ;   in Loop: Header=BB2_350 Depth=4
	s_or_b64 exec, exec, s[46:47]
	s_and_b64 s[42:43], s[42:43], exec
	s_or_saveexec_b64 s[44:45], s[44:45]
	v_bfrev_b32_e32 v18, 1
	s_xor_b64 exec, exec, s[44:45]
	s_cbranch_execnz .LBB2_1013
.LBB2_419:                              ;   in Loop: Header=BB2_350 Depth=4
	s_or_b64 exec, exec, s[44:45]
	s_and_saveexec_b64 s[44:45], s[42:43]
.LBB2_420:                              ;   in Loop: Header=BB2_350 Depth=4
	v_cndmask_b32_e64 v18, v1, v49, s[40:41]
.LBB2_421:                              ;   in Loop: Header=BB2_350 Depth=4
	s_or_b64 exec, exec, s[44:45]
	v_max_f32_e32 v1, v18, v18
	v_max_f32_e32 v3, v6, v6
	v_min_f32_e32 v6, v3, v1
.LBB2_422:                              ;   in Loop: Header=BB2_350 Depth=4
	v_and_b32_e32 v34, 0x7f800000, v6
	v_cmp_ne_u64_e32 vcc, s[90:91], v[34:35]
                                        ; implicit-def: $vgpr21
	s_and_saveexec_b64 s[40:41], vcc
	s_xor_b64 s[42:43], exec, s[40:41]
	s_cbranch_execz .LBB2_436
; %bb.423:                              ;   in Loop: Header=BB2_350 Depth=4
	v_and_b32_e32 v34, 0x7fffffff, v6
	v_cmp_gt_u64_e32 vcc, s[92:93], v[34:35]
	v_and_b32_sdwa v1, v6, s59 dst_sel:DWORD dst_unused:UNUSED_PAD src0_sel:BYTE_3 src1_sel:DWORD
                                        ; implicit-def: $vgpr21
	s_and_saveexec_b64 s[40:41], vcc
	s_xor_b64 s[44:45], exec, s[40:41]
	s_cbranch_execz .LBB2_433
; %bb.424:                              ;   in Loop: Header=BB2_350 Depth=4
	v_mov_b32_e32 v21, 0
	v_cmp_ne_u32_e32 vcc, 0, v6
	s_and_saveexec_b64 s[46:47], vcc
	s_cbranch_execz .LBB2_432
; %bb.425:                              ;   in Loop: Header=BB2_350 Depth=4
	v_and_b32_e32 v3, 0x7fffff, v6
	v_bfe_u32 v6, v6, 23, 8
	v_cmp_gt_u32_e64 s[40:41], s56, v6
	v_sub_u32_e32 v4, 0x79, v6
	v_cmp_eq_u32_e32 vcc, 0, v6
	v_cndmask_b32_e64 v4, 0, v4, s[40:41]
	v_mov_b32_e32 v18, 0x78
	v_or_b32_e32 v19, 0x800000, v3
	v_cndmask_b32_e32 v18, v4, v18, vcc
	v_cndmask_b32_e32 v34, v19, v3, vcc
	v_add_u32_e32 v3, 20, v18
	v_lshlrev_b64 v[24:25], v3, -1
	v_add_u32_e32 v3, 19, v18
	v_lshlrev_b64 v[30:31], v3, 1
	v_lshrrev_b64 v[59:60], v18, v[34:35]
	v_bfi_b32 v25, v25, 0, 0
	v_bfi_b32 v24, v24, 0, v34
	v_cmp_eq_u64_e64 s[40:41], v[24:25], v[30:31]
	v_mov_b32_e32 v61, v60
	v_mov_b32_e32 v60, v59
	s_and_saveexec_b64 s[52:53], s[40:41]
; %bb.426:                              ;   in Loop: Header=BB2_350 Depth=4
	v_bfe_u32 v3, v59, 20, 1
	v_add_co_u32_e64 v3, s[40:41], v59, v3
	v_add_co_u32_e64 v60, s[40:41], -1, v3
; %bb.427:                              ;   in Loop: Header=BB2_350 Depth=4
	s_or_b64 exec, exec, s[52:53]
	v_add_u32_e32 v3, 0xffffff81, v6
	v_cndmask_b32_e32 v3, v3, v52, vcc
	v_lshrrev_b32_e32 v4, 23, v59
	v_add3_u32 v19, v18, v3, v4
	v_add_u32_e32 v18, 6, v19
	v_and_b32_e32 v3, 0xfffff, v60
	v_add_u32_e32 v34, v3, v59
	v_cmp_ne_u32_e32 vcc, 0, v18
                                        ; implicit-def: $vgpr59_vgpr60
                                        ; implicit-def: $vgpr6
	s_and_saveexec_b64 s[40:41], vcc
	s_xor_b64 s[40:41], exec, s[40:41]
; %bb.428:                              ;   in Loop: Header=BB2_350 Depth=4
	v_cmp_lt_u64_e32 vcc, s[94:95], v[34:35]
	v_add_u32_e32 v3, 7, v19
	v_cndmask_b32_e32 v6, v18, v3, vcc
	v_cndmask_b32_e64 v3, 0, 1, vcc
	v_lshrrev_b64 v[59:60], v3, v[34:35]
; %bb.429:                              ;   in Loop: Header=BB2_350 Depth=4
	s_andn2_saveexec_b64 s[40:41], s[40:41]
; %bb.430:                              ;   in Loop: Header=BB2_350 Depth=4
	v_mov_b32_e32 v60, v35
	v_bfe_u32 v6, v34, 23, 1
	v_mov_b32_e32 v59, v34
; %bb.431:                              ;   in Loop: Header=BB2_350 Depth=4
	s_or_b64 exec, exec, s[40:41]
	v_lshrrev_b64 v[18:19], 20, v[59:60]
	v_cmp_gt_i32_e32 vcc, 16, v6
	v_cndmask_b32_e32 v19, 0, v19, vcc
	v_cndmask_b32_e32 v18, 7, v18, vcc
	v_min_i32_e32 v3, 15, v6
	v_cmp_eq_u64_e64 s[40:41], 0, v[18:19]
	v_lshlrev_b32_e32 v3, 3, v3
	v_cmp_eq_u32_e32 vcc, 0, v6
	v_and_b32_e32 v3, 0xf8, v3
	v_and_or_b32 v3, v18, 7, v3
	s_and_b64 s[40:41], vcc, s[40:41]
	v_cndmask_b32_e64 v3, v3, 0, s[40:41]
	v_or_b32_e32 v21, v3, v1
.LBB2_432:                              ;   in Loop: Header=BB2_350 Depth=4
	s_or_b64 exec, exec, s[46:47]
                                        ; implicit-def: $vgpr1
.LBB2_433:                              ;   in Loop: Header=BB2_350 Depth=4
	s_andn2_saveexec_b64 s[40:41], s[44:45]
; %bb.434:                              ;   in Loop: Header=BB2_350 Depth=4
	v_or_b32_e32 v21, 0x7e, v1
; %bb.435:                              ;   in Loop: Header=BB2_350 Depth=4
	s_or_b64 exec, exec, s[40:41]
                                        ; implicit-def: $vgpr6
.LBB2_436:                              ;   in Loop: Header=BB2_350 Depth=4
	s_andn2_saveexec_b64 s[40:41], s[42:43]
; %bb.437:                              ;   in Loop: Header=BB2_350 Depth=4
	v_or_b32_sdwa v21, v6, s97 dst_sel:DWORD dst_unused:UNUSED_PAD src0_sel:BYTE_3 src1_sel:DWORD
; %bb.438:                              ;   in Loop: Header=BB2_350 Depth=4
	s_or_b64 exec, exec, s[40:41]
	v_bfe_u32 v1, v12, 16, 3
	v_bfe_u32 v3, v12, 16, 7
	v_cmp_eq_u32_e64 s[40:41], s97, v3
	v_cmp_gt_u32_e32 vcc, 8, v3
	v_ffbh_u32_e32 v3, v1
	v_min_u32_e32 v3, 32, v3
	v_lshrrev_b32_e32 v30, 16, v12
	v_subrev_u32_e32 v6, 28, v3
	v_lshlrev_b64 v[18:19], v6, v[30:31]
	v_bfe_u32 v4, v30, 3, 4
	v_sub_u32_e32 v3, 29, v3
	v_and_b32_e32 v6, 7, v18
	v_cndmask_b32_e32 v3, v4, v3, vcc
	v_cndmask_b32_e32 v1, v1, v6, vcc
	v_lshlrev_b32_e32 v4, 8, v12
	v_lshlrev_b32_e32 v1, 20, v1
	v_and_b32_e32 v4, 0x80000000, v4
	v_lshl_add_u32 v3, v3, 23, v48
	v_lshrrev_b32_e32 v34, 16, v8
	v_or3_b32 v1, v4, v3, v1
	v_cmp_ne_u16_sdwa s[42:43], v34, v35 src0_sel:BYTE_0 src1_sel:DWORD
	s_mov_b64 s[44:45], -1
	s_and_b64 vcc, exec, s[50:51]
                                        ; implicit-def: $vgpr6
	s_cbranch_vccz .LBB2_452
; %bb.439:                              ;   in Loop: Header=BB2_350 Depth=4
	v_mov_b32_e32 v6, 0
	s_and_saveexec_b64 s[44:45], s[42:43]
	s_cbranch_execz .LBB2_445
; %bb.440:                              ;   in Loop: Header=BB2_350 Depth=4
	v_cmp_ne_u16_sdwa vcc, v34, s59 src0_sel:BYTE_0 src1_sel:DWORD
	v_bfrev_b32_e32 v6, 1
	s_and_saveexec_b64 s[46:47], vcc
	s_cbranch_execz .LBB2_444
; %bb.441:                              ;   in Loop: Header=BB2_350 Depth=4
	v_bfe_u32 v18, v8, 16, 7
	v_cmp_ne_u32_e32 vcc, s97, v18
	v_mov_b32_e32 v6, 0x7f800001
	s_and_saveexec_b64 s[52:53], vcc
	s_cbranch_execz .LBB2_443
; %bb.442:                              ;   in Loop: Header=BB2_350 Depth=4
	v_and_b32_e32 v3, 7, v34
	v_ffbh_u32_e32 v6, v3
	v_min_u32_e32 v6, 32, v6
	v_lshrrev_b32_e32 v4, 3, v18
	v_cmp_gt_u32_e32 vcc, 8, v18
	v_subrev_u32_e32 v18, 28, v6
	v_lshlrev_b64 v[18:19], v18, v[34:35]
	v_sub_u32_e32 v6, 29, v6
	v_and_b32_e32 v18, 7, v18
	v_cndmask_b32_e32 v4, v4, v6, vcc
	v_cndmask_b32_e32 v3, v3, v18, vcc
	v_lshlrev_b32_e32 v6, 24, v34
	v_lshlrev_b32_e32 v3, 20, v3
	v_and_b32_e32 v6, 0x80000000, v6
	v_lshl_add_u32 v4, v4, 23, v48
	v_or3_b32 v6, v6, v4, v3
.LBB2_443:                              ;   in Loop: Header=BB2_350 Depth=4
	s_or_b64 exec, exec, s[52:53]
.LBB2_444:                              ;   in Loop: Header=BB2_350 Depth=4
	s_or_b64 exec, exec, s[46:47]
.LBB2_445:                              ;   in Loop: Header=BB2_350 Depth=4
	s_or_b64 exec, exec, s[44:45]
	v_cmp_gt_i16_sdwa s[46:47], v30, s97 src0_sel:BYTE_0 src1_sel:DWORD
	s_mov_b64 s[44:45], 0
	s_and_saveexec_b64 vcc, s[46:47]
	s_xor_b64 s[46:47], exec, vcc
	s_cbranch_execz .LBB2_1014
; %bb.446:                              ;   in Loop: Header=BB2_350 Depth=4
	v_cmp_eq_u16_sdwa s[52:53], v30, s59 src0_sel:BYTE_0 src1_sel:DWORD
	s_mov_b64 s[44:45], -1
	s_and_saveexec_b64 vcc, s[52:53]
; %bb.447:                              ;   in Loop: Header=BB2_350 Depth=4
	s_xor_b64 s[44:45], exec, -1
; %bb.448:                              ;   in Loop: Header=BB2_350 Depth=4
	s_or_b64 exec, exec, vcc
	s_and_b64 s[44:45], s[44:45], exec
	s_or_saveexec_b64 s[46:47], s[46:47]
	v_bfrev_b32_e32 v18, 1
	s_xor_b64 exec, exec, s[46:47]
	s_cbranch_execnz .LBB2_1015
.LBB2_449:                              ;   in Loop: Header=BB2_350 Depth=4
	s_or_b64 exec, exec, s[46:47]
	s_and_saveexec_b64 s[46:47], s[44:45]
.LBB2_450:                              ;   in Loop: Header=BB2_350 Depth=4
	v_cndmask_b32_e64 v18, v1, v49, s[40:41]
.LBB2_451:                              ;   in Loop: Header=BB2_350 Depth=4
	s_or_b64 exec, exec, s[46:47]
	v_max_f32_e32 v3, v18, v18
	v_max_f32_e32 v4, v6, v6
	;; [unrolled: 1-line block ×3, first 2 shown]
	s_mov_b64 s[44:45], 0
.LBB2_452:                              ;   in Loop: Header=BB2_350 Depth=4
	s_and_b64 vcc, exec, s[44:45]
	s_cbranch_vccz .LBB2_466
; %bb.453:                              ;   in Loop: Header=BB2_350 Depth=4
	v_mov_b32_e32 v6, 0
	s_and_saveexec_b64 s[44:45], s[42:43]
	s_cbranch_execz .LBB2_459
; %bb.454:                              ;   in Loop: Header=BB2_350 Depth=4
	v_cmp_ne_u16_sdwa s[46:47], v34, s59 src0_sel:BYTE_0 src1_sel:DWORD
	v_bfrev_b32_e32 v6, 1
	s_and_saveexec_b64 s[42:43], s[46:47]
	s_cbranch_execz .LBB2_458
; %bb.455:                              ;   in Loop: Header=BB2_350 Depth=4
	v_bfe_u32 v18, v8, 16, 7
	v_cmp_ne_u32_e32 vcc, s97, v18
	v_mov_b32_e32 v6, 0x7f800001
	s_and_saveexec_b64 s[46:47], vcc
	s_cbranch_execz .LBB2_457
; %bb.456:                              ;   in Loop: Header=BB2_350 Depth=4
	v_and_b32_e32 v3, 7, v34
	v_ffbh_u32_e32 v6, v3
	v_min_u32_e32 v6, 32, v6
	v_lshrrev_b32_e32 v4, 3, v18
	v_cmp_gt_u32_e32 vcc, 8, v18
	v_subrev_u32_e32 v18, 28, v6
	v_lshlrev_b64 v[18:19], v18, v[34:35]
	v_sub_u32_e32 v6, 29, v6
	v_and_b32_e32 v18, 7, v18
	v_cndmask_b32_e32 v4, v4, v6, vcc
	v_cndmask_b32_e32 v3, v3, v18, vcc
	v_lshlrev_b32_e32 v6, 24, v34
	v_lshlrev_b32_e32 v3, 20, v3
	v_and_b32_e32 v6, 0x80000000, v6
	v_lshl_add_u32 v4, v4, 23, v48
	v_or3_b32 v6, v6, v4, v3
.LBB2_457:                              ;   in Loop: Header=BB2_350 Depth=4
	s_or_b64 exec, exec, s[46:47]
.LBB2_458:                              ;   in Loop: Header=BB2_350 Depth=4
	s_or_b64 exec, exec, s[42:43]
.LBB2_459:                              ;   in Loop: Header=BB2_350 Depth=4
	s_or_b64 exec, exec, s[44:45]
	v_cmp_gt_i16_sdwa s[44:45], v30, s97 src0_sel:BYTE_0 src1_sel:DWORD
	s_mov_b64 s[42:43], 0
	s_and_saveexec_b64 s[46:47], s[44:45]
	s_xor_b64 s[44:45], exec, s[46:47]
	s_cbranch_execz .LBB2_1016
; %bb.460:                              ;   in Loop: Header=BB2_350 Depth=4
	v_cmp_eq_u16_sdwa vcc, v30, s59 src0_sel:BYTE_0 src1_sel:DWORD
	s_mov_b64 s[42:43], -1
	s_and_saveexec_b64 s[46:47], vcc
; %bb.461:                              ;   in Loop: Header=BB2_350 Depth=4
	s_xor_b64 s[42:43], exec, -1
; %bb.462:                              ;   in Loop: Header=BB2_350 Depth=4
	s_or_b64 exec, exec, s[46:47]
	s_and_b64 s[42:43], s[42:43], exec
                                        ; implicit-def: $vgpr30
	s_or_saveexec_b64 s[44:45], s[44:45]
	v_bfrev_b32_e32 v18, 1
	s_xor_b64 exec, exec, s[44:45]
	s_cbranch_execnz .LBB2_1017
.LBB2_463:                              ;   in Loop: Header=BB2_350 Depth=4
	s_or_b64 exec, exec, s[44:45]
	s_and_saveexec_b64 s[44:45], s[42:43]
.LBB2_464:                              ;   in Loop: Header=BB2_350 Depth=4
	v_cndmask_b32_e64 v18, v1, v49, s[40:41]
.LBB2_465:                              ;   in Loop: Header=BB2_350 Depth=4
	s_or_b64 exec, exec, s[44:45]
	v_max_f32_e32 v1, v18, v18
	v_max_f32_e32 v3, v6, v6
	v_min_f32_e32 v6, v3, v1
.LBB2_466:                              ;   in Loop: Header=BB2_350 Depth=4
	v_and_b32_e32 v34, 0x7f800000, v6
	v_cmp_ne_u64_e32 vcc, s[90:91], v[34:35]
                                        ; implicit-def: $vgpr36
	s_and_saveexec_b64 s[40:41], vcc
	s_xor_b64 s[42:43], exec, s[40:41]
	s_cbranch_execz .LBB2_480
; %bb.467:                              ;   in Loop: Header=BB2_350 Depth=4
	v_and_b32_e32 v34, 0x7fffffff, v6
	v_cmp_gt_u64_e32 vcc, s[92:93], v[34:35]
	v_and_b32_sdwa v1, v6, s59 dst_sel:DWORD dst_unused:UNUSED_PAD src0_sel:BYTE_3 src1_sel:DWORD
                                        ; implicit-def: $vgpr36
	s_and_saveexec_b64 s[40:41], vcc
	s_xor_b64 s[44:45], exec, s[40:41]
	s_cbranch_execz .LBB2_477
; %bb.468:                              ;   in Loop: Header=BB2_350 Depth=4
	v_mov_b32_e32 v36, 0
	v_cmp_ne_u32_e32 vcc, 0, v6
	s_and_saveexec_b64 s[46:47], vcc
	s_cbranch_execz .LBB2_476
; %bb.469:                              ;   in Loop: Header=BB2_350 Depth=4
	v_and_b32_e32 v3, 0x7fffff, v6
	v_bfe_u32 v6, v6, 23, 8
	v_cmp_gt_u32_e64 s[40:41], s56, v6
	v_sub_u32_e32 v4, 0x79, v6
	v_cmp_eq_u32_e32 vcc, 0, v6
	v_cndmask_b32_e64 v4, 0, v4, s[40:41]
	v_mov_b32_e32 v18, 0x78
	v_or_b32_e32 v19, 0x800000, v3
	v_cndmask_b32_e32 v18, v4, v18, vcc
	v_cndmask_b32_e32 v34, v19, v3, vcc
	v_add_u32_e32 v3, 20, v18
	v_lshlrev_b64 v[24:25], v3, -1
	v_add_u32_e32 v3, 19, v18
	v_lshlrev_b64 v[30:31], v3, 1
	v_lshrrev_b64 v[59:60], v18, v[34:35]
	v_bfi_b32 v25, v25, 0, 0
	v_bfi_b32 v24, v24, 0, v34
	v_cmp_eq_u64_e64 s[40:41], v[24:25], v[30:31]
	v_mov_b32_e32 v61, v60
	v_mov_b32_e32 v60, v59
	s_and_saveexec_b64 s[52:53], s[40:41]
; %bb.470:                              ;   in Loop: Header=BB2_350 Depth=4
	v_bfe_u32 v3, v59, 20, 1
	v_add_co_u32_e64 v3, s[40:41], v59, v3
	v_add_co_u32_e64 v60, s[40:41], -1, v3
; %bb.471:                              ;   in Loop: Header=BB2_350 Depth=4
	s_or_b64 exec, exec, s[52:53]
	v_add_u32_e32 v3, 0xffffff81, v6
	v_cndmask_b32_e32 v3, v3, v52, vcc
	v_lshrrev_b32_e32 v4, 23, v59
	v_add3_u32 v19, v18, v3, v4
	v_add_u32_e32 v18, 6, v19
	v_and_b32_e32 v3, 0xfffff, v60
	v_add_u32_e32 v34, v3, v59
	v_cmp_ne_u32_e32 vcc, 0, v18
                                        ; implicit-def: $vgpr59_vgpr60
                                        ; implicit-def: $vgpr6
	s_and_saveexec_b64 s[40:41], vcc
	s_xor_b64 s[40:41], exec, s[40:41]
; %bb.472:                              ;   in Loop: Header=BB2_350 Depth=4
	v_cmp_lt_u64_e32 vcc, s[94:95], v[34:35]
	v_add_u32_e32 v3, 7, v19
	v_cndmask_b32_e32 v6, v18, v3, vcc
	v_cndmask_b32_e64 v3, 0, 1, vcc
	v_lshrrev_b64 v[59:60], v3, v[34:35]
; %bb.473:                              ;   in Loop: Header=BB2_350 Depth=4
	s_andn2_saveexec_b64 s[40:41], s[40:41]
; %bb.474:                              ;   in Loop: Header=BB2_350 Depth=4
	v_mov_b32_e32 v60, v35
	v_bfe_u32 v6, v34, 23, 1
	v_mov_b32_e32 v59, v34
; %bb.475:                              ;   in Loop: Header=BB2_350 Depth=4
	s_or_b64 exec, exec, s[40:41]
	v_lshrrev_b64 v[18:19], 20, v[59:60]
	v_cmp_gt_i32_e32 vcc, 16, v6
	v_cndmask_b32_e32 v19, 0, v19, vcc
	v_cndmask_b32_e32 v18, 7, v18, vcc
	v_min_i32_e32 v3, 15, v6
	v_cmp_eq_u64_e64 s[40:41], 0, v[18:19]
	v_lshlrev_b32_e32 v3, 3, v3
	v_cmp_eq_u32_e32 vcc, 0, v6
	v_and_b32_e32 v3, 0xf8, v3
	v_and_or_b32 v3, v18, 7, v3
	s_and_b64 s[40:41], vcc, s[40:41]
	v_cndmask_b32_e64 v3, v3, 0, s[40:41]
	v_or_b32_e32 v36, v3, v1
.LBB2_476:                              ;   in Loop: Header=BB2_350 Depth=4
	s_or_b64 exec, exec, s[46:47]
                                        ; implicit-def: $vgpr1
.LBB2_477:                              ;   in Loop: Header=BB2_350 Depth=4
	s_andn2_saveexec_b64 s[40:41], s[44:45]
; %bb.478:                              ;   in Loop: Header=BB2_350 Depth=4
	v_or_b32_e32 v36, 0x7e, v1
; %bb.479:                              ;   in Loop: Header=BB2_350 Depth=4
	s_or_b64 exec, exec, s[40:41]
                                        ; implicit-def: $vgpr6
.LBB2_480:                              ;   in Loop: Header=BB2_350 Depth=4
	s_andn2_saveexec_b64 s[40:41], s[42:43]
; %bb.481:                              ;   in Loop: Header=BB2_350 Depth=4
	v_or_b32_sdwa v36, v6, s97 dst_sel:DWORD dst_unused:UNUSED_PAD src0_sel:BYTE_3 src1_sel:DWORD
; %bb.482:                              ;   in Loop: Header=BB2_350 Depth=4
	s_or_b64 exec, exec, s[40:41]
	v_bfe_u32 v3, v12, 24, 3
	v_bfe_u32 v4, v12, 24, 7
	v_cmp_eq_u32_e64 s[44:45], s97, v4
	v_cmp_gt_u32_e32 vcc, 8, v4
	v_ffbh_u32_e32 v4, v3
	v_min_u32_e32 v4, 32, v4
	v_lshrrev_b32_e32 v1, 24, v12
	v_subrev_u32_e32 v18, 28, v4
	v_lshlrev_b64 v[18:19], v18, v[1:2]
	v_bfe_u32 v6, v1, 3, 4
	v_cmp_eq_u32_e64 s[42:43], s59, v1
	v_sub_u32_e32 v1, 29, v4
	v_and_b32_e32 v4, 7, v18
	v_cndmask_b32_e32 v1, v6, v1, vcc
	v_cndmask_b32_e32 v3, v3, v4, vcc
	v_lshlrev_b32_e32 v3, 20, v3
	v_and_b32_e32 v4, 0x80000000, v12
	v_lshl_add_u32 v1, v1, 23, v48
	v_lshrrev_b32_e32 v30, 24, v8
	v_cmp_gt_u32_e64 s[40:41], s61, v12
	v_or3_b32 v1, v4, v1, v3
	v_cmp_lt_u32_e64 s[46:47], s63, v8
	s_mov_b64 s[52:53], -1
	s_and_b64 vcc, exec, s[50:51]
                                        ; implicit-def: $vgpr6
	s_cbranch_vccz .LBB2_490
; %bb.483:                              ;   in Loop: Header=BB2_350 Depth=4
	v_mov_b32_e32 v6, 0
	s_and_saveexec_b64 s[52:53], s[46:47]
	s_cbranch_execz .LBB2_489
; %bb.484:                              ;   in Loop: Header=BB2_350 Depth=4
	v_cmp_ne_u32_e32 vcc, s59, v30
	v_bfrev_b32_e32 v6, 1
	s_and_saveexec_b64 s[54:55], vcc
	s_cbranch_execz .LBB2_488
; %bb.485:                              ;   in Loop: Header=BB2_350 Depth=4
	v_bfe_u32 v18, v8, 24, 7
	v_cmp_ne_u32_e32 vcc, s97, v18
	v_mov_b32_e32 v6, 0x7f800001
	s_and_saveexec_b64 s[64:65], vcc
	s_cbranch_execz .LBB2_487
; %bb.486:                              ;   in Loop: Header=BB2_350 Depth=4
	v_and_b32_e32 v3, 7, v30
	v_ffbh_u32_e32 v6, v3
	v_min_u32_e32 v6, 32, v6
	v_lshrrev_b32_e32 v4, 3, v18
	v_cmp_gt_u32_e32 vcc, 8, v18
	v_subrev_u32_e32 v18, 28, v6
	v_lshlrev_b64 v[18:19], v18, v[30:31]
	v_sub_u32_e32 v6, 29, v6
	v_and_b32_e32 v18, 7, v18
	v_cndmask_b32_e32 v4, v4, v6, vcc
	v_cndmask_b32_e32 v3, v3, v18, vcc
	v_lshlrev_b32_e32 v6, 24, v30
	v_lshlrev_b32_e32 v3, 20, v3
	v_and_b32_e32 v6, 0x80000000, v6
	v_lshl_add_u32 v4, v4, 23, v48
	v_or3_b32 v6, v6, v4, v3
.LBB2_487:                              ;   in Loop: Header=BB2_350 Depth=4
	s_or_b64 exec, exec, s[64:65]
.LBB2_488:                              ;   in Loop: Header=BB2_350 Depth=4
	s_or_b64 exec, exec, s[54:55]
.LBB2_489:                              ;   in Loop: Header=BB2_350 Depth=4
	s_or_b64 exec, exec, s[52:53]
	v_cndmask_b32_e64 v3, v1, v49, s[44:45]
	v_cndmask_b32_e64 v3, v3, v0, s[42:43]
	v_cndmask_b32_e64 v3, v3, 0, s[40:41]
	v_max_f32_e32 v3, v3, v3
	v_max_f32_e32 v4, v6, v6
	;; [unrolled: 1-line block ×3, first 2 shown]
	s_mov_b64 s[52:53], 0
.LBB2_490:                              ;   in Loop: Header=BB2_350 Depth=4
	s_and_b64 vcc, exec, s[52:53]
	s_cbranch_vccz .LBB2_498
; %bb.491:                              ;   in Loop: Header=BB2_350 Depth=4
	v_mov_b32_e32 v6, 0
	s_and_saveexec_b64 s[52:53], s[46:47]
	s_cbranch_execz .LBB2_497
; %bb.492:                              ;   in Loop: Header=BB2_350 Depth=4
	v_cmp_ne_u32_e32 vcc, s59, v30
	v_bfrev_b32_e32 v6, 1
	s_and_saveexec_b64 s[46:47], vcc
	s_cbranch_execz .LBB2_496
; %bb.493:                              ;   in Loop: Header=BB2_350 Depth=4
	v_bfe_u32 v18, v8, 24, 7
	v_cmp_ne_u32_e32 vcc, s97, v18
	v_mov_b32_e32 v6, 0x7f800001
	s_and_saveexec_b64 s[54:55], vcc
	s_cbranch_execz .LBB2_495
; %bb.494:                              ;   in Loop: Header=BB2_350 Depth=4
	v_and_b32_e32 v3, 7, v30
	v_ffbh_u32_e32 v6, v3
	v_min_u32_e32 v6, 32, v6
	v_lshrrev_b32_e32 v4, 3, v18
	v_cmp_gt_u32_e32 vcc, 8, v18
	v_subrev_u32_e32 v18, 28, v6
	v_lshlrev_b64 v[18:19], v18, v[30:31]
	v_sub_u32_e32 v6, 29, v6
	v_and_b32_e32 v18, 7, v18
	v_cndmask_b32_e32 v4, v4, v6, vcc
	v_cndmask_b32_e32 v3, v3, v18, vcc
	v_lshlrev_b32_e32 v6, 24, v30
	v_lshlrev_b32_e32 v3, 20, v3
	v_and_b32_e32 v6, 0x80000000, v6
	v_lshl_add_u32 v4, v4, 23, v48
	v_or3_b32 v6, v6, v4, v3
.LBB2_495:                              ;   in Loop: Header=BB2_350 Depth=4
	s_or_b64 exec, exec, s[54:55]
.LBB2_496:                              ;   in Loop: Header=BB2_350 Depth=4
	s_or_b64 exec, exec, s[46:47]
.LBB2_497:                              ;   in Loop: Header=BB2_350 Depth=4
	s_or_b64 exec, exec, s[52:53]
	v_cndmask_b32_e64 v1, v1, v49, s[44:45]
	v_cndmask_b32_e64 v1, v1, v0, s[42:43]
	;; [unrolled: 1-line block ×3, first 2 shown]
	v_max_f32_e32 v1, v1, v1
	v_max_f32_e32 v3, v6, v6
	v_min_f32_e32 v6, v3, v1
.LBB2_498:                              ;   in Loop: Header=BB2_350 Depth=4
	v_and_b32_e32 v34, 0x7f800000, v6
	v_cmp_ne_u64_e32 vcc, s[90:91], v[34:35]
                                        ; implicit-def: $vgpr39
	s_and_saveexec_b64 s[40:41], vcc
	s_xor_b64 s[42:43], exec, s[40:41]
	s_cbranch_execz .LBB2_512
; %bb.499:                              ;   in Loop: Header=BB2_350 Depth=4
	v_and_b32_e32 v34, 0x7fffffff, v6
	v_cmp_gt_u64_e32 vcc, s[92:93], v[34:35]
	v_and_b32_sdwa v1, v6, s59 dst_sel:DWORD dst_unused:UNUSED_PAD src0_sel:BYTE_3 src1_sel:DWORD
                                        ; implicit-def: $vgpr39
	s_and_saveexec_b64 s[40:41], vcc
	s_xor_b64 s[44:45], exec, s[40:41]
	s_cbranch_execz .LBB2_509
; %bb.500:                              ;   in Loop: Header=BB2_350 Depth=4
	v_mov_b32_e32 v39, 0
	v_cmp_ne_u32_e32 vcc, 0, v6
	s_and_saveexec_b64 s[46:47], vcc
	s_cbranch_execz .LBB2_508
; %bb.501:                              ;   in Loop: Header=BB2_350 Depth=4
	v_and_b32_e32 v3, 0x7fffff, v6
	v_bfe_u32 v6, v6, 23, 8
	v_cmp_gt_u32_e64 s[40:41], s56, v6
	v_sub_u32_e32 v4, 0x79, v6
	v_cmp_eq_u32_e32 vcc, 0, v6
	v_cndmask_b32_e64 v4, 0, v4, s[40:41]
	v_mov_b32_e32 v18, 0x78
	v_or_b32_e32 v19, 0x800000, v3
	v_cndmask_b32_e32 v18, v4, v18, vcc
	v_cndmask_b32_e32 v34, v19, v3, vcc
	v_add_u32_e32 v3, 20, v18
	v_lshlrev_b64 v[24:25], v3, -1
	v_add_u32_e32 v3, 19, v18
	v_lshlrev_b64 v[30:31], v3, 1
	v_lshrrev_b64 v[59:60], v18, v[34:35]
	v_bfi_b32 v25, v25, 0, 0
	v_bfi_b32 v24, v24, 0, v34
	v_cmp_eq_u64_e64 s[40:41], v[24:25], v[30:31]
	v_mov_b32_e32 v61, v60
	v_mov_b32_e32 v60, v59
	s_and_saveexec_b64 s[52:53], s[40:41]
; %bb.502:                              ;   in Loop: Header=BB2_350 Depth=4
	v_bfe_u32 v3, v59, 20, 1
	v_add_co_u32_e64 v3, s[40:41], v59, v3
	v_add_co_u32_e64 v60, s[40:41], -1, v3
; %bb.503:                              ;   in Loop: Header=BB2_350 Depth=4
	s_or_b64 exec, exec, s[52:53]
	v_add_u32_e32 v3, 0xffffff81, v6
	v_cndmask_b32_e32 v3, v3, v52, vcc
	v_lshrrev_b32_e32 v4, 23, v59
	v_add3_u32 v19, v18, v3, v4
	v_add_u32_e32 v18, 6, v19
	v_and_b32_e32 v3, 0xfffff, v60
	v_add_u32_e32 v34, v3, v59
	v_cmp_ne_u32_e32 vcc, 0, v18
                                        ; implicit-def: $vgpr59_vgpr60
                                        ; implicit-def: $vgpr6
	s_and_saveexec_b64 s[40:41], vcc
	s_xor_b64 s[40:41], exec, s[40:41]
; %bb.504:                              ;   in Loop: Header=BB2_350 Depth=4
	v_cmp_lt_u64_e32 vcc, s[94:95], v[34:35]
	v_add_u32_e32 v3, 7, v19
	v_cndmask_b32_e32 v6, v18, v3, vcc
	v_cndmask_b32_e64 v3, 0, 1, vcc
	v_lshrrev_b64 v[59:60], v3, v[34:35]
; %bb.505:                              ;   in Loop: Header=BB2_350 Depth=4
	s_andn2_saveexec_b64 s[40:41], s[40:41]
; %bb.506:                              ;   in Loop: Header=BB2_350 Depth=4
	v_mov_b32_e32 v60, v35
	v_bfe_u32 v6, v34, 23, 1
	v_mov_b32_e32 v59, v34
; %bb.507:                              ;   in Loop: Header=BB2_350 Depth=4
	s_or_b64 exec, exec, s[40:41]
	v_lshrrev_b64 v[18:19], 20, v[59:60]
	v_cmp_gt_i32_e32 vcc, 16, v6
	v_cndmask_b32_e32 v19, 0, v19, vcc
	v_cndmask_b32_e32 v18, 7, v18, vcc
	v_min_i32_e32 v3, 15, v6
	v_cmp_eq_u64_e64 s[40:41], 0, v[18:19]
	v_lshlrev_b32_e32 v3, 3, v3
	v_cmp_eq_u32_e32 vcc, 0, v6
	v_and_b32_e32 v3, 0xf8, v3
	v_and_or_b32 v3, v18, 7, v3
	s_and_b64 s[40:41], vcc, s[40:41]
	v_cndmask_b32_e64 v3, v3, 0, s[40:41]
	v_or_b32_e32 v39, v3, v1
.LBB2_508:                              ;   in Loop: Header=BB2_350 Depth=4
	s_or_b64 exec, exec, s[46:47]
                                        ; implicit-def: $vgpr1
.LBB2_509:                              ;   in Loop: Header=BB2_350 Depth=4
	s_andn2_saveexec_b64 s[40:41], s[44:45]
; %bb.510:                              ;   in Loop: Header=BB2_350 Depth=4
	v_or_b32_e32 v39, 0x7e, v1
; %bb.511:                              ;   in Loop: Header=BB2_350 Depth=4
	s_or_b64 exec, exec, s[40:41]
                                        ; implicit-def: $vgpr6
.LBB2_512:                              ;   in Loop: Header=BB2_350 Depth=4
	s_andn2_saveexec_b64 s[40:41], s[42:43]
; %bb.513:                              ;   in Loop: Header=BB2_350 Depth=4
	v_or_b32_sdwa v39, v6, s97 dst_sel:DWORD dst_unused:UNUSED_PAD src0_sel:BYTE_3 src1_sel:DWORD
; %bb.514:                              ;   in Loop: Header=BB2_350 Depth=4
	s_or_b64 exec, exec, s[40:41]
	v_and_b32_e32 v1, 7, v13
	v_ffbh_u32_e32 v1, v1
	v_and_b32_e32 v3, 0x7f, v13
	v_min_u32_e32 v1, 32, v1
	v_cmp_eq_u32_e64 s[40:41], s97, v3
	v_cmp_gt_u32_e32 vcc, 8, v3
	v_subrev_u32_e32 v3, 28, v1
	v_mov_b32_e32 v34, v13
	v_cndmask_b32_e32 v3, 0, v3, vcc
	v_lshlrev_b64 v[18:19], v3, v[34:35]
	v_bfe_u32 v4, v13, 3, 4
	v_sub_u32_e32 v1, 29, v1
	v_cndmask_b32_e32 v1, v4, v1, vcc
	v_lshlrev_b32_e32 v3, 20, v18
	v_lshlrev_b32_e32 v4, 24, v13
	v_and_b32_e32 v3, 0x700000, v3
	v_and_b32_e32 v4, 0x80000000, v4
	v_lshl_add_u32 v1, v1, 23, v48
	v_or3_b32 v1, v4, v1, v3
	v_mov_b32_e32 v59, v9
	v_mov_b32_e32 v60, v35
	v_cmp_ne_u16_sdwa s[42:43], v9, v35 src0_sel:BYTE_0 src1_sel:DWORD
	s_mov_b64 s[44:45], -1
	s_and_b64 vcc, exec, s[50:51]
                                        ; implicit-def: $vgpr6
	s_cbranch_vccz .LBB2_528
; %bb.515:                              ;   in Loop: Header=BB2_350 Depth=4
	v_mov_b32_e32 v6, 0
	s_and_saveexec_b64 s[44:45], s[42:43]
	s_cbranch_execz .LBB2_521
; %bb.516:                              ;   in Loop: Header=BB2_350 Depth=4
	v_cmp_ne_u16_sdwa vcc, v9, s59 src0_sel:BYTE_0 src1_sel:DWORD
	v_bfrev_b32_e32 v6, 1
	s_and_saveexec_b64 s[46:47], vcc
	s_cbranch_execz .LBB2_520
; %bb.517:                              ;   in Loop: Header=BB2_350 Depth=4
	v_and_b32_e32 v18, 0x7f, v9
	v_cmp_ne_u32_e32 vcc, s97, v18
	v_mov_b32_e32 v6, 0x7f800001
	s_and_saveexec_b64 s[52:53], vcc
	s_cbranch_execz .LBB2_519
; %bb.518:                              ;   in Loop: Header=BB2_350 Depth=4
	v_and_b32_e32 v3, 7, v9
	v_ffbh_u32_e32 v3, v3
	v_min_u32_e32 v3, 32, v3
	v_lshrrev_b32_e32 v4, 3, v18
	v_cmp_gt_u32_e32 vcc, 8, v18
	v_subrev_u32_e32 v6, 28, v3
	v_sub_u32_e32 v3, 29, v3
	v_cndmask_b32_e32 v3, v4, v3, vcc
	v_cndmask_b32_e32 v4, 0, v6, vcc
	v_lshlrev_b64 v[18:19], v4, v[59:60]
	v_lshlrev_b32_e32 v6, 24, v59
	v_lshlrev_b32_e32 v4, 20, v18
	v_and_b32_e32 v4, 0x700000, v4
	v_and_b32_e32 v6, 0x80000000, v6
	v_lshl_add_u32 v3, v3, 23, v48
	v_or3_b32 v6, v6, v3, v4
.LBB2_519:                              ;   in Loop: Header=BB2_350 Depth=4
	s_or_b64 exec, exec, s[52:53]
.LBB2_520:                              ;   in Loop: Header=BB2_350 Depth=4
	s_or_b64 exec, exec, s[46:47]
.LBB2_521:                              ;   in Loop: Header=BB2_350 Depth=4
	s_or_b64 exec, exec, s[44:45]
	v_cmp_gt_i16_sdwa s[46:47], v13, s97 src0_sel:BYTE_0 src1_sel:DWORD
	s_mov_b64 s[44:45], 0
	s_and_saveexec_b64 vcc, s[46:47]
	s_xor_b64 s[46:47], exec, vcc
	s_cbranch_execz .LBB2_1018
; %bb.522:                              ;   in Loop: Header=BB2_350 Depth=4
	v_cmp_eq_u16_sdwa s[52:53], v13, s59 src0_sel:BYTE_0 src1_sel:DWORD
	s_mov_b64 s[44:45], -1
	s_and_saveexec_b64 vcc, s[52:53]
; %bb.523:                              ;   in Loop: Header=BB2_350 Depth=4
	s_xor_b64 s[44:45], exec, -1
; %bb.524:                              ;   in Loop: Header=BB2_350 Depth=4
	s_or_b64 exec, exec, vcc
	s_and_b64 s[44:45], s[44:45], exec
	s_or_saveexec_b64 s[46:47], s[46:47]
	v_bfrev_b32_e32 v18, 1
	s_xor_b64 exec, exec, s[46:47]
	s_cbranch_execnz .LBB2_1019
.LBB2_525:                              ;   in Loop: Header=BB2_350 Depth=4
	s_or_b64 exec, exec, s[46:47]
	s_and_saveexec_b64 s[46:47], s[44:45]
.LBB2_526:                              ;   in Loop: Header=BB2_350 Depth=4
	v_cndmask_b32_e64 v18, v1, v49, s[40:41]
.LBB2_527:                              ;   in Loop: Header=BB2_350 Depth=4
	s_or_b64 exec, exec, s[46:47]
	v_max_f32_e32 v3, v18, v18
	v_max_f32_e32 v4, v6, v6
	v_max_f32_e32 v6, v4, v3
	s_mov_b64 s[44:45], 0
.LBB2_528:                              ;   in Loop: Header=BB2_350 Depth=4
	s_and_b64 vcc, exec, s[44:45]
	s_cbranch_vccz .LBB2_542
; %bb.529:                              ;   in Loop: Header=BB2_350 Depth=4
	v_mov_b32_e32 v6, 0
	s_and_saveexec_b64 s[44:45], s[42:43]
	s_cbranch_execz .LBB2_535
; %bb.530:                              ;   in Loop: Header=BB2_350 Depth=4
	v_cmp_ne_u16_sdwa s[46:47], v9, s59 src0_sel:BYTE_0 src1_sel:DWORD
	v_bfrev_b32_e32 v6, 1
	s_and_saveexec_b64 s[42:43], s[46:47]
	s_cbranch_execz .LBB2_534
; %bb.531:                              ;   in Loop: Header=BB2_350 Depth=4
	v_and_b32_e32 v18, 0x7f, v9
	v_cmp_ne_u32_e32 vcc, s97, v18
	v_mov_b32_e32 v6, 0x7f800001
	s_and_saveexec_b64 s[46:47], vcc
	s_cbranch_execz .LBB2_533
; %bb.532:                              ;   in Loop: Header=BB2_350 Depth=4
	v_and_b32_e32 v3, 7, v9
	v_ffbh_u32_e32 v3, v3
	v_min_u32_e32 v3, 32, v3
	v_lshrrev_b32_e32 v4, 3, v18
	v_cmp_gt_u32_e32 vcc, 8, v18
	v_subrev_u32_e32 v6, 28, v3
	v_sub_u32_e32 v3, 29, v3
	v_cndmask_b32_e32 v3, v4, v3, vcc
	v_cndmask_b32_e32 v4, 0, v6, vcc
	v_lshlrev_b64 v[18:19], v4, v[59:60]
	v_lshlrev_b32_e32 v6, 24, v59
	v_lshlrev_b32_e32 v4, 20, v18
	v_and_b32_e32 v4, 0x700000, v4
	v_and_b32_e32 v6, 0x80000000, v6
	v_lshl_add_u32 v3, v3, 23, v48
	v_or3_b32 v6, v6, v3, v4
.LBB2_533:                              ;   in Loop: Header=BB2_350 Depth=4
	s_or_b64 exec, exec, s[46:47]
.LBB2_534:                              ;   in Loop: Header=BB2_350 Depth=4
	s_or_b64 exec, exec, s[42:43]
.LBB2_535:                              ;   in Loop: Header=BB2_350 Depth=4
	s_or_b64 exec, exec, s[44:45]
	v_cmp_gt_i16_sdwa s[44:45], v13, s97 src0_sel:BYTE_0 src1_sel:DWORD
	s_mov_b64 s[42:43], 0
	s_and_saveexec_b64 s[46:47], s[44:45]
	s_xor_b64 s[44:45], exec, s[46:47]
	s_cbranch_execz .LBB2_1020
; %bb.536:                              ;   in Loop: Header=BB2_350 Depth=4
	v_cmp_eq_u16_sdwa vcc, v13, s59 src0_sel:BYTE_0 src1_sel:DWORD
	s_mov_b64 s[42:43], -1
	s_and_saveexec_b64 s[46:47], vcc
; %bb.537:                              ;   in Loop: Header=BB2_350 Depth=4
	s_xor_b64 s[42:43], exec, -1
; %bb.538:                              ;   in Loop: Header=BB2_350 Depth=4
	s_or_b64 exec, exec, s[46:47]
	s_and_b64 s[42:43], s[42:43], exec
	s_or_saveexec_b64 s[44:45], s[44:45]
	v_bfrev_b32_e32 v18, 1
	s_xor_b64 exec, exec, s[44:45]
	s_cbranch_execnz .LBB2_1021
.LBB2_539:                              ;   in Loop: Header=BB2_350 Depth=4
	s_or_b64 exec, exec, s[44:45]
	s_and_saveexec_b64 s[44:45], s[42:43]
.LBB2_540:                              ;   in Loop: Header=BB2_350 Depth=4
	v_cndmask_b32_e64 v18, v1, v49, s[40:41]
.LBB2_541:                              ;   in Loop: Header=BB2_350 Depth=4
	s_or_b64 exec, exec, s[44:45]
	v_max_f32_e32 v1, v18, v18
	v_max_f32_e32 v3, v6, v6
	v_min_f32_e32 v6, v3, v1
.LBB2_542:                              ;   in Loop: Header=BB2_350 Depth=4
	v_and_b32_e32 v18, 0x7f800000, v6
	v_mov_b32_e32 v19, v35
	v_cmp_ne_u64_e32 vcc, s[90:91], v[18:19]
                                        ; implicit-def: $vgpr61
	s_and_saveexec_b64 s[40:41], vcc
	s_xor_b64 s[42:43], exec, s[40:41]
	s_cbranch_execz .LBB2_556
; %bb.543:                              ;   in Loop: Header=BB2_350 Depth=4
	v_and_b32_e32 v18, 0x7fffffff, v6
	v_mov_b32_e32 v19, v35
	v_cmp_gt_u64_e32 vcc, s[92:93], v[18:19]
	v_and_b32_sdwa v1, v6, s59 dst_sel:DWORD dst_unused:UNUSED_PAD src0_sel:BYTE_3 src1_sel:DWORD
                                        ; implicit-def: $vgpr61
	s_and_saveexec_b64 s[40:41], vcc
	s_xor_b64 s[44:45], exec, s[40:41]
	s_cbranch_execz .LBB2_553
; %bb.544:                              ;   in Loop: Header=BB2_350 Depth=4
	v_mov_b32_e32 v61, 0
	v_cmp_ne_u32_e32 vcc, 0, v6
	s_and_saveexec_b64 s[46:47], vcc
	s_cbranch_execz .LBB2_552
; %bb.545:                              ;   in Loop: Header=BB2_350 Depth=4
	v_and_b32_e32 v3, 0x7fffff, v6
	v_bfe_u32 v6, v6, 23, 8
	v_cmp_gt_u32_e64 s[40:41], s56, v6
	v_sub_u32_e32 v4, 0x79, v6
	v_cmp_eq_u32_e32 vcc, 0, v6
	v_cndmask_b32_e64 v4, 0, v4, s[40:41]
	v_mov_b32_e32 v19, 0x78
	v_or_b32_e32 v18, 0x800000, v3
	v_cndmask_b32_e32 v24, v4, v19, vcc
	v_cndmask_b32_e32 v18, v18, v3, vcc
	v_add_u32_e32 v3, 20, v24
	v_lshlrev_b64 v[25:26], v3, -1
	v_add_u32_e32 v3, 19, v24
	v_mov_b32_e32 v19, v35
	v_lshlrev_b64 v[30:31], v3, 1
	v_bfi_b32 v26, v26, 0, 0
	v_bfi_b32 v25, v25, 0, v18
	v_lshrrev_b64 v[60:61], v24, v[18:19]
	v_cmp_eq_u64_e64 s[40:41], v[25:26], v[30:31]
	v_mov_b32_e32 v18, v60
	v_mov_b32_e32 v19, v61
	s_and_saveexec_b64 s[52:53], s[40:41]
; %bb.546:                              ;   in Loop: Header=BB2_350 Depth=4
	v_bfe_u32 v3, v60, 20, 1
	v_add_co_u32_e64 v3, s[40:41], v60, v3
	v_add_co_u32_e64 v18, s[40:41], -1, v3
; %bb.547:                              ;   in Loop: Header=BB2_350 Depth=4
	s_or_b64 exec, exec, s[52:53]
	v_add_u32_e32 v3, 0xffffff81, v6
	v_cndmask_b32_e32 v3, v3, v52, vcc
	v_lshrrev_b32_e32 v4, 23, v60
	v_add3_u32 v24, v24, v3, v4
	v_add_u32_e32 v19, 6, v24
	v_and_b32_e32 v3, 0xfffff, v18
	v_add_u32_e32 v60, v3, v60
	v_mov_b32_e32 v61, v35
	v_cmp_ne_u32_e32 vcc, 0, v19
                                        ; implicit-def: $vgpr6
	s_and_saveexec_b64 s[40:41], vcc
	s_xor_b64 s[40:41], exec, s[40:41]
; %bb.548:                              ;   in Loop: Header=BB2_350 Depth=4
	v_cmp_lt_u64_e32 vcc, s[94:95], v[60:61]
	v_add_u32_e32 v3, 7, v24
	v_cndmask_b32_e32 v6, v19, v3, vcc
	v_cndmask_b32_e64 v3, 0, 1, vcc
	v_lshrrev_b64 v[60:61], v3, v[60:61]
; %bb.549:                              ;   in Loop: Header=BB2_350 Depth=4
	s_andn2_saveexec_b64 s[40:41], s[40:41]
; %bb.550:                              ;   in Loop: Header=BB2_350 Depth=4
	v_bfe_u32 v6, v60, 23, 1
; %bb.551:                              ;   in Loop: Header=BB2_350 Depth=4
	s_or_b64 exec, exec, s[40:41]
	v_lshrrev_b64 v[18:19], 20, v[60:61]
	v_cmp_gt_i32_e32 vcc, 16, v6
	v_cndmask_b32_e32 v19, 0, v19, vcc
	v_cndmask_b32_e32 v18, 7, v18, vcc
	v_min_i32_e32 v3, 15, v6
	v_cmp_eq_u64_e64 s[40:41], 0, v[18:19]
	v_lshlrev_b32_e32 v3, 3, v3
	v_cmp_eq_u32_e32 vcc, 0, v6
	v_and_b32_e32 v3, 0xf8, v3
	v_and_or_b32 v3, v18, 7, v3
	s_and_b64 s[40:41], vcc, s[40:41]
	v_cndmask_b32_e64 v3, v3, 0, s[40:41]
	v_or_b32_e32 v61, v3, v1
.LBB2_552:                              ;   in Loop: Header=BB2_350 Depth=4
	s_or_b64 exec, exec, s[46:47]
                                        ; implicit-def: $vgpr1
.LBB2_553:                              ;   in Loop: Header=BB2_350 Depth=4
	s_andn2_saveexec_b64 s[40:41], s[44:45]
; %bb.554:                              ;   in Loop: Header=BB2_350 Depth=4
	v_or_b32_e32 v61, 0x7e, v1
; %bb.555:                              ;   in Loop: Header=BB2_350 Depth=4
	s_or_b64 exec, exec, s[40:41]
                                        ; implicit-def: $vgpr6
.LBB2_556:                              ;   in Loop: Header=BB2_350 Depth=4
	s_andn2_saveexec_b64 s[40:41], s[42:43]
; %bb.557:                              ;   in Loop: Header=BB2_350 Depth=4
	v_or_b32_sdwa v61, v6, s97 dst_sel:DWORD dst_unused:UNUSED_PAD src0_sel:BYTE_3 src1_sel:DWORD
; %bb.558:                              ;   in Loop: Header=BB2_350 Depth=4
	s_or_b64 exec, exec, s[40:41]
	v_lshrrev_b16_e32 v34, 8, v34
	v_and_b32_e32 v1, 7, v34
	v_and_b32_e32 v3, 0x7f, v34
	v_cmp_eq_u32_e64 s[40:41], s97, v3
	v_cmp_gt_u32_e32 vcc, 8, v3
	v_ffbh_u32_e32 v3, v1
	v_min_u32_e32 v3, 32, v3
	v_subrev_u32_e32 v6, 28, v3
	v_lshlrev_b64 v[18:19], v6, v[34:35]
	v_bfe_u32 v4, v34, 3, 4
	v_sub_u32_e32 v3, 29, v3
	v_and_b32_e32 v6, 7, v18
	v_cndmask_b32_e32 v3, v4, v3, vcc
	v_cndmask_b32_e32 v1, v1, v6, vcc
	v_lshlrev_b32_e32 v4, 24, v34
	v_lshrrev_b16_e32 v30, 8, v59
	v_lshlrev_b32_e32 v1, 20, v1
	v_and_b32_e32 v4, 0x80000000, v4
	v_lshl_add_u32 v3, v3, 23, v48
	v_or3_b32 v1, v4, v3, v1
	v_cmp_ne_u16_e64 s[42:43], 0, v30
	s_mov_b64 s[44:45], -1
	s_and_b64 vcc, exec, s[50:51]
                                        ; implicit-def: $vgpr18
	s_cbranch_vccz .LBB2_572
; %bb.559:                              ;   in Loop: Header=BB2_350 Depth=4
	v_mov_b32_e32 v6, 0
	s_and_saveexec_b64 s[44:45], s[42:43]
	s_cbranch_execz .LBB2_565
; %bb.560:                              ;   in Loop: Header=BB2_350 Depth=4
	v_cmp_ne_u16_e32 vcc, s59, v30
	v_bfrev_b32_e32 v6, 1
	s_and_saveexec_b64 s[46:47], vcc
	s_cbranch_execz .LBB2_564
; %bb.561:                              ;   in Loop: Header=BB2_350 Depth=4
	v_and_b32_e32 v18, 0x7f, v30
	v_cmp_ne_u32_e32 vcc, s97, v18
	v_mov_b32_e32 v6, 0x7f800001
	s_and_saveexec_b64 s[52:53], vcc
	s_cbranch_execz .LBB2_563
; %bb.562:                              ;   in Loop: Header=BB2_350 Depth=4
	v_and_b32_e32 v3, 7, v30
	v_ffbh_u32_e32 v6, v3
	v_min_u32_e32 v6, 32, v6
	v_lshrrev_b32_e32 v4, 3, v18
	v_cmp_gt_u32_e32 vcc, 8, v18
	v_subrev_u32_e32 v18, 28, v6
	v_lshlrev_b64 v[18:19], v18, v[30:31]
	v_sub_u32_e32 v6, 29, v6
	v_and_b32_e32 v18, 7, v18
	v_cndmask_b32_e32 v4, v4, v6, vcc
	v_cndmask_b32_e32 v3, v3, v18, vcc
	v_lshlrev_b32_e32 v6, 16, v59
	v_lshlrev_b32_e32 v3, 20, v3
	v_and_b32_e32 v6, 0x80000000, v6
	v_lshl_add_u32 v4, v4, 23, v48
	v_or3_b32 v6, v6, v4, v3
.LBB2_563:                              ;   in Loop: Header=BB2_350 Depth=4
	s_or_b64 exec, exec, s[52:53]
.LBB2_564:                              ;   in Loop: Header=BB2_350 Depth=4
	s_or_b64 exec, exec, s[46:47]
.LBB2_565:                              ;   in Loop: Header=BB2_350 Depth=4
	s_or_b64 exec, exec, s[44:45]
	v_cmp_lt_i16_e32 vcc, s97, v34
	s_mov_b64 s[44:45], 0
	s_and_saveexec_b64 s[46:47], vcc
	s_xor_b64 s[46:47], exec, s[46:47]
	s_cbranch_execz .LBB2_1022
; %bb.566:                              ;   in Loop: Header=BB2_350 Depth=4
	v_cmp_eq_u16_e32 vcc, s59, v34
	s_mov_b64 s[44:45], -1
	s_and_saveexec_b64 s[52:53], vcc
; %bb.567:                              ;   in Loop: Header=BB2_350 Depth=4
	s_xor_b64 s[44:45], exec, -1
; %bb.568:                              ;   in Loop: Header=BB2_350 Depth=4
	s_or_b64 exec, exec, s[52:53]
	s_and_b64 s[44:45], s[44:45], exec
	s_or_saveexec_b64 s[46:47], s[46:47]
	v_bfrev_b32_e32 v18, 1
	s_xor_b64 exec, exec, s[46:47]
	s_cbranch_execnz .LBB2_1023
.LBB2_569:                              ;   in Loop: Header=BB2_350 Depth=4
	s_or_b64 exec, exec, s[46:47]
	s_and_saveexec_b64 s[46:47], s[44:45]
.LBB2_570:                              ;   in Loop: Header=BB2_350 Depth=4
	v_cndmask_b32_e64 v18, v1, v49, s[40:41]
.LBB2_571:                              ;   in Loop: Header=BB2_350 Depth=4
	s_or_b64 exec, exec, s[46:47]
	v_max_f32_e32 v3, v18, v18
	v_max_f32_e32 v4, v6, v6
	;; [unrolled: 1-line block ×3, first 2 shown]
	s_mov_b64 s[44:45], 0
.LBB2_572:                              ;   in Loop: Header=BB2_350 Depth=4
	s_and_b64 vcc, exec, s[44:45]
	s_cbranch_vccz .LBB2_586
; %bb.573:                              ;   in Loop: Header=BB2_350 Depth=4
	v_mov_b32_e32 v6, 0
	s_and_saveexec_b64 s[44:45], s[42:43]
	s_cbranch_execz .LBB2_579
; %bb.574:                              ;   in Loop: Header=BB2_350 Depth=4
	v_cmp_ne_u16_e32 vcc, s59, v30
	v_bfrev_b32_e32 v6, 1
	s_and_saveexec_b64 s[42:43], vcc
	s_cbranch_execz .LBB2_578
; %bb.575:                              ;   in Loop: Header=BB2_350 Depth=4
	v_and_b32_e32 v18, 0x7f, v30
	v_cmp_ne_u32_e32 vcc, s97, v18
	v_mov_b32_e32 v6, 0x7f800001
	s_and_saveexec_b64 s[46:47], vcc
	s_cbranch_execz .LBB2_577
; %bb.576:                              ;   in Loop: Header=BB2_350 Depth=4
	v_and_b32_e32 v3, 7, v30
	v_ffbh_u32_e32 v6, v3
	v_min_u32_e32 v6, 32, v6
	v_lshrrev_b32_e32 v4, 3, v18
	v_cmp_gt_u32_e32 vcc, 8, v18
	v_subrev_u32_e32 v18, 28, v6
	v_lshlrev_b64 v[18:19], v18, v[30:31]
	v_sub_u32_e32 v6, 29, v6
	v_and_b32_e32 v18, 7, v18
	v_cndmask_b32_e32 v4, v4, v6, vcc
	v_cndmask_b32_e32 v3, v3, v18, vcc
	v_lshlrev_b32_e32 v6, 16, v59
	v_lshlrev_b32_e32 v3, 20, v3
	v_and_b32_e32 v6, 0x80000000, v6
	v_lshl_add_u32 v4, v4, 23, v48
	v_or3_b32 v6, v6, v4, v3
.LBB2_577:                              ;   in Loop: Header=BB2_350 Depth=4
	s_or_b64 exec, exec, s[46:47]
.LBB2_578:                              ;   in Loop: Header=BB2_350 Depth=4
	s_or_b64 exec, exec, s[42:43]
.LBB2_579:                              ;   in Loop: Header=BB2_350 Depth=4
	s_or_b64 exec, exec, s[44:45]
	v_cmp_lt_i16_e32 vcc, s97, v34
	s_mov_b64 s[42:43], 0
	s_and_saveexec_b64 s[44:45], vcc
	s_xor_b64 s[44:45], exec, s[44:45]
	s_cbranch_execz .LBB2_1024
; %bb.580:                              ;   in Loop: Header=BB2_350 Depth=4
	v_cmp_eq_u16_e32 vcc, s59, v34
	s_mov_b64 s[42:43], -1
	s_and_saveexec_b64 s[46:47], vcc
; %bb.581:                              ;   in Loop: Header=BB2_350 Depth=4
	s_xor_b64 s[42:43], exec, -1
; %bb.582:                              ;   in Loop: Header=BB2_350 Depth=4
	s_or_b64 exec, exec, s[46:47]
	s_and_b64 s[42:43], s[42:43], exec
	s_or_saveexec_b64 s[44:45], s[44:45]
	v_bfrev_b32_e32 v18, 1
	s_xor_b64 exec, exec, s[44:45]
	s_cbranch_execnz .LBB2_1025
.LBB2_583:                              ;   in Loop: Header=BB2_350 Depth=4
	s_or_b64 exec, exec, s[44:45]
	s_and_saveexec_b64 s[44:45], s[42:43]
.LBB2_584:                              ;   in Loop: Header=BB2_350 Depth=4
	v_cndmask_b32_e64 v18, v1, v49, s[40:41]
.LBB2_585:                              ;   in Loop: Header=BB2_350 Depth=4
	s_or_b64 exec, exec, s[44:45]
	v_max_f32_e32 v1, v18, v18
	v_max_f32_e32 v3, v6, v6
	v_min_f32_e32 v18, v3, v1
.LBB2_586:                              ;   in Loop: Header=BB2_350 Depth=4
	v_and_b32_e32 v34, 0x7f800000, v18
	v_cmp_ne_u64_e32 vcc, s[90:91], v[34:35]
                                        ; implicit-def: $vgpr6
	s_and_saveexec_b64 s[40:41], vcc
	s_xor_b64 s[42:43], exec, s[40:41]
	s_cbranch_execz .LBB2_600
; %bb.587:                              ;   in Loop: Header=BB2_350 Depth=4
	v_and_b32_e32 v34, 0x7fffffff, v18
	v_cmp_gt_u64_e32 vcc, s[92:93], v[34:35]
	v_and_b32_sdwa v1, v18, s59 dst_sel:DWORD dst_unused:UNUSED_PAD src0_sel:BYTE_3 src1_sel:DWORD
                                        ; implicit-def: $vgpr6
	s_and_saveexec_b64 s[40:41], vcc
	s_xor_b64 s[44:45], exec, s[40:41]
	s_cbranch_execz .LBB2_597
; %bb.588:                              ;   in Loop: Header=BB2_350 Depth=4
	v_mov_b32_e32 v6, 0
	v_cmp_ne_u32_e32 vcc, 0, v18
	s_and_saveexec_b64 s[46:47], vcc
	s_cbranch_execz .LBB2_596
; %bb.589:                              ;   in Loop: Header=BB2_350 Depth=4
	v_bfe_u32 v6, v18, 23, 8
	v_cmp_gt_u32_e64 s[40:41], s56, v6
	v_sub_u32_e32 v4, 0x79, v6
	v_and_b32_e32 v3, 0x7fffff, v18
	v_cmp_eq_u32_e32 vcc, 0, v6
	v_cndmask_b32_e64 v4, 0, v4, s[40:41]
	v_mov_b32_e32 v19, 0x78
	v_or_b32_e32 v18, 0x800000, v3
	v_cndmask_b32_e32 v24, v4, v19, vcc
	v_cndmask_b32_e32 v34, v18, v3, vcc
	v_add_u32_e32 v3, 20, v24
	v_lshlrev_b64 v[18:19], v3, -1
	v_add_u32_e32 v3, 19, v24
	v_lshlrev_b64 v[25:26], v3, 1
	v_bfi_b32 v19, v19, 0, 0
	v_bfi_b32 v18, v18, 0, v34
	v_lshrrev_b64 v[59:60], v24, v[34:35]
	v_cmp_eq_u64_e64 s[40:41], v[18:19], v[25:26]
	v_mov_b32_e32 v18, v59
	v_mov_b32_e32 v19, v60
	s_and_saveexec_b64 s[52:53], s[40:41]
; %bb.590:                              ;   in Loop: Header=BB2_350 Depth=4
	v_bfe_u32 v3, v59, 20, 1
	v_add_co_u32_e64 v3, s[40:41], v59, v3
	v_add_co_u32_e64 v18, s[40:41], -1, v3
; %bb.591:                              ;   in Loop: Header=BB2_350 Depth=4
	s_or_b64 exec, exec, s[52:53]
	v_add_u32_e32 v3, 0xffffff81, v6
	v_cndmask_b32_e32 v3, v3, v52, vcc
	v_lshrrev_b32_e32 v4, 23, v59
	v_add3_u32 v24, v24, v3, v4
	v_add_u32_e32 v19, 6, v24
	v_and_b32_e32 v3, 0xfffff, v18
	v_add_u32_e32 v34, v3, v59
	v_cmp_ne_u32_e32 vcc, 0, v19
                                        ; implicit-def: $vgpr59_vgpr60
                                        ; implicit-def: $vgpr6
	s_and_saveexec_b64 s[40:41], vcc
	s_xor_b64 s[40:41], exec, s[40:41]
; %bb.592:                              ;   in Loop: Header=BB2_350 Depth=4
	v_cmp_lt_u64_e32 vcc, s[94:95], v[34:35]
	v_add_u32_e32 v3, 7, v24
	v_cndmask_b32_e32 v6, v19, v3, vcc
	v_cndmask_b32_e64 v3, 0, 1, vcc
	v_lshrrev_b64 v[59:60], v3, v[34:35]
; %bb.593:                              ;   in Loop: Header=BB2_350 Depth=4
	s_andn2_saveexec_b64 s[40:41], s[40:41]
; %bb.594:                              ;   in Loop: Header=BB2_350 Depth=4
	v_mov_b32_e32 v60, v35
	v_bfe_u32 v6, v34, 23, 1
	v_mov_b32_e32 v59, v34
; %bb.595:                              ;   in Loop: Header=BB2_350 Depth=4
	s_or_b64 exec, exec, s[40:41]
	v_lshrrev_b64 v[18:19], 20, v[59:60]
	v_cmp_gt_i32_e32 vcc, 16, v6
	v_cndmask_b32_e32 v19, 0, v19, vcc
	v_cndmask_b32_e32 v18, 7, v18, vcc
	v_min_i32_e32 v3, 15, v6
	v_cmp_eq_u64_e64 s[40:41], 0, v[18:19]
	v_lshlrev_b32_e32 v3, 3, v3
	v_cmp_eq_u32_e32 vcc, 0, v6
	v_and_b32_e32 v3, 0xf8, v3
	v_and_or_b32 v3, v18, 7, v3
	s_and_b64 s[40:41], vcc, s[40:41]
	v_cndmask_b32_e64 v3, v3, 0, s[40:41]
	v_or_b32_e32 v6, v3, v1
.LBB2_596:                              ;   in Loop: Header=BB2_350 Depth=4
	s_or_b64 exec, exec, s[46:47]
                                        ; implicit-def: $vgpr1
.LBB2_597:                              ;   in Loop: Header=BB2_350 Depth=4
	s_andn2_saveexec_b64 s[40:41], s[44:45]
; %bb.598:                              ;   in Loop: Header=BB2_350 Depth=4
	v_or_b32_e32 v6, 0x7e, v1
; %bb.599:                              ;   in Loop: Header=BB2_350 Depth=4
	s_or_b64 exec, exec, s[40:41]
                                        ; implicit-def: $vgpr18
.LBB2_600:                              ;   in Loop: Header=BB2_350 Depth=4
	s_andn2_saveexec_b64 s[40:41], s[42:43]
; %bb.601:                              ;   in Loop: Header=BB2_350 Depth=4
	v_or_b32_sdwa v6, v18, s97 dst_sel:DWORD dst_unused:UNUSED_PAD src0_sel:BYTE_3 src1_sel:DWORD
; %bb.602:                              ;   in Loop: Header=BB2_350 Depth=4
	s_or_b64 exec, exec, s[40:41]
	v_bfe_u32 v1, v13, 16, 3
	v_bfe_u32 v3, v13, 16, 7
	v_cmp_eq_u32_e64 s[40:41], s97, v3
	v_cmp_gt_u32_e32 vcc, 8, v3
	v_ffbh_u32_e32 v3, v1
	v_min_u32_e32 v3, 32, v3
	v_lshrrev_b32_e32 v30, 16, v13
	v_subrev_u32_e32 v18, 28, v3
	v_lshlrev_b64 v[18:19], v18, v[30:31]
	v_bfe_u32 v4, v30, 3, 4
	v_sub_u32_e32 v3, 29, v3
	v_and_b32_e32 v18, 7, v18
	v_cndmask_b32_e32 v3, v4, v3, vcc
	v_cndmask_b32_e32 v1, v1, v18, vcc
	v_lshlrev_b32_e32 v4, 8, v13
	v_lshlrev_b32_e32 v1, 20, v1
	v_and_b32_e32 v4, 0x80000000, v4
	v_lshl_add_u32 v3, v3, 23, v48
	v_lshrrev_b32_e32 v34, 16, v9
	v_or3_b32 v1, v4, v3, v1
	v_cmp_ne_u16_sdwa s[42:43], v34, v35 src0_sel:BYTE_0 src1_sel:DWORD
	s_mov_b64 s[44:45], -1
	s_and_b64 vcc, exec, s[50:51]
                                        ; implicit-def: $vgpr18
	s_cbranch_vccz .LBB2_616
; %bb.603:                              ;   in Loop: Header=BB2_350 Depth=4
	v_mov_b32_e32 v18, 0
	s_and_saveexec_b64 s[44:45], s[42:43]
	s_cbranch_execz .LBB2_609
; %bb.604:                              ;   in Loop: Header=BB2_350 Depth=4
	v_cmp_ne_u16_sdwa vcc, v34, s59 src0_sel:BYTE_0 src1_sel:DWORD
	v_bfrev_b32_e32 v18, 1
	s_and_saveexec_b64 s[46:47], vcc
	s_cbranch_execz .LBB2_608
; %bb.605:                              ;   in Loop: Header=BB2_350 Depth=4
	v_bfe_u32 v19, v9, 16, 7
	v_cmp_ne_u32_e32 vcc, s97, v19
	v_mov_b32_e32 v18, 0x7f800001
	s_and_saveexec_b64 s[52:53], vcc
	s_cbranch_execz .LBB2_607
; %bb.606:                              ;   in Loop: Header=BB2_350 Depth=4
	v_and_b32_e32 v3, 7, v34
	v_ffbh_u32_e32 v18, v3
	v_min_u32_e32 v24, 32, v18
	v_subrev_u32_e32 v18, 28, v24
	v_lshrrev_b32_e32 v4, 3, v19
	v_cmp_gt_u32_e32 vcc, 8, v19
	v_lshlrev_b64 v[18:19], v18, v[34:35]
	v_sub_u32_e32 v19, 29, v24
	v_and_b32_e32 v18, 7, v18
	v_cndmask_b32_e32 v4, v4, v19, vcc
	v_cndmask_b32_e32 v3, v3, v18, vcc
	v_lshlrev_b32_e32 v18, 24, v34
	v_lshlrev_b32_e32 v3, 20, v3
	v_and_b32_e32 v18, 0x80000000, v18
	v_lshl_add_u32 v4, v4, 23, v48
	v_or3_b32 v18, v18, v4, v3
.LBB2_607:                              ;   in Loop: Header=BB2_350 Depth=4
	s_or_b64 exec, exec, s[52:53]
.LBB2_608:                              ;   in Loop: Header=BB2_350 Depth=4
	s_or_b64 exec, exec, s[46:47]
.LBB2_609:                              ;   in Loop: Header=BB2_350 Depth=4
	s_or_b64 exec, exec, s[44:45]
	v_cmp_gt_i16_sdwa s[46:47], v30, s97 src0_sel:BYTE_0 src1_sel:DWORD
	s_mov_b64 s[44:45], 0
	s_and_saveexec_b64 vcc, s[46:47]
	s_xor_b64 s[46:47], exec, vcc
	s_cbranch_execz .LBB2_1026
; %bb.610:                              ;   in Loop: Header=BB2_350 Depth=4
	v_cmp_eq_u16_sdwa s[52:53], v30, s59 src0_sel:BYTE_0 src1_sel:DWORD
	s_mov_b64 s[44:45], -1
	s_and_saveexec_b64 vcc, s[52:53]
; %bb.611:                              ;   in Loop: Header=BB2_350 Depth=4
	s_xor_b64 s[44:45], exec, -1
; %bb.612:                              ;   in Loop: Header=BB2_350 Depth=4
	s_or_b64 exec, exec, vcc
	s_and_b64 s[44:45], s[44:45], exec
	s_or_saveexec_b64 s[46:47], s[46:47]
	v_bfrev_b32_e32 v19, 1
	s_xor_b64 exec, exec, s[46:47]
	s_cbranch_execnz .LBB2_1027
.LBB2_613:                              ;   in Loop: Header=BB2_350 Depth=4
	s_or_b64 exec, exec, s[46:47]
	s_and_saveexec_b64 s[46:47], s[44:45]
.LBB2_614:                              ;   in Loop: Header=BB2_350 Depth=4
	v_cndmask_b32_e64 v19, v1, v49, s[40:41]
.LBB2_615:                              ;   in Loop: Header=BB2_350 Depth=4
	s_or_b64 exec, exec, s[46:47]
	v_max_f32_e32 v3, v19, v19
	v_max_f32_e32 v4, v18, v18
	;; [unrolled: 1-line block ×3, first 2 shown]
	s_mov_b64 s[44:45], 0
.LBB2_616:                              ;   in Loop: Header=BB2_350 Depth=4
	s_and_b64 vcc, exec, s[44:45]
	s_cbranch_vccz .LBB2_630
; %bb.617:                              ;   in Loop: Header=BB2_350 Depth=4
	v_mov_b32_e32 v18, 0
	s_and_saveexec_b64 s[44:45], s[42:43]
	s_cbranch_execz .LBB2_623
; %bb.618:                              ;   in Loop: Header=BB2_350 Depth=4
	v_cmp_ne_u16_sdwa s[46:47], v34, s59 src0_sel:BYTE_0 src1_sel:DWORD
	v_bfrev_b32_e32 v18, 1
	s_and_saveexec_b64 s[42:43], s[46:47]
	s_cbranch_execz .LBB2_622
; %bb.619:                              ;   in Loop: Header=BB2_350 Depth=4
	v_bfe_u32 v19, v9, 16, 7
	v_cmp_ne_u32_e32 vcc, s97, v19
	v_mov_b32_e32 v18, 0x7f800001
	s_and_saveexec_b64 s[46:47], vcc
	s_cbranch_execz .LBB2_621
; %bb.620:                              ;   in Loop: Header=BB2_350 Depth=4
	v_and_b32_e32 v3, 7, v34
	v_ffbh_u32_e32 v18, v3
	v_min_u32_e32 v24, 32, v18
	v_subrev_u32_e32 v18, 28, v24
	v_lshrrev_b32_e32 v4, 3, v19
	v_cmp_gt_u32_e32 vcc, 8, v19
	v_lshlrev_b64 v[18:19], v18, v[34:35]
	v_sub_u32_e32 v19, 29, v24
	v_and_b32_e32 v18, 7, v18
	v_cndmask_b32_e32 v4, v4, v19, vcc
	v_cndmask_b32_e32 v3, v3, v18, vcc
	v_lshlrev_b32_e32 v18, 24, v34
	v_lshlrev_b32_e32 v3, 20, v3
	v_and_b32_e32 v18, 0x80000000, v18
	v_lshl_add_u32 v4, v4, 23, v48
	v_or3_b32 v18, v18, v4, v3
.LBB2_621:                              ;   in Loop: Header=BB2_350 Depth=4
	s_or_b64 exec, exec, s[46:47]
.LBB2_622:                              ;   in Loop: Header=BB2_350 Depth=4
	s_or_b64 exec, exec, s[42:43]
.LBB2_623:                              ;   in Loop: Header=BB2_350 Depth=4
	s_or_b64 exec, exec, s[44:45]
	v_cmp_gt_i16_sdwa s[44:45], v30, s97 src0_sel:BYTE_0 src1_sel:DWORD
	s_mov_b64 s[42:43], 0
	s_and_saveexec_b64 s[46:47], s[44:45]
	s_xor_b64 s[44:45], exec, s[46:47]
	s_cbranch_execz .LBB2_1028
; %bb.624:                              ;   in Loop: Header=BB2_350 Depth=4
	v_cmp_eq_u16_sdwa vcc, v30, s59 src0_sel:BYTE_0 src1_sel:DWORD
	s_mov_b64 s[42:43], -1
	s_and_saveexec_b64 s[46:47], vcc
; %bb.625:                              ;   in Loop: Header=BB2_350 Depth=4
	s_xor_b64 s[42:43], exec, -1
; %bb.626:                              ;   in Loop: Header=BB2_350 Depth=4
	s_or_b64 exec, exec, s[46:47]
	s_and_b64 s[42:43], s[42:43], exec
                                        ; implicit-def: $vgpr30
	s_or_saveexec_b64 s[44:45], s[44:45]
	v_bfrev_b32_e32 v19, 1
	s_xor_b64 exec, exec, s[44:45]
	s_cbranch_execnz .LBB2_1029
.LBB2_627:                              ;   in Loop: Header=BB2_350 Depth=4
	s_or_b64 exec, exec, s[44:45]
	s_and_saveexec_b64 s[44:45], s[42:43]
.LBB2_628:                              ;   in Loop: Header=BB2_350 Depth=4
	v_cndmask_b32_e64 v19, v1, v49, s[40:41]
.LBB2_629:                              ;   in Loop: Header=BB2_350 Depth=4
	s_or_b64 exec, exec, s[44:45]
	v_max_f32_e32 v1, v19, v19
	v_max_f32_e32 v3, v18, v18
	v_min_f32_e32 v18, v3, v1
.LBB2_630:                              ;   in Loop: Header=BB2_350 Depth=4
	v_and_b32_e32 v34, 0x7f800000, v18
	v_cmp_ne_u64_e32 vcc, s[90:91], v[34:35]
                                        ; implicit-def: $vgpr31
	s_and_saveexec_b64 s[40:41], vcc
	s_xor_b64 s[42:43], exec, s[40:41]
	s_cbranch_execz .LBB2_644
; %bb.631:                              ;   in Loop: Header=BB2_350 Depth=4
	v_and_b32_e32 v34, 0x7fffffff, v18
	v_cmp_gt_u64_e32 vcc, s[92:93], v[34:35]
	v_and_b32_sdwa v1, v18, s59 dst_sel:DWORD dst_unused:UNUSED_PAD src0_sel:BYTE_3 src1_sel:DWORD
                                        ; implicit-def: $vgpr31
	s_and_saveexec_b64 s[40:41], vcc
	s_xor_b64 s[44:45], exec, s[40:41]
	s_cbranch_execz .LBB2_641
; %bb.632:                              ;   in Loop: Header=BB2_350 Depth=4
	v_mov_b32_e32 v31, 0
	v_cmp_ne_u32_e32 vcc, 0, v18
	s_and_saveexec_b64 s[46:47], vcc
	s_cbranch_execz .LBB2_640
; %bb.633:                              ;   in Loop: Header=BB2_350 Depth=4
	v_bfe_u32 v24, v18, 23, 8
	v_cmp_gt_u32_e64 s[40:41], s56, v24
	v_sub_u32_e32 v4, 0x79, v24
	v_and_b32_e32 v3, 0x7fffff, v18
	v_cmp_eq_u32_e32 vcc, 0, v24
	v_cndmask_b32_e64 v4, 0, v4, s[40:41]
	v_mov_b32_e32 v19, 0x78
	v_or_b32_e32 v18, 0x800000, v3
	v_cndmask_b32_e32 v25, v4, v19, vcc
	v_cndmask_b32_e32 v34, v18, v3, vcc
	v_add_u32_e32 v3, 20, v25
	v_lshlrev_b64 v[18:19], v3, -1
	v_add_u32_e32 v3, 19, v25
	v_lshlrev_b64 v[30:31], v3, 1
	v_bfi_b32 v19, v19, 0, 0
	v_bfi_b32 v18, v18, 0, v34
	v_lshrrev_b64 v[59:60], v25, v[34:35]
	v_cmp_eq_u64_e64 s[40:41], v[18:19], v[30:31]
	v_mov_b32_e32 v18, v59
	v_mov_b32_e32 v19, v60
	s_and_saveexec_b64 s[52:53], s[40:41]
; %bb.634:                              ;   in Loop: Header=BB2_350 Depth=4
	v_bfe_u32 v3, v59, 20, 1
	v_add_co_u32_e64 v3, s[40:41], v59, v3
	v_add_co_u32_e64 v18, s[40:41], -1, v3
; %bb.635:                              ;   in Loop: Header=BB2_350 Depth=4
	s_or_b64 exec, exec, s[52:53]
	v_add_u32_e32 v3, 0xffffff81, v24
	v_cndmask_b32_e32 v3, v3, v52, vcc
	v_lshrrev_b32_e32 v4, 23, v59
	v_add3_u32 v24, v25, v3, v4
	v_add_u32_e32 v19, 6, v24
	v_and_b32_e32 v3, 0xfffff, v18
	v_add_u32_e32 v34, v3, v59
	v_cmp_ne_u32_e32 vcc, 0, v19
                                        ; implicit-def: $vgpr59_vgpr60
                                        ; implicit-def: $vgpr18
	s_and_saveexec_b64 s[40:41], vcc
	s_xor_b64 s[40:41], exec, s[40:41]
; %bb.636:                              ;   in Loop: Header=BB2_350 Depth=4
	v_cmp_lt_u64_e32 vcc, s[94:95], v[34:35]
	v_add_u32_e32 v3, 7, v24
	v_cndmask_b32_e32 v18, v19, v3, vcc
	v_cndmask_b32_e64 v3, 0, 1, vcc
	v_lshrrev_b64 v[59:60], v3, v[34:35]
; %bb.637:                              ;   in Loop: Header=BB2_350 Depth=4
	s_andn2_saveexec_b64 s[40:41], s[40:41]
; %bb.638:                              ;   in Loop: Header=BB2_350 Depth=4
	v_mov_b32_e32 v60, v35
	v_bfe_u32 v18, v34, 23, 1
	v_mov_b32_e32 v59, v34
; %bb.639:                              ;   in Loop: Header=BB2_350 Depth=4
	s_or_b64 exec, exec, s[40:41]
	v_lshrrev_b64 v[24:25], 20, v[59:60]
	v_cmp_gt_i32_e32 vcc, 16, v18
	v_cndmask_b32_e32 v25, 0, v25, vcc
	v_cndmask_b32_e32 v24, 7, v24, vcc
	v_min_i32_e32 v3, 15, v18
	v_cmp_eq_u64_e64 s[40:41], 0, v[24:25]
	v_lshlrev_b32_e32 v3, 3, v3
	v_cmp_eq_u32_e32 vcc, 0, v18
	v_and_b32_e32 v3, 0xf8, v3
	v_and_or_b32 v3, v24, 7, v3
	s_and_b64 s[40:41], vcc, s[40:41]
	v_cndmask_b32_e64 v3, v3, 0, s[40:41]
	v_or_b32_e32 v31, v3, v1
.LBB2_640:                              ;   in Loop: Header=BB2_350 Depth=4
	s_or_b64 exec, exec, s[46:47]
                                        ; implicit-def: $vgpr1
.LBB2_641:                              ;   in Loop: Header=BB2_350 Depth=4
	s_andn2_saveexec_b64 s[40:41], s[44:45]
; %bb.642:                              ;   in Loop: Header=BB2_350 Depth=4
	v_or_b32_e32 v31, 0x7e, v1
; %bb.643:                              ;   in Loop: Header=BB2_350 Depth=4
	s_or_b64 exec, exec, s[40:41]
                                        ; implicit-def: $vgpr18
.LBB2_644:                              ;   in Loop: Header=BB2_350 Depth=4
	s_andn2_saveexec_b64 s[40:41], s[42:43]
; %bb.645:                              ;   in Loop: Header=BB2_350 Depth=4
	v_or_b32_sdwa v31, v18, s97 dst_sel:DWORD dst_unused:UNUSED_PAD src0_sel:BYTE_3 src1_sel:DWORD
; %bb.646:                              ;   in Loop: Header=BB2_350 Depth=4
	s_or_b64 exec, exec, s[40:41]
	v_bfe_u32 v3, v13, 24, 3
	v_bfe_u32 v4, v13, 24, 7
	v_cmp_eq_u32_e64 s[44:45], s97, v4
	v_cmp_gt_u32_e32 vcc, 8, v4
	v_ffbh_u32_e32 v4, v3
	v_min_u32_e32 v4, 32, v4
	v_lshrrev_b32_e32 v1, 24, v13
	v_subrev_u32_e32 v18, 28, v4
	v_lshlrev_b64 v[18:19], v18, v[1:2]
	v_cmp_gt_u64_e64 s[40:41], s[60:61], v[12:13]
	v_bfe_u32 v12, v1, 3, 4
	v_cmp_eq_u32_e64 s[42:43], s59, v1
	v_sub_u32_e32 v1, 29, v4
	v_and_b32_e32 v4, 7, v18
	v_cndmask_b32_e32 v1, v12, v1, vcc
	v_cndmask_b32_e32 v3, v3, v4, vcc
	v_lshlrev_b32_e32 v3, 20, v3
	v_and_b32_e32 v4, 0x80000000, v13
	v_lshl_add_u32 v1, v1, 23, v48
	v_cmp_lt_u64_e64 s[46:47], s[62:63], v[8:9]
	v_lshrrev_b32_e32 v30, 24, v9
	v_or3_b32 v1, v4, v1, v3
	s_mov_b64 s[52:53], -1
	s_and_b64 vcc, exec, s[50:51]
                                        ; implicit-def: $vgpr8
	s_cbranch_vccz .LBB2_654
; %bb.647:                              ;   in Loop: Header=BB2_350 Depth=4
	v_mov_b32_e32 v8, 0
	s_and_saveexec_b64 s[52:53], s[46:47]
	s_cbranch_execz .LBB2_653
; %bb.648:                              ;   in Loop: Header=BB2_350 Depth=4
	v_cmp_ne_u32_e32 vcc, s59, v30
	v_bfrev_b32_e32 v8, 1
	s_and_saveexec_b64 s[54:55], vcc
	s_cbranch_execz .LBB2_652
; %bb.649:                              ;   in Loop: Header=BB2_350 Depth=4
	v_bfe_u32 v12, v9, 24, 7
	v_cmp_ne_u32_e32 vcc, s97, v12
	v_mov_b32_e32 v8, 0x7f800001
	s_and_saveexec_b64 s[64:65], vcc
	s_cbranch_execz .LBB2_651
; %bb.650:                              ;   in Loop: Header=BB2_350 Depth=4
	v_and_b32_e32 v3, 7, v30
	v_ffbh_u32_e32 v8, v3
	v_min_u32_e32 v8, 32, v8
	v_lshrrev_b32_e32 v4, 3, v12
	v_cmp_gt_u32_e32 vcc, 8, v12
	v_subrev_u32_e32 v12, 28, v8
	v_lshlrev_b64 v[12:13], v12, v[30:31]
	v_sub_u32_e32 v8, 29, v8
	v_and_b32_e32 v12, 7, v12
	v_cndmask_b32_e32 v4, v4, v8, vcc
	v_cndmask_b32_e32 v3, v3, v12, vcc
	v_lshlrev_b32_e32 v8, 24, v30
	v_lshlrev_b32_e32 v3, 20, v3
	v_and_b32_e32 v8, 0x80000000, v8
	v_lshl_add_u32 v4, v4, 23, v48
	v_or3_b32 v8, v8, v4, v3
.LBB2_651:                              ;   in Loop: Header=BB2_350 Depth=4
	s_or_b64 exec, exec, s[64:65]
.LBB2_652:                              ;   in Loop: Header=BB2_350 Depth=4
	s_or_b64 exec, exec, s[54:55]
.LBB2_653:                              ;   in Loop: Header=BB2_350 Depth=4
	s_or_b64 exec, exec, s[52:53]
	v_cndmask_b32_e64 v3, v1, v49, s[44:45]
	v_cndmask_b32_e64 v3, v3, v0, s[42:43]
	;; [unrolled: 1-line block ×3, first 2 shown]
	v_max_f32_e32 v3, v3, v3
	v_max_f32_e32 v4, v8, v8
	;; [unrolled: 1-line block ×3, first 2 shown]
	s_mov_b64 s[52:53], 0
.LBB2_654:                              ;   in Loop: Header=BB2_350 Depth=4
	s_and_b64 vcc, exec, s[52:53]
	s_cbranch_vccz .LBB2_662
; %bb.655:                              ;   in Loop: Header=BB2_350 Depth=4
	v_mov_b32_e32 v8, 0
	s_and_saveexec_b64 s[52:53], s[46:47]
	s_cbranch_execz .LBB2_661
; %bb.656:                              ;   in Loop: Header=BB2_350 Depth=4
	v_cmp_ne_u32_e32 vcc, s59, v30
	v_bfrev_b32_e32 v8, 1
	s_and_saveexec_b64 s[46:47], vcc
	s_cbranch_execz .LBB2_660
; %bb.657:                              ;   in Loop: Header=BB2_350 Depth=4
	v_bfe_u32 v9, v9, 24, 7
	v_cmp_ne_u32_e32 vcc, s97, v9
	v_mov_b32_e32 v8, 0x7f800001
	s_and_saveexec_b64 s[54:55], vcc
	s_cbranch_execz .LBB2_659
; %bb.658:                              ;   in Loop: Header=BB2_350 Depth=4
	v_and_b32_e32 v3, 7, v30
	v_ffbh_u32_e32 v8, v3
	v_min_u32_e32 v12, 32, v8
	v_subrev_u32_e32 v8, 28, v12
	v_lshrrev_b32_e32 v4, 3, v9
	v_cmp_gt_u32_e32 vcc, 8, v9
	v_lshlrev_b64 v[8:9], v8, v[30:31]
	v_sub_u32_e32 v9, 29, v12
	v_and_b32_e32 v8, 7, v8
	v_cndmask_b32_e32 v4, v4, v9, vcc
	v_cndmask_b32_e32 v3, v3, v8, vcc
	v_lshlrev_b32_e32 v8, 24, v30
	v_lshlrev_b32_e32 v3, 20, v3
	v_and_b32_e32 v8, 0x80000000, v8
	v_lshl_add_u32 v4, v4, 23, v48
	v_or3_b32 v8, v8, v4, v3
.LBB2_659:                              ;   in Loop: Header=BB2_350 Depth=4
	s_or_b64 exec, exec, s[54:55]
.LBB2_660:                              ;   in Loop: Header=BB2_350 Depth=4
	s_or_b64 exec, exec, s[46:47]
.LBB2_661:                              ;   in Loop: Header=BB2_350 Depth=4
	s_or_b64 exec, exec, s[52:53]
	v_cndmask_b32_e64 v1, v1, v49, s[44:45]
	v_cndmask_b32_e64 v1, v1, v0, s[42:43]
	;; [unrolled: 1-line block ×3, first 2 shown]
	v_max_f32_e32 v1, v1, v1
	v_max_f32_e32 v3, v8, v8
	v_min_f32_e32 v8, v3, v1
.LBB2_662:                              ;   in Loop: Header=BB2_350 Depth=4
	v_and_b32_e32 v34, 0x7f800000, v8
	v_cmp_ne_u64_e32 vcc, s[90:91], v[34:35]
                                        ; implicit-def: $vgpr30
	s_and_saveexec_b64 s[40:41], vcc
	s_xor_b64 s[42:43], exec, s[40:41]
	s_cbranch_execz .LBB2_676
; %bb.663:                              ;   in Loop: Header=BB2_350 Depth=4
	v_and_b32_e32 v34, 0x7fffffff, v8
	v_cmp_gt_u64_e32 vcc, s[92:93], v[34:35]
	v_and_b32_sdwa v1, v8, s59 dst_sel:DWORD dst_unused:UNUSED_PAD src0_sel:BYTE_3 src1_sel:DWORD
                                        ; implicit-def: $vgpr30
	s_and_saveexec_b64 s[40:41], vcc
	s_xor_b64 s[44:45], exec, s[40:41]
	s_cbranch_execz .LBB2_673
; %bb.664:                              ;   in Loop: Header=BB2_350 Depth=4
	v_mov_b32_e32 v30, 0
	v_cmp_ne_u32_e32 vcc, 0, v8
	s_and_saveexec_b64 s[46:47], vcc
	s_cbranch_execz .LBB2_672
; %bb.665:                              ;   in Loop: Header=BB2_350 Depth=4
	v_bfe_u32 v18, v8, 23, 8
	v_cmp_gt_u32_e64 s[40:41], s56, v18
	v_sub_u32_e32 v4, 0x79, v18
	v_and_b32_e32 v3, 0x7fffff, v8
	v_cmp_eq_u32_e32 vcc, 0, v18
	v_cndmask_b32_e64 v4, 0, v4, s[40:41]
	v_mov_b32_e32 v9, 0x78
	v_or_b32_e32 v8, 0x800000, v3
	v_cndmask_b32_e32 v19, v4, v9, vcc
	v_cndmask_b32_e32 v34, v8, v3, vcc
	v_add_u32_e32 v3, 20, v19
	v_lshlrev_b64 v[8:9], v3, -1
	v_add_u32_e32 v3, 19, v19
	v_lshlrev_b64 v[12:13], v3, 1
	v_bfi_b32 v9, v9, 0, 0
	v_bfi_b32 v8, v8, 0, v34
	v_cmp_eq_u64_e64 s[40:41], v[8:9], v[12:13]
	v_lshrrev_b64 v[8:9], v19, v[34:35]
	v_mov_b32_e32 v13, v9
	v_mov_b32_e32 v12, v8
	s_and_saveexec_b64 s[52:53], s[40:41]
; %bb.666:                              ;   in Loop: Header=BB2_350 Depth=4
	v_bfe_u32 v3, v8, 20, 1
	v_add_co_u32_e64 v3, s[40:41], v8, v3
	v_add_co_u32_e64 v12, s[40:41], -1, v3
; %bb.667:                              ;   in Loop: Header=BB2_350 Depth=4
	s_or_b64 exec, exec, s[52:53]
	v_add_u32_e32 v3, 0xffffff81, v18
	v_cndmask_b32_e32 v3, v3, v52, vcc
	v_lshrrev_b32_e32 v4, 23, v8
	v_add3_u32 v18, v19, v3, v4
	v_add_u32_e32 v13, 6, v18
	v_and_b32_e32 v3, 0xfffff, v12
	v_add_u32_e32 v34, v3, v8
	v_cmp_ne_u32_e32 vcc, 0, v13
                                        ; implicit-def: $vgpr8_vgpr9
                                        ; implicit-def: $vgpr12
	s_and_saveexec_b64 s[40:41], vcc
	s_xor_b64 s[40:41], exec, s[40:41]
; %bb.668:                              ;   in Loop: Header=BB2_350 Depth=4
	v_cmp_lt_u64_e32 vcc, s[94:95], v[34:35]
	v_add_u32_e32 v3, 7, v18
	v_cndmask_b32_e32 v12, v13, v3, vcc
	v_cndmask_b32_e64 v3, 0, 1, vcc
	v_lshrrev_b64 v[8:9], v3, v[34:35]
; %bb.669:                              ;   in Loop: Header=BB2_350 Depth=4
	s_andn2_saveexec_b64 s[40:41], s[40:41]
; %bb.670:                              ;   in Loop: Header=BB2_350 Depth=4
	v_mov_b32_e32 v8, v34
	v_bfe_u32 v12, v34, 23, 1
	v_mov_b32_e32 v9, v35
; %bb.671:                              ;   in Loop: Header=BB2_350 Depth=4
	s_or_b64 exec, exec, s[40:41]
	v_lshrrev_b64 v[8:9], 20, v[8:9]
	v_cmp_gt_i32_e32 vcc, 16, v12
	v_cndmask_b32_e32 v9, 0, v9, vcc
	v_cndmask_b32_e32 v8, 7, v8, vcc
	v_min_i32_e32 v3, 15, v12
	v_cmp_eq_u64_e64 s[40:41], 0, v[8:9]
	v_lshlrev_b32_e32 v3, 3, v3
	v_cmp_eq_u32_e32 vcc, 0, v12
	v_and_b32_e32 v3, 0xf8, v3
	v_and_or_b32 v3, v8, 7, v3
	s_and_b64 s[40:41], vcc, s[40:41]
	v_cndmask_b32_e64 v3, v3, 0, s[40:41]
	v_or_b32_e32 v30, v3, v1
.LBB2_672:                              ;   in Loop: Header=BB2_350 Depth=4
	s_or_b64 exec, exec, s[46:47]
                                        ; implicit-def: $vgpr1
.LBB2_673:                              ;   in Loop: Header=BB2_350 Depth=4
	s_andn2_saveexec_b64 s[40:41], s[44:45]
; %bb.674:                              ;   in Loop: Header=BB2_350 Depth=4
	v_or_b32_e32 v30, 0x7e, v1
; %bb.675:                              ;   in Loop: Header=BB2_350 Depth=4
	s_or_b64 exec, exec, s[40:41]
                                        ; implicit-def: $vgpr8
.LBB2_676:                              ;   in Loop: Header=BB2_350 Depth=4
	s_andn2_saveexec_b64 s[40:41], s[42:43]
; %bb.677:                              ;   in Loop: Header=BB2_350 Depth=4
	v_or_b32_sdwa v30, v8, s97 dst_sel:DWORD dst_unused:UNUSED_PAD src0_sel:BYTE_3 src1_sel:DWORD
; %bb.678:                              ;   in Loop: Header=BB2_350 Depth=4
	s_or_b64 exec, exec, s[40:41]
	v_and_b32_e32 v1, 7, v14
	v_ffbh_u32_e32 v1, v1
	v_and_b32_e32 v3, 0x7f, v14
	v_min_u32_e32 v1, 32, v1
	v_cmp_eq_u32_e64 s[40:41], s97, v3
	v_cmp_gt_u32_e32 vcc, 8, v3
	v_subrev_u32_e32 v3, 28, v1
	v_cndmask_b32_e32 v3, 0, v3, vcc
	v_lshlrev_b64 v[8:9], v3, v[14:15]
	v_bfe_u32 v4, v14, 3, 4
	v_sub_u32_e32 v1, 29, v1
	v_cndmask_b32_e32 v1, v4, v1, vcc
	v_lshlrev_b32_e32 v3, 20, v8
	v_lshlrev_b32_e32 v4, 24, v14
	v_and_b32_e32 v3, 0x700000, v3
	v_and_b32_e32 v4, 0x80000000, v4
	v_lshl_add_u32 v1, v1, 23, v48
	v_or3_b32 v1, v4, v1, v3
	v_cmp_ne_u16_sdwa s[42:43], v10, v35 src0_sel:BYTE_0 src1_sel:DWORD
	s_mov_b64 s[44:45], -1
	s_and_b64 vcc, exec, s[50:51]
                                        ; implicit-def: $vgpr8
	s_cbranch_vccz .LBB2_692
; %bb.679:                              ;   in Loop: Header=BB2_350 Depth=4
	v_mov_b32_e32 v8, 0
	s_and_saveexec_b64 s[44:45], s[42:43]
	s_cbranch_execz .LBB2_685
; %bb.680:                              ;   in Loop: Header=BB2_350 Depth=4
	v_cmp_ne_u16_sdwa vcc, v10, s59 src0_sel:BYTE_0 src1_sel:DWORD
	v_bfrev_b32_e32 v8, 1
	s_and_saveexec_b64 s[46:47], vcc
	s_cbranch_execz .LBB2_684
; %bb.681:                              ;   in Loop: Header=BB2_350 Depth=4
	v_and_b32_e32 v9, 0x7f, v10
	v_cmp_ne_u32_e32 vcc, s97, v9
	v_mov_b32_e32 v8, 0x7f800001
	s_and_saveexec_b64 s[52:53], vcc
	s_cbranch_execz .LBB2_683
; %bb.682:                              ;   in Loop: Header=BB2_350 Depth=4
	v_and_b32_e32 v3, 7, v10
	v_ffbh_u32_e32 v3, v3
	v_min_u32_e32 v3, 32, v3
	v_lshrrev_b32_e32 v4, 3, v9
	v_cmp_gt_u32_e32 vcc, 8, v9
	v_subrev_u32_e32 v8, 28, v3
	v_sub_u32_e32 v3, 29, v3
	v_cndmask_b32_e32 v3, v4, v3, vcc
	v_cndmask_b32_e32 v4, 0, v8, vcc
	v_lshlrev_b64 v[8:9], v4, v[10:11]
	v_lshl_add_u32 v3, v3, 23, v48
	v_lshlrev_b32_e32 v4, 20, v8
	v_lshlrev_b32_e32 v8, 24, v10
	v_and_b32_e32 v4, 0x700000, v4
	v_and_b32_e32 v8, 0x80000000, v8
	v_or3_b32 v8, v8, v3, v4
.LBB2_683:                              ;   in Loop: Header=BB2_350 Depth=4
	s_or_b64 exec, exec, s[52:53]
.LBB2_684:                              ;   in Loop: Header=BB2_350 Depth=4
	s_or_b64 exec, exec, s[46:47]
.LBB2_685:                              ;   in Loop: Header=BB2_350 Depth=4
	s_or_b64 exec, exec, s[44:45]
	v_cmp_gt_i16_sdwa s[46:47], v14, s97 src0_sel:BYTE_0 src1_sel:DWORD
	s_mov_b64 s[44:45], 0
	s_and_saveexec_b64 vcc, s[46:47]
	s_xor_b64 s[46:47], exec, vcc
	s_cbranch_execz .LBB2_1030
; %bb.686:                              ;   in Loop: Header=BB2_350 Depth=4
	v_cmp_eq_u16_sdwa s[52:53], v14, s59 src0_sel:BYTE_0 src1_sel:DWORD
	s_mov_b64 s[44:45], -1
	s_and_saveexec_b64 vcc, s[52:53]
; %bb.687:                              ;   in Loop: Header=BB2_350 Depth=4
	s_xor_b64 s[44:45], exec, -1
; %bb.688:                              ;   in Loop: Header=BB2_350 Depth=4
	s_or_b64 exec, exec, vcc
	s_and_b64 s[44:45], s[44:45], exec
	s_or_saveexec_b64 s[46:47], s[46:47]
	v_bfrev_b32_e32 v9, 1
	s_xor_b64 exec, exec, s[46:47]
	s_cbranch_execnz .LBB2_1031
.LBB2_689:                              ;   in Loop: Header=BB2_350 Depth=4
	s_or_b64 exec, exec, s[46:47]
	s_and_saveexec_b64 s[46:47], s[44:45]
.LBB2_690:                              ;   in Loop: Header=BB2_350 Depth=4
	v_cndmask_b32_e64 v9, v1, v49, s[40:41]
.LBB2_691:                              ;   in Loop: Header=BB2_350 Depth=4
	s_or_b64 exec, exec, s[46:47]
	v_max_f32_e32 v3, v9, v9
	v_max_f32_e32 v4, v8, v8
	;; [unrolled: 1-line block ×3, first 2 shown]
	s_mov_b64 s[44:45], 0
.LBB2_692:                              ;   in Loop: Header=BB2_350 Depth=4
	s_and_b64 vcc, exec, s[44:45]
	s_cbranch_vccz .LBB2_706
; %bb.693:                              ;   in Loop: Header=BB2_350 Depth=4
	v_mov_b32_e32 v8, 0
	s_and_saveexec_b64 s[44:45], s[42:43]
	s_cbranch_execz .LBB2_699
; %bb.694:                              ;   in Loop: Header=BB2_350 Depth=4
	v_cmp_ne_u16_sdwa s[46:47], v10, s59 src0_sel:BYTE_0 src1_sel:DWORD
	v_bfrev_b32_e32 v8, 1
	s_and_saveexec_b64 s[42:43], s[46:47]
	s_cbranch_execz .LBB2_698
; %bb.695:                              ;   in Loop: Header=BB2_350 Depth=4
	v_and_b32_e32 v9, 0x7f, v10
	v_cmp_ne_u32_e32 vcc, s97, v9
	v_mov_b32_e32 v8, 0x7f800001
	s_and_saveexec_b64 s[46:47], vcc
	s_cbranch_execz .LBB2_697
; %bb.696:                              ;   in Loop: Header=BB2_350 Depth=4
	v_and_b32_e32 v3, 7, v10
	v_ffbh_u32_e32 v3, v3
	v_min_u32_e32 v3, 32, v3
	v_lshrrev_b32_e32 v4, 3, v9
	v_cmp_gt_u32_e32 vcc, 8, v9
	v_subrev_u32_e32 v8, 28, v3
	v_sub_u32_e32 v3, 29, v3
	v_cndmask_b32_e32 v3, v4, v3, vcc
	v_cndmask_b32_e32 v4, 0, v8, vcc
	v_lshlrev_b64 v[8:9], v4, v[10:11]
	v_lshl_add_u32 v3, v3, 23, v48
	v_lshlrev_b32_e32 v4, 20, v8
	v_lshlrev_b32_e32 v8, 24, v10
	v_and_b32_e32 v4, 0x700000, v4
	v_and_b32_e32 v8, 0x80000000, v8
	v_or3_b32 v8, v8, v3, v4
.LBB2_697:                              ;   in Loop: Header=BB2_350 Depth=4
	s_or_b64 exec, exec, s[46:47]
.LBB2_698:                              ;   in Loop: Header=BB2_350 Depth=4
	s_or_b64 exec, exec, s[42:43]
.LBB2_699:                              ;   in Loop: Header=BB2_350 Depth=4
	s_or_b64 exec, exec, s[44:45]
	v_cmp_gt_i16_sdwa s[44:45], v14, s97 src0_sel:BYTE_0 src1_sel:DWORD
	s_mov_b64 s[42:43], 0
	s_and_saveexec_b64 s[46:47], s[44:45]
	s_xor_b64 s[44:45], exec, s[46:47]
	s_cbranch_execz .LBB2_1032
; %bb.700:                              ;   in Loop: Header=BB2_350 Depth=4
	v_cmp_eq_u16_sdwa vcc, v14, s59 src0_sel:BYTE_0 src1_sel:DWORD
	s_mov_b64 s[42:43], -1
	s_and_saveexec_b64 s[46:47], vcc
; %bb.701:                              ;   in Loop: Header=BB2_350 Depth=4
	s_xor_b64 s[42:43], exec, -1
; %bb.702:                              ;   in Loop: Header=BB2_350 Depth=4
	s_or_b64 exec, exec, s[46:47]
	s_and_b64 s[42:43], s[42:43], exec
	s_or_saveexec_b64 s[44:45], s[44:45]
	v_bfrev_b32_e32 v9, 1
	s_xor_b64 exec, exec, s[44:45]
	s_cbranch_execnz .LBB2_1033
.LBB2_703:                              ;   in Loop: Header=BB2_350 Depth=4
	s_or_b64 exec, exec, s[44:45]
	s_and_saveexec_b64 s[44:45], s[42:43]
.LBB2_704:                              ;   in Loop: Header=BB2_350 Depth=4
	v_cndmask_b32_e64 v9, v1, v49, s[40:41]
.LBB2_705:                              ;   in Loop: Header=BB2_350 Depth=4
	s_or_b64 exec, exec, s[44:45]
	v_max_f32_e32 v1, v9, v9
	v_max_f32_e32 v3, v8, v8
	v_min_f32_e32 v8, v3, v1
.LBB2_706:                              ;   in Loop: Header=BB2_350 Depth=4
	v_and_b32_e32 v34, 0x7f800000, v8
	v_cmp_ne_u64_e32 vcc, s[90:91], v[34:35]
                                        ; implicit-def: $vgpr59
	s_and_saveexec_b64 s[40:41], vcc
	s_xor_b64 s[42:43], exec, s[40:41]
	s_cbranch_execz .LBB2_720
; %bb.707:                              ;   in Loop: Header=BB2_350 Depth=4
	v_and_b32_e32 v34, 0x7fffffff, v8
	v_cmp_gt_u64_e32 vcc, s[92:93], v[34:35]
	v_and_b32_sdwa v1, v8, s59 dst_sel:DWORD dst_unused:UNUSED_PAD src0_sel:BYTE_3 src1_sel:DWORD
                                        ; implicit-def: $vgpr59
	s_and_saveexec_b64 s[40:41], vcc
	s_xor_b64 s[44:45], exec, s[40:41]
	s_cbranch_execz .LBB2_717
; %bb.708:                              ;   in Loop: Header=BB2_350 Depth=4
	v_mov_b32_e32 v59, 0
	v_cmp_ne_u32_e32 vcc, 0, v8
	s_and_saveexec_b64 s[46:47], vcc
	s_cbranch_execz .LBB2_716
; %bb.709:                              ;   in Loop: Header=BB2_350 Depth=4
	v_bfe_u32 v18, v8, 23, 8
	v_cmp_gt_u32_e64 s[40:41], s56, v18
	v_sub_u32_e32 v4, 0x79, v18
	v_and_b32_e32 v3, 0x7fffff, v8
	v_cmp_eq_u32_e32 vcc, 0, v18
	v_cndmask_b32_e64 v4, 0, v4, s[40:41]
	v_mov_b32_e32 v9, 0x78
	v_or_b32_e32 v8, 0x800000, v3
	v_cndmask_b32_e32 v19, v4, v9, vcc
	v_cndmask_b32_e32 v34, v8, v3, vcc
	v_add_u32_e32 v3, 20, v19
	v_lshlrev_b64 v[8:9], v3, -1
	v_add_u32_e32 v3, 19, v19
	v_lshlrev_b64 v[12:13], v3, 1
	v_bfi_b32 v9, v9, 0, 0
	v_bfi_b32 v8, v8, 0, v34
	v_cmp_eq_u64_e64 s[40:41], v[8:9], v[12:13]
	v_lshrrev_b64 v[8:9], v19, v[34:35]
	v_mov_b32_e32 v13, v9
	v_mov_b32_e32 v12, v8
	s_and_saveexec_b64 s[52:53], s[40:41]
; %bb.710:                              ;   in Loop: Header=BB2_350 Depth=4
	v_bfe_u32 v3, v8, 20, 1
	v_add_co_u32_e64 v3, s[40:41], v8, v3
	v_add_co_u32_e64 v12, s[40:41], -1, v3
; %bb.711:                              ;   in Loop: Header=BB2_350 Depth=4
	s_or_b64 exec, exec, s[52:53]
	v_add_u32_e32 v3, 0xffffff81, v18
	v_cndmask_b32_e32 v3, v3, v52, vcc
	v_lshrrev_b32_e32 v4, 23, v8
	v_add3_u32 v18, v19, v3, v4
	v_add_u32_e32 v13, 6, v18
	v_and_b32_e32 v3, 0xfffff, v12
	v_add_u32_e32 v34, v3, v8
	v_cmp_ne_u32_e32 vcc, 0, v13
                                        ; implicit-def: $vgpr8_vgpr9
                                        ; implicit-def: $vgpr12
	s_and_saveexec_b64 s[40:41], vcc
	s_xor_b64 s[40:41], exec, s[40:41]
; %bb.712:                              ;   in Loop: Header=BB2_350 Depth=4
	v_cmp_lt_u64_e32 vcc, s[94:95], v[34:35]
	v_add_u32_e32 v3, 7, v18
	v_cndmask_b32_e32 v12, v13, v3, vcc
	v_cndmask_b32_e64 v3, 0, 1, vcc
	v_lshrrev_b64 v[8:9], v3, v[34:35]
; %bb.713:                              ;   in Loop: Header=BB2_350 Depth=4
	s_andn2_saveexec_b64 s[40:41], s[40:41]
; %bb.714:                              ;   in Loop: Header=BB2_350 Depth=4
	v_mov_b32_e32 v8, v34
	v_bfe_u32 v12, v34, 23, 1
	v_mov_b32_e32 v9, v35
; %bb.715:                              ;   in Loop: Header=BB2_350 Depth=4
	s_or_b64 exec, exec, s[40:41]
	v_lshrrev_b64 v[8:9], 20, v[8:9]
	v_cmp_gt_i32_e32 vcc, 16, v12
	v_cndmask_b32_e32 v9, 0, v9, vcc
	v_cndmask_b32_e32 v8, 7, v8, vcc
	v_min_i32_e32 v3, 15, v12
	v_cmp_eq_u64_e64 s[40:41], 0, v[8:9]
	v_lshlrev_b32_e32 v3, 3, v3
	v_cmp_eq_u32_e32 vcc, 0, v12
	v_and_b32_e32 v3, 0xf8, v3
	v_and_or_b32 v3, v8, 7, v3
	s_and_b64 s[40:41], vcc, s[40:41]
	v_cndmask_b32_e64 v3, v3, 0, s[40:41]
	v_or_b32_e32 v59, v3, v1
.LBB2_716:                              ;   in Loop: Header=BB2_350 Depth=4
	s_or_b64 exec, exec, s[46:47]
                                        ; implicit-def: $vgpr1
.LBB2_717:                              ;   in Loop: Header=BB2_350 Depth=4
	s_andn2_saveexec_b64 s[40:41], s[44:45]
; %bb.718:                              ;   in Loop: Header=BB2_350 Depth=4
	v_or_b32_e32 v59, 0x7e, v1
; %bb.719:                              ;   in Loop: Header=BB2_350 Depth=4
	s_or_b64 exec, exec, s[40:41]
                                        ; implicit-def: $vgpr8
.LBB2_720:                              ;   in Loop: Header=BB2_350 Depth=4
	s_andn2_saveexec_b64 s[40:41], s[42:43]
; %bb.721:                              ;   in Loop: Header=BB2_350 Depth=4
	v_or_b32_sdwa v59, v8, s97 dst_sel:DWORD dst_unused:UNUSED_PAD src0_sel:BYTE_3 src1_sel:DWORD
; %bb.722:                              ;   in Loop: Header=BB2_350 Depth=4
	s_or_b64 exec, exec, s[40:41]
	v_lshrrev_b16_e32 v34, 8, v14
	v_and_b32_e32 v1, 7, v34
	v_and_b32_e32 v3, 0x7f, v34
	v_cmp_eq_u32_e64 s[40:41], s97, v3
	v_cmp_gt_u32_e32 vcc, 8, v3
	v_ffbh_u32_e32 v3, v1
	v_min_u32_e32 v3, 32, v3
	v_subrev_u32_e32 v9, 28, v3
	v_lshlrev_b64 v[12:13], v9, v[34:35]
	v_bfe_u32 v4, v34, 3, 4
	v_sub_u32_e32 v3, 29, v3
	v_and_b32_e32 v9, 7, v12
	v_cndmask_b32_e32 v3, v4, v3, vcc
	v_cndmask_b32_e32 v1, v1, v9, vcc
	v_lshlrev_b32_e32 v4, 24, v34
	v_lshrrev_b16_e32 v8, 8, v10
	v_lshlrev_b32_e32 v1, 20, v1
	v_and_b32_e32 v4, 0x80000000, v4
	v_lshl_add_u32 v3, v3, 23, v48
	v_or3_b32 v1, v4, v3, v1
	v_cmp_ne_u16_e64 s[42:43], 0, v8
	s_mov_b64 s[44:45], -1
	s_and_b64 vcc, exec, s[50:51]
                                        ; implicit-def: $vgpr9
	s_cbranch_vccz .LBB2_736
; %bb.723:                              ;   in Loop: Header=BB2_350 Depth=4
	v_mov_b32_e32 v9, 0
	s_and_saveexec_b64 s[44:45], s[42:43]
	s_cbranch_execz .LBB2_729
; %bb.724:                              ;   in Loop: Header=BB2_350 Depth=4
	v_cmp_ne_u16_e32 vcc, s59, v8
	v_bfrev_b32_e32 v9, 1
	s_and_saveexec_b64 s[46:47], vcc
	s_cbranch_execz .LBB2_728
; %bb.725:                              ;   in Loop: Header=BB2_350 Depth=4
	v_and_b32_e32 v12, 0x7f, v8
	v_cmp_ne_u32_e32 vcc, s97, v12
	v_mov_b32_e32 v9, 0x7f800001
	s_and_saveexec_b64 s[52:53], vcc
	s_cbranch_execz .LBB2_727
; %bb.726:                              ;   in Loop: Header=BB2_350 Depth=4
	v_and_b32_e32 v3, 7, v8
	v_ffbh_u32_e32 v9, v3
	v_min_u32_e32 v9, 32, v9
	v_lshrrev_b32_e32 v4, 3, v12
	v_cmp_gt_u32_e32 vcc, 8, v12
	v_subrev_u32_e32 v12, 28, v9
	v_lshlrev_b64 v[12:13], v12, v[8:9]
	v_sub_u32_e32 v9, 29, v9
	v_and_b32_e32 v12, 7, v12
	v_cndmask_b32_e32 v4, v4, v9, vcc
	v_cndmask_b32_e32 v3, v3, v12, vcc
	v_lshlrev_b32_e32 v9, 16, v10
	v_lshlrev_b32_e32 v3, 20, v3
	v_and_b32_e32 v9, 0x80000000, v9
	v_lshl_add_u32 v4, v4, 23, v48
	v_or3_b32 v9, v9, v4, v3
.LBB2_727:                              ;   in Loop: Header=BB2_350 Depth=4
	s_or_b64 exec, exec, s[52:53]
.LBB2_728:                              ;   in Loop: Header=BB2_350 Depth=4
	s_or_b64 exec, exec, s[46:47]
.LBB2_729:                              ;   in Loop: Header=BB2_350 Depth=4
	s_or_b64 exec, exec, s[44:45]
	v_cmp_lt_i16_e32 vcc, s97, v34
	s_mov_b64 s[44:45], 0
	s_and_saveexec_b64 s[46:47], vcc
	s_xor_b64 s[46:47], exec, s[46:47]
	s_cbranch_execz .LBB2_1034
; %bb.730:                              ;   in Loop: Header=BB2_350 Depth=4
	v_cmp_eq_u16_e32 vcc, s59, v34
	s_mov_b64 s[44:45], -1
	s_and_saveexec_b64 s[52:53], vcc
; %bb.731:                              ;   in Loop: Header=BB2_350 Depth=4
	s_xor_b64 s[44:45], exec, -1
; %bb.732:                              ;   in Loop: Header=BB2_350 Depth=4
	s_or_b64 exec, exec, s[52:53]
	s_and_b64 s[44:45], s[44:45], exec
	s_or_saveexec_b64 s[46:47], s[46:47]
	v_bfrev_b32_e32 v12, 1
	s_xor_b64 exec, exec, s[46:47]
	s_cbranch_execnz .LBB2_1035
.LBB2_733:                              ;   in Loop: Header=BB2_350 Depth=4
	s_or_b64 exec, exec, s[46:47]
	s_and_saveexec_b64 s[46:47], s[44:45]
.LBB2_734:                              ;   in Loop: Header=BB2_350 Depth=4
	v_cndmask_b32_e64 v12, v1, v49, s[40:41]
.LBB2_735:                              ;   in Loop: Header=BB2_350 Depth=4
	s_or_b64 exec, exec, s[46:47]
	v_max_f32_e32 v3, v12, v12
	v_max_f32_e32 v4, v9, v9
	;; [unrolled: 1-line block ×3, first 2 shown]
	s_mov_b64 s[44:45], 0
.LBB2_736:                              ;   in Loop: Header=BB2_350 Depth=4
	s_and_b64 vcc, exec, s[44:45]
	s_cbranch_vccz .LBB2_750
; %bb.737:                              ;   in Loop: Header=BB2_350 Depth=4
	v_mov_b32_e32 v9, 0
	s_and_saveexec_b64 s[44:45], s[42:43]
	s_cbranch_execz .LBB2_743
; %bb.738:                              ;   in Loop: Header=BB2_350 Depth=4
	v_cmp_ne_u16_e32 vcc, s59, v8
	v_bfrev_b32_e32 v9, 1
	s_and_saveexec_b64 s[42:43], vcc
	s_cbranch_execz .LBB2_742
; %bb.739:                              ;   in Loop: Header=BB2_350 Depth=4
	v_and_b32_e32 v12, 0x7f, v8
	v_cmp_ne_u32_e32 vcc, s97, v12
	v_mov_b32_e32 v9, 0x7f800001
	s_and_saveexec_b64 s[46:47], vcc
	s_cbranch_execz .LBB2_741
; %bb.740:                              ;   in Loop: Header=BB2_350 Depth=4
	v_and_b32_e32 v3, 7, v8
	v_ffbh_u32_e32 v9, v3
	v_lshrrev_b32_e32 v4, 3, v12
	v_cmp_gt_u32_e32 vcc, 8, v12
	v_min_u32_e32 v12, 32, v9
	v_subrev_u32_e32 v9, 28, v12
	v_lshlrev_b64 v[8:9], v9, v[8:9]
	v_sub_u32_e32 v9, 29, v12
	v_and_b32_e32 v8, 7, v8
	v_cndmask_b32_e32 v4, v4, v9, vcc
	v_cndmask_b32_e32 v3, v3, v8, vcc
	v_lshlrev_b32_e32 v8, 16, v10
	v_lshlrev_b32_e32 v3, 20, v3
	v_and_b32_e32 v8, 0x80000000, v8
	v_lshl_add_u32 v4, v4, 23, v48
	v_or3_b32 v9, v8, v4, v3
.LBB2_741:                              ;   in Loop: Header=BB2_350 Depth=4
	s_or_b64 exec, exec, s[46:47]
.LBB2_742:                              ;   in Loop: Header=BB2_350 Depth=4
	s_or_b64 exec, exec, s[42:43]
.LBB2_743:                              ;   in Loop: Header=BB2_350 Depth=4
	s_or_b64 exec, exec, s[44:45]
	v_cmp_lt_i16_e32 vcc, s97, v34
	s_mov_b64 s[42:43], 0
	s_and_saveexec_b64 s[44:45], vcc
	s_xor_b64 s[44:45], exec, s[44:45]
	s_cbranch_execz .LBB2_1036
; %bb.744:                              ;   in Loop: Header=BB2_350 Depth=4
	v_cmp_eq_u16_e32 vcc, s59, v34
	s_mov_b64 s[42:43], -1
	s_and_saveexec_b64 s[46:47], vcc
; %bb.745:                              ;   in Loop: Header=BB2_350 Depth=4
	s_xor_b64 s[42:43], exec, -1
; %bb.746:                              ;   in Loop: Header=BB2_350 Depth=4
	s_or_b64 exec, exec, s[46:47]
	s_and_b64 s[42:43], s[42:43], exec
	s_or_saveexec_b64 s[44:45], s[44:45]
	v_bfrev_b32_e32 v8, 1
	s_xor_b64 exec, exec, s[44:45]
	s_cbranch_execnz .LBB2_1037
.LBB2_747:                              ;   in Loop: Header=BB2_350 Depth=4
	s_or_b64 exec, exec, s[44:45]
	s_and_saveexec_b64 s[44:45], s[42:43]
.LBB2_748:                              ;   in Loop: Header=BB2_350 Depth=4
	v_cndmask_b32_e64 v8, v1, v49, s[40:41]
.LBB2_749:                              ;   in Loop: Header=BB2_350 Depth=4
	s_or_b64 exec, exec, s[44:45]
	v_max_f32_e32 v1, v8, v8
	v_max_f32_e32 v3, v9, v9
	v_min_f32_e32 v9, v3, v1
.LBB2_750:                              ;   in Loop: Header=BB2_350 Depth=4
	v_and_b32_e32 v34, 0x7f800000, v9
	v_cmp_ne_u64_e32 vcc, s[90:91], v[34:35]
                                        ; implicit-def: $vgpr60
	s_and_saveexec_b64 s[40:41], vcc
	s_xor_b64 s[42:43], exec, s[40:41]
	s_cbranch_execz .LBB2_764
; %bb.751:                              ;   in Loop: Header=BB2_350 Depth=4
	v_and_b32_e32 v34, 0x7fffffff, v9
	v_cmp_gt_u64_e32 vcc, s[92:93], v[34:35]
	v_and_b32_sdwa v1, v9, s59 dst_sel:DWORD dst_unused:UNUSED_PAD src0_sel:BYTE_3 src1_sel:DWORD
                                        ; implicit-def: $vgpr60
	s_and_saveexec_b64 s[40:41], vcc
	s_xor_b64 s[44:45], exec, s[40:41]
	s_cbranch_execz .LBB2_761
; %bb.752:                              ;   in Loop: Header=BB2_350 Depth=4
	v_mov_b32_e32 v60, 0
	v_cmp_ne_u32_e32 vcc, 0, v9
	s_and_saveexec_b64 s[46:47], vcc
	s_cbranch_execz .LBB2_760
; %bb.753:                              ;   in Loop: Header=BB2_350 Depth=4
	v_bfe_u32 v18, v9, 23, 8
	v_cmp_gt_u32_e64 s[40:41], s56, v18
	v_sub_u32_e32 v4, 0x79, v18
	v_and_b32_e32 v3, 0x7fffff, v9
	v_cmp_eq_u32_e32 vcc, 0, v18
	v_cndmask_b32_e64 v4, 0, v4, s[40:41]
	v_mov_b32_e32 v9, 0x78
	v_or_b32_e32 v8, 0x800000, v3
	v_cndmask_b32_e32 v19, v4, v9, vcc
	v_cndmask_b32_e32 v34, v8, v3, vcc
	v_add_u32_e32 v3, 20, v19
	v_lshlrev_b64 v[8:9], v3, -1
	v_add_u32_e32 v3, 19, v19
	v_lshlrev_b64 v[12:13], v3, 1
	v_bfi_b32 v9, v9, 0, 0
	v_bfi_b32 v8, v8, 0, v34
	v_cmp_eq_u64_e64 s[40:41], v[8:9], v[12:13]
	v_lshrrev_b64 v[8:9], v19, v[34:35]
	v_mov_b32_e32 v13, v9
	v_mov_b32_e32 v12, v8
	s_and_saveexec_b64 s[52:53], s[40:41]
; %bb.754:                              ;   in Loop: Header=BB2_350 Depth=4
	v_bfe_u32 v3, v8, 20, 1
	v_add_co_u32_e64 v3, s[40:41], v8, v3
	v_add_co_u32_e64 v12, s[40:41], -1, v3
; %bb.755:                              ;   in Loop: Header=BB2_350 Depth=4
	s_or_b64 exec, exec, s[52:53]
	v_add_u32_e32 v3, 0xffffff81, v18
	v_cndmask_b32_e32 v3, v3, v52, vcc
	v_lshrrev_b32_e32 v4, 23, v8
	v_add3_u32 v18, v19, v3, v4
	v_add_u32_e32 v13, 6, v18
	v_and_b32_e32 v3, 0xfffff, v12
	v_add_u32_e32 v34, v3, v8
	v_cmp_ne_u32_e32 vcc, 0, v13
                                        ; implicit-def: $vgpr8_vgpr9
                                        ; implicit-def: $vgpr12
	s_and_saveexec_b64 s[40:41], vcc
	s_xor_b64 s[40:41], exec, s[40:41]
; %bb.756:                              ;   in Loop: Header=BB2_350 Depth=4
	v_cmp_lt_u64_e32 vcc, s[94:95], v[34:35]
	v_add_u32_e32 v3, 7, v18
	v_cndmask_b32_e32 v12, v13, v3, vcc
	v_cndmask_b32_e64 v3, 0, 1, vcc
	v_lshrrev_b64 v[8:9], v3, v[34:35]
; %bb.757:                              ;   in Loop: Header=BB2_350 Depth=4
	s_andn2_saveexec_b64 s[40:41], s[40:41]
; %bb.758:                              ;   in Loop: Header=BB2_350 Depth=4
	v_mov_b32_e32 v8, v34
	v_bfe_u32 v12, v34, 23, 1
	v_mov_b32_e32 v9, v35
; %bb.759:                              ;   in Loop: Header=BB2_350 Depth=4
	s_or_b64 exec, exec, s[40:41]
	v_lshrrev_b64 v[8:9], 20, v[8:9]
	v_cmp_gt_i32_e32 vcc, 16, v12
	v_cndmask_b32_e32 v9, 0, v9, vcc
	v_cndmask_b32_e32 v8, 7, v8, vcc
	v_min_i32_e32 v3, 15, v12
	v_cmp_eq_u64_e64 s[40:41], 0, v[8:9]
	v_lshlrev_b32_e32 v3, 3, v3
	v_cmp_eq_u32_e32 vcc, 0, v12
	v_and_b32_e32 v3, 0xf8, v3
	v_and_or_b32 v3, v8, 7, v3
	s_and_b64 s[40:41], vcc, s[40:41]
	v_cndmask_b32_e64 v3, v3, 0, s[40:41]
	v_or_b32_e32 v60, v3, v1
.LBB2_760:                              ;   in Loop: Header=BB2_350 Depth=4
	s_or_b64 exec, exec, s[46:47]
                                        ; implicit-def: $vgpr1
.LBB2_761:                              ;   in Loop: Header=BB2_350 Depth=4
	s_andn2_saveexec_b64 s[40:41], s[44:45]
; %bb.762:                              ;   in Loop: Header=BB2_350 Depth=4
	v_or_b32_e32 v60, 0x7e, v1
; %bb.763:                              ;   in Loop: Header=BB2_350 Depth=4
	s_or_b64 exec, exec, s[40:41]
                                        ; implicit-def: $vgpr9
.LBB2_764:                              ;   in Loop: Header=BB2_350 Depth=4
	s_andn2_saveexec_b64 s[40:41], s[42:43]
; %bb.765:                              ;   in Loop: Header=BB2_350 Depth=4
	v_or_b32_sdwa v60, v9, s97 dst_sel:DWORD dst_unused:UNUSED_PAD src0_sel:BYTE_3 src1_sel:DWORD
; %bb.766:                              ;   in Loop: Header=BB2_350 Depth=4
	s_or_b64 exec, exec, s[40:41]
	v_bfe_u32 v1, v14, 16, 3
	v_bfe_u32 v3, v14, 16, 7
	v_cmp_eq_u32_e64 s[40:41], s97, v3
	v_cmp_gt_u32_e32 vcc, 8, v3
	v_ffbh_u32_e32 v3, v1
	v_min_u32_e32 v3, 32, v3
	v_lshrrev_b32_e32 v8, 16, v14
	v_subrev_u32_e32 v9, 28, v3
	v_lshlrev_b64 v[12:13], v9, v[8:9]
	v_bfe_u32 v4, v8, 3, 4
	v_sub_u32_e32 v3, 29, v3
	v_and_b32_e32 v9, 7, v12
	v_cndmask_b32_e32 v3, v4, v3, vcc
	v_cndmask_b32_e32 v1, v1, v9, vcc
	v_lshlrev_b32_e32 v4, 8, v14
	v_lshlrev_b32_e32 v1, 20, v1
	v_and_b32_e32 v4, 0x80000000, v4
	v_lshl_add_u32 v3, v3, 23, v48
	v_lshrrev_b32_e32 v9, 16, v10
	v_or3_b32 v1, v4, v3, v1
	v_cmp_ne_u16_sdwa s[42:43], v9, v35 src0_sel:BYTE_0 src1_sel:DWORD
	s_mov_b64 s[44:45], -1
	s_and_b64 vcc, exec, s[50:51]
                                        ; implicit-def: $vgpr12
	s_cbranch_vccz .LBB2_780
; %bb.767:                              ;   in Loop: Header=BB2_350 Depth=4
	v_mov_b32_e32 v12, 0
	s_and_saveexec_b64 s[44:45], s[42:43]
	s_cbranch_execz .LBB2_773
; %bb.768:                              ;   in Loop: Header=BB2_350 Depth=4
	v_cmp_ne_u16_sdwa vcc, v9, s59 src0_sel:BYTE_0 src1_sel:DWORD
	v_bfrev_b32_e32 v12, 1
	s_and_saveexec_b64 s[46:47], vcc
	s_cbranch_execz .LBB2_772
; %bb.769:                              ;   in Loop: Header=BB2_350 Depth=4
	v_bfe_u32 v13, v10, 16, 7
	v_cmp_ne_u32_e32 vcc, s97, v13
	v_mov_b32_e32 v12, 0x7f800001
	s_and_saveexec_b64 s[52:53], vcc
	s_cbranch_execz .LBB2_771
; %bb.770:                              ;   in Loop: Header=BB2_350 Depth=4
	v_and_b32_e32 v3, 7, v9
	v_ffbh_u32_e32 v12, v3
	v_min_u32_e32 v18, 32, v12
	v_subrev_u32_e32 v12, 28, v18
	v_lshrrev_b32_e32 v4, 3, v13
	v_cmp_gt_u32_e32 vcc, 8, v13
	v_lshlrev_b64 v[12:13], v12, v[9:10]
	v_sub_u32_e32 v13, 29, v18
	v_and_b32_e32 v12, 7, v12
	v_cndmask_b32_e32 v4, v4, v13, vcc
	v_cndmask_b32_e32 v3, v3, v12, vcc
	v_lshlrev_b32_e32 v12, 24, v9
	v_lshlrev_b32_e32 v3, 20, v3
	v_and_b32_e32 v12, 0x80000000, v12
	v_lshl_add_u32 v4, v4, 23, v48
	v_or3_b32 v12, v12, v4, v3
.LBB2_771:                              ;   in Loop: Header=BB2_350 Depth=4
	s_or_b64 exec, exec, s[52:53]
.LBB2_772:                              ;   in Loop: Header=BB2_350 Depth=4
	s_or_b64 exec, exec, s[46:47]
.LBB2_773:                              ;   in Loop: Header=BB2_350 Depth=4
	s_or_b64 exec, exec, s[44:45]
	v_cmp_gt_i16_sdwa s[46:47], v8, s97 src0_sel:BYTE_0 src1_sel:DWORD
	s_mov_b64 s[44:45], 0
	s_and_saveexec_b64 vcc, s[46:47]
	s_xor_b64 s[46:47], exec, vcc
	s_cbranch_execz .LBB2_1038
; %bb.774:                              ;   in Loop: Header=BB2_350 Depth=4
	v_cmp_eq_u16_sdwa s[52:53], v8, s59 src0_sel:BYTE_0 src1_sel:DWORD
	s_mov_b64 s[44:45], -1
	s_and_saveexec_b64 vcc, s[52:53]
; %bb.775:                              ;   in Loop: Header=BB2_350 Depth=4
	s_xor_b64 s[44:45], exec, -1
; %bb.776:                              ;   in Loop: Header=BB2_350 Depth=4
	s_or_b64 exec, exec, vcc
	s_and_b64 s[44:45], s[44:45], exec
	s_or_saveexec_b64 s[46:47], s[46:47]
	v_bfrev_b32_e32 v13, 1
	s_xor_b64 exec, exec, s[46:47]
	s_cbranch_execnz .LBB2_1039
.LBB2_777:                              ;   in Loop: Header=BB2_350 Depth=4
	s_or_b64 exec, exec, s[46:47]
	s_and_saveexec_b64 s[46:47], s[44:45]
.LBB2_778:                              ;   in Loop: Header=BB2_350 Depth=4
	v_cndmask_b32_e64 v13, v1, v49, s[40:41]
.LBB2_779:                              ;   in Loop: Header=BB2_350 Depth=4
	s_or_b64 exec, exec, s[46:47]
	v_max_f32_e32 v3, v13, v13
	v_max_f32_e32 v4, v12, v12
	;; [unrolled: 1-line block ×3, first 2 shown]
	s_mov_b64 s[44:45], 0
.LBB2_780:                              ;   in Loop: Header=BB2_350 Depth=4
	s_and_b64 vcc, exec, s[44:45]
	s_cbranch_vccz .LBB2_794
; %bb.781:                              ;   in Loop: Header=BB2_350 Depth=4
	v_mov_b32_e32 v12, 0
	s_and_saveexec_b64 s[44:45], s[42:43]
	s_cbranch_execz .LBB2_787
; %bb.782:                              ;   in Loop: Header=BB2_350 Depth=4
	v_cmp_ne_u16_sdwa s[46:47], v9, s59 src0_sel:BYTE_0 src1_sel:DWORD
	v_bfrev_b32_e32 v12, 1
	s_and_saveexec_b64 s[42:43], s[46:47]
	s_cbranch_execz .LBB2_786
; %bb.783:                              ;   in Loop: Header=BB2_350 Depth=4
	v_bfe_u32 v13, v10, 16, 7
	v_cmp_ne_u32_e32 vcc, s97, v13
	v_mov_b32_e32 v12, 0x7f800001
	s_and_saveexec_b64 s[46:47], vcc
	s_cbranch_execz .LBB2_785
; %bb.784:                              ;   in Loop: Header=BB2_350 Depth=4
	v_and_b32_e32 v3, 7, v9
	v_ffbh_u32_e32 v12, v3
	v_min_u32_e32 v18, 32, v12
	v_subrev_u32_e32 v12, 28, v18
	v_lshrrev_b32_e32 v4, 3, v13
	v_cmp_gt_u32_e32 vcc, 8, v13
	v_lshlrev_b64 v[12:13], v12, v[9:10]
	v_sub_u32_e32 v13, 29, v18
	v_and_b32_e32 v12, 7, v12
	v_cndmask_b32_e32 v4, v4, v13, vcc
	v_cndmask_b32_e32 v3, v3, v12, vcc
	v_lshlrev_b32_e32 v9, 24, v9
	v_lshlrev_b32_e32 v3, 20, v3
	v_and_b32_e32 v9, 0x80000000, v9
	v_lshl_add_u32 v4, v4, 23, v48
	v_or3_b32 v12, v9, v4, v3
.LBB2_785:                              ;   in Loop: Header=BB2_350 Depth=4
	s_or_b64 exec, exec, s[46:47]
.LBB2_786:                              ;   in Loop: Header=BB2_350 Depth=4
	s_or_b64 exec, exec, s[42:43]
.LBB2_787:                              ;   in Loop: Header=BB2_350 Depth=4
	s_or_b64 exec, exec, s[44:45]
	v_cmp_gt_i16_sdwa s[44:45], v8, s97 src0_sel:BYTE_0 src1_sel:DWORD
	s_mov_b64 s[42:43], 0
	s_and_saveexec_b64 s[46:47], s[44:45]
	s_xor_b64 s[44:45], exec, s[46:47]
	s_cbranch_execz .LBB2_1040
; %bb.788:                              ;   in Loop: Header=BB2_350 Depth=4
	v_cmp_eq_u16_sdwa vcc, v8, s59 src0_sel:BYTE_0 src1_sel:DWORD
	s_mov_b64 s[42:43], -1
	s_and_saveexec_b64 s[46:47], vcc
; %bb.789:                              ;   in Loop: Header=BB2_350 Depth=4
	s_xor_b64 s[42:43], exec, -1
; %bb.790:                              ;   in Loop: Header=BB2_350 Depth=4
	s_or_b64 exec, exec, s[46:47]
	s_and_b64 s[42:43], s[42:43], exec
                                        ; implicit-def: $vgpr8
	s_or_saveexec_b64 s[44:45], s[44:45]
	v_bfrev_b32_e32 v9, 1
	s_xor_b64 exec, exec, s[44:45]
	s_cbranch_execnz .LBB2_1041
.LBB2_791:                              ;   in Loop: Header=BB2_350 Depth=4
	s_or_b64 exec, exec, s[44:45]
	s_and_saveexec_b64 s[44:45], s[42:43]
.LBB2_792:                              ;   in Loop: Header=BB2_350 Depth=4
	v_cndmask_b32_e64 v9, v1, v49, s[40:41]
.LBB2_793:                              ;   in Loop: Header=BB2_350 Depth=4
	s_or_b64 exec, exec, s[44:45]
	v_max_f32_e32 v1, v9, v9
	v_max_f32_e32 v3, v12, v12
	v_min_f32_e32 v12, v3, v1
.LBB2_794:                              ;   in Loop: Header=BB2_350 Depth=4
	v_and_b32_e32 v34, 0x7f800000, v12
	v_cmp_ne_u64_e32 vcc, s[90:91], v[34:35]
                                        ; implicit-def: $vgpr1
	s_and_saveexec_b64 s[40:41], vcc
	s_xor_b64 s[42:43], exec, s[40:41]
	s_cbranch_execz .LBB2_808
; %bb.795:                              ;   in Loop: Header=BB2_350 Depth=4
	v_and_b32_e32 v34, 0x7fffffff, v12
	v_cmp_gt_u64_e32 vcc, s[92:93], v[34:35]
	v_and_b32_sdwa v18, v12, s59 dst_sel:DWORD dst_unused:UNUSED_PAD src0_sel:BYTE_3 src1_sel:DWORD
                                        ; implicit-def: $vgpr1
	s_and_saveexec_b64 s[40:41], vcc
	s_xor_b64 s[44:45], exec, s[40:41]
	s_cbranch_execz .LBB2_805
; %bb.796:                              ;   in Loop: Header=BB2_350 Depth=4
	v_mov_b32_e32 v1, 0
	v_cmp_ne_u32_e32 vcc, 0, v12
	s_and_saveexec_b64 s[46:47], vcc
	s_cbranch_execz .LBB2_804
; %bb.797:                              ;   in Loop: Header=BB2_350 Depth=4
	v_bfe_u32 v1, v12, 23, 8
	v_cmp_gt_u32_e64 s[40:41], s56, v1
	v_sub_u32_e32 v4, 0x79, v1
	v_and_b32_e32 v3, 0x7fffff, v12
	v_cmp_eq_u32_e32 vcc, 0, v1
	v_cndmask_b32_e64 v4, 0, v4, s[40:41]
	v_mov_b32_e32 v9, 0x78
	v_or_b32_e32 v8, 0x800000, v3
	v_cndmask_b32_e32 v19, v4, v9, vcc
	v_cndmask_b32_e32 v34, v8, v3, vcc
	v_add_u32_e32 v3, 20, v19
	v_lshlrev_b64 v[8:9], v3, -1
	v_add_u32_e32 v3, 19, v19
	v_lshlrev_b64 v[12:13], v3, 1
	v_bfi_b32 v9, v9, 0, 0
	v_bfi_b32 v8, v8, 0, v34
	v_cmp_eq_u64_e64 s[40:41], v[8:9], v[12:13]
	v_lshrrev_b64 v[8:9], v19, v[34:35]
	v_mov_b32_e32 v13, v9
	v_mov_b32_e32 v12, v8
	s_and_saveexec_b64 s[52:53], s[40:41]
; %bb.798:                              ;   in Loop: Header=BB2_350 Depth=4
	v_bfe_u32 v3, v8, 20, 1
	v_add_co_u32_e64 v3, s[40:41], v8, v3
	v_add_co_u32_e64 v12, s[40:41], -1, v3
; %bb.799:                              ;   in Loop: Header=BB2_350 Depth=4
	s_or_b64 exec, exec, s[52:53]
	v_add_u32_e32 v1, 0xffffff81, v1
	v_cndmask_b32_e32 v1, v1, v52, vcc
	v_lshrrev_b32_e32 v3, 23, v8
	v_add3_u32 v19, v19, v1, v3
	v_add_u32_e32 v13, 6, v19
	v_and_b32_e32 v1, 0xfffff, v12
	v_add_u32_e32 v34, v1, v8
	v_cmp_ne_u32_e32 vcc, 0, v13
                                        ; implicit-def: $vgpr8_vgpr9
                                        ; implicit-def: $vgpr1
	s_and_saveexec_b64 s[40:41], vcc
	s_xor_b64 s[40:41], exec, s[40:41]
; %bb.800:                              ;   in Loop: Header=BB2_350 Depth=4
	v_cmp_lt_u64_e32 vcc, s[94:95], v[34:35]
	v_add_u32_e32 v1, 7, v19
	v_cndmask_b32_e64 v3, 0, 1, vcc
	v_cndmask_b32_e32 v1, v13, v1, vcc
	v_lshrrev_b64 v[8:9], v3, v[34:35]
; %bb.801:                              ;   in Loop: Header=BB2_350 Depth=4
	s_andn2_saveexec_b64 s[40:41], s[40:41]
; %bb.802:                              ;   in Loop: Header=BB2_350 Depth=4
	v_mov_b32_e32 v8, v34
	v_bfe_u32 v1, v34, 23, 1
	v_mov_b32_e32 v9, v35
; %bb.803:                              ;   in Loop: Header=BB2_350 Depth=4
	s_or_b64 exec, exec, s[40:41]
	v_lshrrev_b64 v[8:9], 20, v[8:9]
	v_cmp_gt_i32_e32 vcc, 16, v1
	v_cndmask_b32_e32 v9, 0, v9, vcc
	v_cndmask_b32_e32 v8, 7, v8, vcc
	v_cmp_eq_u32_e32 vcc, 0, v1
	v_min_i32_e32 v1, 15, v1
	v_cmp_eq_u64_e64 s[40:41], 0, v[8:9]
	v_lshlrev_b32_e32 v1, 3, v1
	v_and_b32_e32 v1, 0xf8, v1
	v_and_or_b32 v1, v8, 7, v1
	s_and_b64 s[40:41], vcc, s[40:41]
	v_cndmask_b32_e64 v1, v1, 0, s[40:41]
	v_or_b32_e32 v1, v1, v18
.LBB2_804:                              ;   in Loop: Header=BB2_350 Depth=4
	s_or_b64 exec, exec, s[46:47]
                                        ; implicit-def: $vgpr18
.LBB2_805:                              ;   in Loop: Header=BB2_350 Depth=4
	s_andn2_saveexec_b64 s[40:41], s[44:45]
; %bb.806:                              ;   in Loop: Header=BB2_350 Depth=4
	v_or_b32_e32 v1, 0x7e, v18
; %bb.807:                              ;   in Loop: Header=BB2_350 Depth=4
	s_or_b64 exec, exec, s[40:41]
                                        ; implicit-def: $vgpr12
.LBB2_808:                              ;   in Loop: Header=BB2_350 Depth=4
	s_andn2_saveexec_b64 s[40:41], s[42:43]
; %bb.809:                              ;   in Loop: Header=BB2_350 Depth=4
	v_or_b32_sdwa v1, v12, s97 dst_sel:DWORD dst_unused:UNUSED_PAD src0_sel:BYTE_3 src1_sel:DWORD
; %bb.810:                              ;   in Loop: Header=BB2_350 Depth=4
	s_or_b64 exec, exec, s[40:41]
	v_bfe_u32 v3, v14, 24, 3
	v_bfe_u32 v4, v14, 24, 7
	v_cmp_eq_u32_e64 s[44:45], s97, v4
	v_cmp_gt_u32_e32 vcc, 8, v4
	v_ffbh_u32_e32 v4, v3
	v_min_u32_e32 v4, 32, v4
	v_lshrrev_b32_e32 v9, 24, v14
	v_subrev_u32_e32 v12, 28, v4
	v_lshlrev_b64 v[12:13], v12, v[9:10]
	v_bfe_u32 v18, v9, 3, 4
	v_cmp_eq_u32_e64 s[42:43], s59, v9
	v_sub_u32_e32 v4, 29, v4
	v_and_b32_e32 v9, 7, v12
	v_cndmask_b32_e32 v4, v18, v4, vcc
	v_cndmask_b32_e32 v3, v3, v9, vcc
	v_lshlrev_b32_e32 v3, 20, v3
	v_and_b32_e32 v9, 0x80000000, v14
	v_lshl_add_u32 v4, v4, 23, v48
	v_lshrrev_b32_e32 v8, 24, v10
	v_cmp_gt_u32_e64 s[40:41], s61, v14
	v_or3_b32 v9, v9, v4, v3
	v_cmp_lt_u32_e64 s[46:47], s63, v10
	s_mov_b64 s[52:53], -1
	s_and_b64 vcc, exec, s[50:51]
                                        ; implicit-def: $vgpr12
	s_cbranch_vccz .LBB2_818
; %bb.811:                              ;   in Loop: Header=BB2_350 Depth=4
	v_mov_b32_e32 v12, 0
	s_and_saveexec_b64 s[52:53], s[46:47]
	s_cbranch_execz .LBB2_817
; %bb.812:                              ;   in Loop: Header=BB2_350 Depth=4
	v_cmp_ne_u32_e32 vcc, s59, v8
	v_bfrev_b32_e32 v12, 1
	s_and_saveexec_b64 s[54:55], vcc
	s_cbranch_execz .LBB2_816
; %bb.813:                              ;   in Loop: Header=BB2_350 Depth=4
	v_bfe_u32 v13, v10, 24, 7
	v_cmp_ne_u32_e32 vcc, s97, v13
	v_mov_b32_e32 v12, 0x7f800001
	s_and_saveexec_b64 s[64:65], vcc
	s_cbranch_execz .LBB2_815
; %bb.814:                              ;   in Loop: Header=BB2_350 Depth=4
	v_and_b32_e32 v3, 7, v8
	v_ffbh_u32_e32 v12, v3
	v_min_u32_e32 v18, 32, v12
	v_subrev_u32_e32 v12, 28, v18
	v_lshrrev_b32_e32 v4, 3, v13
	v_cmp_gt_u32_e32 vcc, 8, v13
	v_lshlrev_b64 v[12:13], v12, v[8:9]
	v_sub_u32_e32 v13, 29, v18
	v_and_b32_e32 v12, 7, v12
	v_cndmask_b32_e32 v4, v4, v13, vcc
	v_cndmask_b32_e32 v3, v3, v12, vcc
	v_lshlrev_b32_e32 v12, 24, v8
	v_lshlrev_b32_e32 v3, 20, v3
	v_and_b32_e32 v12, 0x80000000, v12
	v_lshl_add_u32 v4, v4, 23, v48
	v_or3_b32 v12, v12, v4, v3
.LBB2_815:                              ;   in Loop: Header=BB2_350 Depth=4
	s_or_b64 exec, exec, s[64:65]
.LBB2_816:                              ;   in Loop: Header=BB2_350 Depth=4
	s_or_b64 exec, exec, s[54:55]
.LBB2_817:                              ;   in Loop: Header=BB2_350 Depth=4
	s_or_b64 exec, exec, s[52:53]
	v_cndmask_b32_e64 v3, v9, v49, s[44:45]
	v_cndmask_b32_e64 v3, v3, v0, s[42:43]
	;; [unrolled: 1-line block ×3, first 2 shown]
	v_max_f32_e32 v3, v3, v3
	v_max_f32_e32 v4, v12, v12
	;; [unrolled: 1-line block ×3, first 2 shown]
	s_mov_b64 s[52:53], 0
.LBB2_818:                              ;   in Loop: Header=BB2_350 Depth=4
	s_and_b64 vcc, exec, s[52:53]
	s_cbranch_vccz .LBB2_826
; %bb.819:                              ;   in Loop: Header=BB2_350 Depth=4
	v_mov_b32_e32 v12, 0
	s_and_saveexec_b64 s[52:53], s[46:47]
	s_cbranch_execz .LBB2_825
; %bb.820:                              ;   in Loop: Header=BB2_350 Depth=4
	v_cmp_ne_u32_e32 vcc, s59, v8
	v_bfrev_b32_e32 v12, 1
	s_and_saveexec_b64 s[46:47], vcc
	s_cbranch_execz .LBB2_824
; %bb.821:                              ;   in Loop: Header=BB2_350 Depth=4
	v_bfe_u32 v13, v10, 24, 7
	v_cmp_ne_u32_e32 vcc, s97, v13
	v_mov_b32_e32 v12, 0x7f800001
	s_and_saveexec_b64 s[54:55], vcc
	s_cbranch_execz .LBB2_823
; %bb.822:                              ;   in Loop: Header=BB2_350 Depth=4
	v_and_b32_e32 v3, 7, v8
	v_ffbh_u32_e32 v12, v3
	v_min_u32_e32 v18, 32, v12
	v_subrev_u32_e32 v12, 28, v18
	v_lshrrev_b32_e32 v4, 3, v13
	v_cmp_gt_u32_e32 vcc, 8, v13
	v_lshlrev_b64 v[12:13], v12, v[8:9]
	v_sub_u32_e32 v13, 29, v18
	v_and_b32_e32 v12, 7, v12
	v_cndmask_b32_e32 v4, v4, v13, vcc
	v_cndmask_b32_e32 v3, v3, v12, vcc
	v_lshlrev_b32_e32 v8, 24, v8
	v_lshlrev_b32_e32 v3, 20, v3
	v_and_b32_e32 v8, 0x80000000, v8
	v_lshl_add_u32 v4, v4, 23, v48
	v_or3_b32 v12, v8, v4, v3
.LBB2_823:                              ;   in Loop: Header=BB2_350 Depth=4
	s_or_b64 exec, exec, s[54:55]
.LBB2_824:                              ;   in Loop: Header=BB2_350 Depth=4
	s_or_b64 exec, exec, s[46:47]
.LBB2_825:                              ;   in Loop: Header=BB2_350 Depth=4
	s_or_b64 exec, exec, s[52:53]
	v_cndmask_b32_e64 v3, v9, v49, s[44:45]
	v_cndmask_b32_e64 v3, v3, v0, s[42:43]
	;; [unrolled: 1-line block ×3, first 2 shown]
	v_max_f32_e32 v3, v3, v3
	v_max_f32_e32 v4, v12, v12
	v_min_f32_e32 v12, v4, v3
.LBB2_826:                              ;   in Loop: Header=BB2_350 Depth=4
	v_and_b32_e32 v34, 0x7f800000, v12
	v_cmp_ne_u64_e32 vcc, s[90:91], v[34:35]
                                        ; implicit-def: $vgpr26
	s_and_saveexec_b64 s[40:41], vcc
	s_xor_b64 s[42:43], exec, s[40:41]
	s_cbranch_execz .LBB2_840
; %bb.827:                              ;   in Loop: Header=BB2_350 Depth=4
	v_and_b32_e32 v34, 0x7fffffff, v12
	v_cmp_gt_u64_e32 vcc, s[92:93], v[34:35]
	v_and_b32_sdwa v18, v12, s59 dst_sel:DWORD dst_unused:UNUSED_PAD src0_sel:BYTE_3 src1_sel:DWORD
                                        ; implicit-def: $vgpr26
	s_and_saveexec_b64 s[40:41], vcc
	s_xor_b64 s[44:45], exec, s[40:41]
	s_cbranch_execz .LBB2_837
; %bb.828:                              ;   in Loop: Header=BB2_350 Depth=4
	v_mov_b32_e32 v26, 0
	v_cmp_ne_u32_e32 vcc, 0, v12
	s_and_saveexec_b64 s[46:47], vcc
	s_cbranch_execz .LBB2_836
; %bb.829:                              ;   in Loop: Header=BB2_350 Depth=4
	v_bfe_u32 v19, v12, 23, 8
	v_cmp_gt_u32_e64 s[40:41], s56, v19
	v_sub_u32_e32 v4, 0x79, v19
	v_and_b32_e32 v3, 0x7fffff, v12
	v_cmp_eq_u32_e32 vcc, 0, v19
	v_cndmask_b32_e64 v4, 0, v4, s[40:41]
	v_mov_b32_e32 v9, 0x78
	v_or_b32_e32 v8, 0x800000, v3
	v_cndmask_b32_e32 v24, v4, v9, vcc
	v_cndmask_b32_e32 v34, v8, v3, vcc
	v_add_u32_e32 v3, 20, v24
	v_lshlrev_b64 v[8:9], v3, -1
	v_add_u32_e32 v3, 19, v24
	v_lshlrev_b64 v[12:13], v3, 1
	v_bfi_b32 v9, v9, 0, 0
	v_bfi_b32 v8, v8, 0, v34
	v_cmp_eq_u64_e64 s[40:41], v[8:9], v[12:13]
	v_lshrrev_b64 v[8:9], v24, v[34:35]
	v_mov_b32_e32 v13, v9
	v_mov_b32_e32 v12, v8
	s_and_saveexec_b64 s[52:53], s[40:41]
; %bb.830:                              ;   in Loop: Header=BB2_350 Depth=4
	v_bfe_u32 v3, v8, 20, 1
	v_add_co_u32_e64 v3, s[40:41], v8, v3
	v_add_co_u32_e64 v12, s[40:41], -1, v3
; %bb.831:                              ;   in Loop: Header=BB2_350 Depth=4
	s_or_b64 exec, exec, s[52:53]
	v_add_u32_e32 v3, 0xffffff81, v19
	v_cndmask_b32_e32 v3, v3, v52, vcc
	v_lshrrev_b32_e32 v4, 23, v8
	v_add3_u32 v19, v24, v3, v4
	v_add_u32_e32 v13, 6, v19
	v_and_b32_e32 v3, 0xfffff, v12
	v_add_u32_e32 v34, v3, v8
	v_cmp_ne_u32_e32 vcc, 0, v13
                                        ; implicit-def: $vgpr8_vgpr9
                                        ; implicit-def: $vgpr12
	s_and_saveexec_b64 s[40:41], vcc
	s_xor_b64 s[40:41], exec, s[40:41]
; %bb.832:                              ;   in Loop: Header=BB2_350 Depth=4
	v_cmp_lt_u64_e32 vcc, s[94:95], v[34:35]
	v_add_u32_e32 v3, 7, v19
	v_cndmask_b32_e32 v12, v13, v3, vcc
	v_cndmask_b32_e64 v3, 0, 1, vcc
	v_lshrrev_b64 v[8:9], v3, v[34:35]
; %bb.833:                              ;   in Loop: Header=BB2_350 Depth=4
	s_andn2_saveexec_b64 s[40:41], s[40:41]
; %bb.834:                              ;   in Loop: Header=BB2_350 Depth=4
	v_mov_b32_e32 v8, v34
	v_bfe_u32 v12, v34, 23, 1
	v_mov_b32_e32 v9, v35
; %bb.835:                              ;   in Loop: Header=BB2_350 Depth=4
	s_or_b64 exec, exec, s[40:41]
	v_lshrrev_b64 v[8:9], 20, v[8:9]
	v_cmp_gt_i32_e32 vcc, 16, v12
	v_cndmask_b32_e32 v9, 0, v9, vcc
	v_cndmask_b32_e32 v8, 7, v8, vcc
	v_min_i32_e32 v3, 15, v12
	v_cmp_eq_u64_e64 s[40:41], 0, v[8:9]
	v_lshlrev_b32_e32 v3, 3, v3
	v_cmp_eq_u32_e32 vcc, 0, v12
	v_and_b32_e32 v3, 0xf8, v3
	v_and_or_b32 v3, v8, 7, v3
	s_and_b64 s[40:41], vcc, s[40:41]
	v_cndmask_b32_e64 v3, v3, 0, s[40:41]
	v_or_b32_e32 v26, v3, v18
.LBB2_836:                              ;   in Loop: Header=BB2_350 Depth=4
	s_or_b64 exec, exec, s[46:47]
                                        ; implicit-def: $vgpr18
.LBB2_837:                              ;   in Loop: Header=BB2_350 Depth=4
	s_andn2_saveexec_b64 s[40:41], s[44:45]
; %bb.838:                              ;   in Loop: Header=BB2_350 Depth=4
	v_or_b32_e32 v26, 0x7e, v18
; %bb.839:                              ;   in Loop: Header=BB2_350 Depth=4
	s_or_b64 exec, exec, s[40:41]
                                        ; implicit-def: $vgpr12
.LBB2_840:                              ;   in Loop: Header=BB2_350 Depth=4
	s_andn2_saveexec_b64 s[40:41], s[42:43]
; %bb.841:                              ;   in Loop: Header=BB2_350 Depth=4
	v_or_b32_sdwa v26, v12, s97 dst_sel:DWORD dst_unused:UNUSED_PAD src0_sel:BYTE_3 src1_sel:DWORD
; %bb.842:                              ;   in Loop: Header=BB2_350 Depth=4
	s_or_b64 exec, exec, s[40:41]
	v_and_b32_e32 v3, 7, v15
	v_ffbh_u32_e32 v3, v3
	v_and_b32_e32 v4, 0x7f, v15
	v_min_u32_e32 v3, 32, v3
	v_cmp_eq_u32_e64 s[40:41], s97, v4
	v_cmp_gt_u32_e32 vcc, 8, v4
	v_subrev_u32_e32 v4, 28, v3
	v_mov_b32_e32 v8, v15
	v_mov_b32_e32 v9, v35
	v_bfe_u32 v12, v15, 3, 4
	v_sub_u32_e32 v3, 29, v3
	v_cndmask_b32_e32 v4, 0, v4, vcc
	v_cndmask_b32_e32 v3, v12, v3, vcc
	v_lshlrev_b64 v[12:13], v4, v[8:9]
	v_lshlrev_b32_e32 v9, 24, v15
	v_lshlrev_b32_e32 v4, 20, v12
	v_and_b32_e32 v4, 0x700000, v4
	v_and_b32_e32 v9, 0x80000000, v9
	v_lshl_add_u32 v3, v3, 23, v48
	v_mov_b32_e32 v34, v11
	v_or3_b32 v9, v9, v3, v4
	v_cmp_ne_u16_sdwa s[42:43], v11, v35 src0_sel:BYTE_0 src1_sel:DWORD
	s_mov_b64 s[44:45], -1
	s_and_b64 vcc, exec, s[50:51]
                                        ; implicit-def: $vgpr12
	s_cbranch_vccz .LBB2_856
; %bb.843:                              ;   in Loop: Header=BB2_350 Depth=4
	v_mov_b32_e32 v12, 0
	s_and_saveexec_b64 s[44:45], s[42:43]
	s_cbranch_execz .LBB2_849
; %bb.844:                              ;   in Loop: Header=BB2_350 Depth=4
	v_cmp_ne_u16_sdwa vcc, v11, s59 src0_sel:BYTE_0 src1_sel:DWORD
	v_bfrev_b32_e32 v12, 1
	s_and_saveexec_b64 s[46:47], vcc
	s_cbranch_execz .LBB2_848
; %bb.845:                              ;   in Loop: Header=BB2_350 Depth=4
	v_and_b32_e32 v13, 0x7f, v11
	v_cmp_ne_u32_e32 vcc, s97, v13
	v_mov_b32_e32 v12, 0x7f800001
	s_and_saveexec_b64 s[52:53], vcc
	s_cbranch_execz .LBB2_847
; %bb.846:                              ;   in Loop: Header=BB2_350 Depth=4
	v_and_b32_e32 v3, 7, v11
	v_ffbh_u32_e32 v3, v3
	v_min_u32_e32 v3, 32, v3
	v_lshrrev_b32_e32 v4, 3, v13
	v_cmp_gt_u32_e32 vcc, 8, v13
	v_subrev_u32_e32 v12, 28, v3
	v_sub_u32_e32 v3, 29, v3
	v_cndmask_b32_e32 v3, v4, v3, vcc
	v_cndmask_b32_e32 v4, 0, v12, vcc
	v_lshlrev_b64 v[12:13], v4, v[34:35]
	v_lshl_add_u32 v3, v3, 23, v48
	v_lshlrev_b32_e32 v4, 20, v12
	v_lshlrev_b32_e32 v12, 24, v34
	v_and_b32_e32 v4, 0x700000, v4
	v_and_b32_e32 v12, 0x80000000, v12
	v_or3_b32 v12, v12, v3, v4
.LBB2_847:                              ;   in Loop: Header=BB2_350 Depth=4
	s_or_b64 exec, exec, s[52:53]
.LBB2_848:                              ;   in Loop: Header=BB2_350 Depth=4
	s_or_b64 exec, exec, s[46:47]
.LBB2_849:                              ;   in Loop: Header=BB2_350 Depth=4
	s_or_b64 exec, exec, s[44:45]
	v_cmp_gt_i16_sdwa s[46:47], v15, s97 src0_sel:BYTE_0 src1_sel:DWORD
	s_mov_b64 s[44:45], 0
	s_and_saveexec_b64 vcc, s[46:47]
	s_xor_b64 s[46:47], exec, vcc
	s_cbranch_execz .LBB2_1042
; %bb.850:                              ;   in Loop: Header=BB2_350 Depth=4
	v_cmp_eq_u16_sdwa s[52:53], v15, s59 src0_sel:BYTE_0 src1_sel:DWORD
	s_mov_b64 s[44:45], -1
	s_and_saveexec_b64 vcc, s[52:53]
; %bb.851:                              ;   in Loop: Header=BB2_350 Depth=4
	s_xor_b64 s[44:45], exec, -1
; %bb.852:                              ;   in Loop: Header=BB2_350 Depth=4
	s_or_b64 exec, exec, vcc
	s_and_b64 s[44:45], s[44:45], exec
	s_or_saveexec_b64 s[46:47], s[46:47]
	v_bfrev_b32_e32 v13, 1
	s_xor_b64 exec, exec, s[46:47]
	s_cbranch_execnz .LBB2_1043
.LBB2_853:                              ;   in Loop: Header=BB2_350 Depth=4
	s_or_b64 exec, exec, s[46:47]
	s_and_saveexec_b64 s[46:47], s[44:45]
.LBB2_854:                              ;   in Loop: Header=BB2_350 Depth=4
	v_cndmask_b32_e64 v13, v9, v49, s[40:41]
.LBB2_855:                              ;   in Loop: Header=BB2_350 Depth=4
	s_or_b64 exec, exec, s[46:47]
	v_max_f32_e32 v3, v13, v13
	v_max_f32_e32 v4, v12, v12
	;; [unrolled: 1-line block ×3, first 2 shown]
	s_mov_b64 s[44:45], 0
.LBB2_856:                              ;   in Loop: Header=BB2_350 Depth=4
	s_and_b64 vcc, exec, s[44:45]
	s_cbranch_vccz .LBB2_870
; %bb.857:                              ;   in Loop: Header=BB2_350 Depth=4
	v_mov_b32_e32 v12, 0
	s_and_saveexec_b64 s[44:45], s[42:43]
	s_cbranch_execz .LBB2_863
; %bb.858:                              ;   in Loop: Header=BB2_350 Depth=4
	v_cmp_ne_u16_sdwa s[46:47], v11, s59 src0_sel:BYTE_0 src1_sel:DWORD
	v_bfrev_b32_e32 v12, 1
	s_and_saveexec_b64 s[42:43], s[46:47]
	s_cbranch_execz .LBB2_862
; %bb.859:                              ;   in Loop: Header=BB2_350 Depth=4
	v_and_b32_e32 v13, 0x7f, v11
	v_cmp_ne_u32_e32 vcc, s97, v13
	v_mov_b32_e32 v12, 0x7f800001
	s_and_saveexec_b64 s[46:47], vcc
	s_cbranch_execz .LBB2_861
; %bb.860:                              ;   in Loop: Header=BB2_350 Depth=4
	v_and_b32_e32 v3, 7, v11
	v_ffbh_u32_e32 v3, v3
	v_min_u32_e32 v3, 32, v3
	v_lshrrev_b32_e32 v4, 3, v13
	v_cmp_gt_u32_e32 vcc, 8, v13
	v_subrev_u32_e32 v12, 28, v3
	v_sub_u32_e32 v3, 29, v3
	v_cndmask_b32_e32 v3, v4, v3, vcc
	v_cndmask_b32_e32 v4, 0, v12, vcc
	v_lshlrev_b64 v[12:13], v4, v[34:35]
	v_lshl_add_u32 v3, v3, 23, v48
	v_lshlrev_b32_e32 v4, 20, v12
	v_lshlrev_b32_e32 v12, 24, v34
	v_and_b32_e32 v4, 0x700000, v4
	v_and_b32_e32 v12, 0x80000000, v12
	v_or3_b32 v12, v12, v3, v4
.LBB2_861:                              ;   in Loop: Header=BB2_350 Depth=4
	s_or_b64 exec, exec, s[46:47]
.LBB2_862:                              ;   in Loop: Header=BB2_350 Depth=4
	s_or_b64 exec, exec, s[42:43]
.LBB2_863:                              ;   in Loop: Header=BB2_350 Depth=4
	s_or_b64 exec, exec, s[44:45]
	v_cmp_gt_i16_sdwa s[44:45], v15, s97 src0_sel:BYTE_0 src1_sel:DWORD
	s_mov_b64 s[42:43], 0
	s_and_saveexec_b64 s[46:47], s[44:45]
	s_xor_b64 s[44:45], exec, s[46:47]
	s_cbranch_execz .LBB2_1044
; %bb.864:                              ;   in Loop: Header=BB2_350 Depth=4
	v_cmp_eq_u16_sdwa vcc, v15, s59 src0_sel:BYTE_0 src1_sel:DWORD
	s_mov_b64 s[42:43], -1
	s_and_saveexec_b64 s[46:47], vcc
; %bb.865:                              ;   in Loop: Header=BB2_350 Depth=4
	s_xor_b64 s[42:43], exec, -1
; %bb.866:                              ;   in Loop: Header=BB2_350 Depth=4
	s_or_b64 exec, exec, s[46:47]
	s_and_b64 s[42:43], s[42:43], exec
	s_or_saveexec_b64 s[44:45], s[44:45]
	v_bfrev_b32_e32 v13, 1
	s_xor_b64 exec, exec, s[44:45]
	s_cbranch_execnz .LBB2_1045
.LBB2_867:                              ;   in Loop: Header=BB2_350 Depth=4
	s_or_b64 exec, exec, s[44:45]
	s_and_saveexec_b64 s[44:45], s[42:43]
.LBB2_868:                              ;   in Loop: Header=BB2_350 Depth=4
	v_cndmask_b32_e64 v13, v9, v49, s[40:41]
.LBB2_869:                              ;   in Loop: Header=BB2_350 Depth=4
	s_or_b64 exec, exec, s[44:45]
	v_max_f32_e32 v3, v13, v13
	v_max_f32_e32 v4, v12, v12
	v_min_f32_e32 v12, v4, v3
.LBB2_870:                              ;   in Loop: Header=BB2_350 Depth=4
	v_and_b32_e32 v18, 0x7f800000, v12
	v_mov_b32_e32 v19, v35
	v_cmp_ne_u64_e32 vcc, s[90:91], v[18:19]
                                        ; implicit-def: $vgpr18
	s_and_saveexec_b64 s[40:41], vcc
	s_xor_b64 s[42:43], exec, s[40:41]
	s_cbranch_execz .LBB2_884
; %bb.871:                              ;   in Loop: Header=BB2_350 Depth=4
	v_and_b32_e32 v18, 0x7fffffff, v12
	v_mov_b32_e32 v19, v35
	v_cmp_gt_u64_e32 vcc, s[92:93], v[18:19]
	v_and_b32_sdwa v9, v12, s59 dst_sel:DWORD dst_unused:UNUSED_PAD src0_sel:BYTE_3 src1_sel:DWORD
                                        ; implicit-def: $vgpr18
	s_and_saveexec_b64 s[40:41], vcc
	s_xor_b64 s[44:45], exec, s[40:41]
	s_cbranch_execz .LBB2_881
; %bb.872:                              ;   in Loop: Header=BB2_350 Depth=4
	v_mov_b32_e32 v18, 0
	v_cmp_ne_u32_e32 vcc, 0, v12
	s_and_saveexec_b64 s[46:47], vcc
	s_cbranch_execz .LBB2_880
; %bb.873:                              ;   in Loop: Header=BB2_350 Depth=4
	v_bfe_u32 v24, v12, 23, 8
	v_cmp_gt_u32_e64 s[40:41], s56, v24
	v_sub_u32_e32 v4, 0x79, v24
	v_and_b32_e32 v3, 0x7fffff, v12
	v_cmp_eq_u32_e32 vcc, 0, v24
	v_cndmask_b32_e64 v4, 0, v4, s[40:41]
	v_mov_b32_e32 v13, 0x78
	v_or_b32_e32 v12, 0x800000, v3
	v_cndmask_b32_e32 v25, v4, v13, vcc
	v_cndmask_b32_e32 v12, v12, v3, vcc
	v_add_u32_e32 v3, 20, v25
	v_lshlrev_b64 v[18:19], v3, -1
	v_mov_b32_e32 v13, v35
	v_add_u32_e32 v3, 19, v25
	v_bfi_b32 v18, v18, 0, v12
	v_lshlrev_b64 v[40:41], v3, 1
	v_lshrrev_b64 v[12:13], v25, v[12:13]
	v_bfi_b32 v19, v19, 0, 0
	v_cmp_eq_u64_e64 s[40:41], v[18:19], v[40:41]
	v_mov_b32_e32 v19, v13
	v_mov_b32_e32 v18, v12
	s_and_saveexec_b64 s[52:53], s[40:41]
; %bb.874:                              ;   in Loop: Header=BB2_350 Depth=4
	v_bfe_u32 v3, v12, 20, 1
	v_add_co_u32_e64 v3, s[40:41], v12, v3
	v_add_co_u32_e64 v18, s[40:41], -1, v3
; %bb.875:                              ;   in Loop: Header=BB2_350 Depth=4
	s_or_b64 exec, exec, s[52:53]
	v_add_u32_e32 v3, 0xffffff81, v24
	v_cndmask_b32_e32 v3, v3, v52, vcc
	v_lshrrev_b32_e32 v4, 23, v12
	v_add3_u32 v24, v25, v3, v4
	v_add_u32_e32 v19, 6, v24
	v_and_b32_e32 v3, 0xfffff, v18
	v_add_u32_e32 v12, v3, v12
	v_mov_b32_e32 v13, v35
	v_cmp_ne_u32_e32 vcc, 0, v19
                                        ; implicit-def: $vgpr18
	s_and_saveexec_b64 s[40:41], vcc
	s_xor_b64 s[40:41], exec, s[40:41]
; %bb.876:                              ;   in Loop: Header=BB2_350 Depth=4
	v_cmp_lt_u64_e32 vcc, s[94:95], v[12:13]
	v_add_u32_e32 v3, 7, v24
	v_cndmask_b32_e32 v18, v19, v3, vcc
	v_cndmask_b32_e64 v3, 0, 1, vcc
	v_lshrrev_b64 v[12:13], v3, v[12:13]
; %bb.877:                              ;   in Loop: Header=BB2_350 Depth=4
	s_andn2_saveexec_b64 s[40:41], s[40:41]
; %bb.878:                              ;   in Loop: Header=BB2_350 Depth=4
	v_bfe_u32 v18, v12, 23, 1
; %bb.879:                              ;   in Loop: Header=BB2_350 Depth=4
	s_or_b64 exec, exec, s[40:41]
	v_lshrrev_b64 v[12:13], 20, v[12:13]
	v_cmp_gt_i32_e32 vcc, 16, v18
	v_cndmask_b32_e32 v13, 0, v13, vcc
	v_cndmask_b32_e32 v12, 7, v12, vcc
	v_min_i32_e32 v3, 15, v18
	v_cmp_eq_u64_e64 s[40:41], 0, v[12:13]
	v_lshlrev_b32_e32 v3, 3, v3
	v_cmp_eq_u32_e32 vcc, 0, v18
	v_and_b32_e32 v3, 0xf8, v3
	v_and_or_b32 v3, v12, 7, v3
	s_and_b64 s[40:41], vcc, s[40:41]
	v_cndmask_b32_e64 v3, v3, 0, s[40:41]
	v_or_b32_e32 v18, v3, v9
.LBB2_880:                              ;   in Loop: Header=BB2_350 Depth=4
	s_or_b64 exec, exec, s[46:47]
                                        ; implicit-def: $vgpr9
.LBB2_881:                              ;   in Loop: Header=BB2_350 Depth=4
	s_andn2_saveexec_b64 s[40:41], s[44:45]
; %bb.882:                              ;   in Loop: Header=BB2_350 Depth=4
	v_or_b32_e32 v18, 0x7e, v9
; %bb.883:                              ;   in Loop: Header=BB2_350 Depth=4
	s_or_b64 exec, exec, s[40:41]
                                        ; implicit-def: $vgpr12
.LBB2_884:                              ;   in Loop: Header=BB2_350 Depth=4
	s_andn2_saveexec_b64 s[40:41], s[42:43]
; %bb.885:                              ;   in Loop: Header=BB2_350 Depth=4
	v_or_b32_sdwa v18, v12, s97 dst_sel:DWORD dst_unused:UNUSED_PAD src0_sel:BYTE_3 src1_sel:DWORD
; %bb.886:                              ;   in Loop: Header=BB2_350 Depth=4
	s_or_b64 exec, exec, s[40:41]
	v_lshrrev_b16_e32 v8, 8, v8
	v_and_b32_e32 v3, 7, v8
	v_and_b32_e32 v4, 0x7f, v8
	v_cmp_eq_u32_e64 s[40:41], s97, v4
	v_cmp_gt_u32_e32 vcc, 8, v4
	v_ffbh_u32_e32 v4, v3
	v_min_u32_e32 v4, 32, v4
	v_mov_b32_e32 v9, v35
	v_subrev_u32_e32 v19, 28, v4
	v_lshlrev_b64 v[24:25], v19, v[8:9]
	v_bfe_u32 v13, v8, 3, 4
	v_sub_u32_e32 v4, 29, v4
	v_and_b32_e32 v9, 7, v24
	v_cndmask_b32_e32 v4, v13, v4, vcc
	v_cndmask_b32_e32 v3, v3, v9, vcc
	v_lshlrev_b32_e32 v9, 24, v8
	v_lshrrev_b16_e32 v12, 8, v34
	v_lshlrev_b32_e32 v3, 20, v3
	v_and_b32_e32 v9, 0x80000000, v9
	v_lshl_add_u32 v4, v4, 23, v48
	v_or3_b32 v9, v9, v4, v3
	v_cmp_ne_u16_e64 s[42:43], 0, v12
	s_mov_b64 s[44:45], -1
	s_and_b64 vcc, exec, s[50:51]
                                        ; implicit-def: $vgpr13
	s_cbranch_vccz .LBB2_900
; %bb.887:                              ;   in Loop: Header=BB2_350 Depth=4
	v_mov_b32_e32 v13, 0
	s_and_saveexec_b64 s[44:45], s[42:43]
	s_cbranch_execz .LBB2_893
; %bb.888:                              ;   in Loop: Header=BB2_350 Depth=4
	v_cmp_ne_u16_e32 vcc, s59, v12
	v_bfrev_b32_e32 v13, 1
	s_and_saveexec_b64 s[46:47], vcc
	s_cbranch_execz .LBB2_892
; %bb.889:                              ;   in Loop: Header=BB2_350 Depth=4
	v_and_b32_e32 v19, 0x7f, v12
	v_cmp_ne_u32_e32 vcc, s97, v19
	v_mov_b32_e32 v13, 0x7f800001
	s_and_saveexec_b64 s[52:53], vcc
	s_cbranch_execz .LBB2_891
; %bb.890:                              ;   in Loop: Header=BB2_350 Depth=4
	v_and_b32_e32 v3, 7, v12
	v_ffbh_u32_e32 v13, v3
	v_min_u32_e32 v13, 32, v13
	v_lshrrev_b32_e32 v4, 3, v19
	v_cmp_gt_u32_e32 vcc, 8, v19
	v_subrev_u32_e32 v19, 28, v13
	v_lshlrev_b64 v[24:25], v19, v[12:13]
	v_sub_u32_e32 v13, 29, v13
	v_and_b32_e32 v19, 7, v24
	v_cndmask_b32_e32 v4, v4, v13, vcc
	v_cndmask_b32_e32 v3, v3, v19, vcc
	v_lshlrev_b32_e32 v13, 16, v34
	v_lshlrev_b32_e32 v3, 20, v3
	v_and_b32_e32 v13, 0x80000000, v13
	v_lshl_add_u32 v4, v4, 23, v48
	v_or3_b32 v13, v13, v4, v3
.LBB2_891:                              ;   in Loop: Header=BB2_350 Depth=4
	s_or_b64 exec, exec, s[52:53]
.LBB2_892:                              ;   in Loop: Header=BB2_350 Depth=4
	s_or_b64 exec, exec, s[46:47]
.LBB2_893:                              ;   in Loop: Header=BB2_350 Depth=4
	s_or_b64 exec, exec, s[44:45]
	v_cmp_lt_i16_e32 vcc, s97, v8
	s_mov_b64 s[44:45], 0
	s_and_saveexec_b64 s[46:47], vcc
	s_xor_b64 s[46:47], exec, s[46:47]
	s_cbranch_execz .LBB2_1046
; %bb.894:                              ;   in Loop: Header=BB2_350 Depth=4
	v_cmp_eq_u16_e32 vcc, s59, v8
	s_mov_b64 s[44:45], -1
	s_and_saveexec_b64 s[52:53], vcc
; %bb.895:                              ;   in Loop: Header=BB2_350 Depth=4
	s_xor_b64 s[44:45], exec, -1
; %bb.896:                              ;   in Loop: Header=BB2_350 Depth=4
	s_or_b64 exec, exec, s[52:53]
	s_and_b64 s[44:45], s[44:45], exec
	s_or_saveexec_b64 s[46:47], s[46:47]
	v_bfrev_b32_e32 v19, 1
	s_xor_b64 exec, exec, s[46:47]
	s_cbranch_execnz .LBB2_1047
.LBB2_897:                              ;   in Loop: Header=BB2_350 Depth=4
	s_or_b64 exec, exec, s[46:47]
	s_and_saveexec_b64 s[46:47], s[44:45]
.LBB2_898:                              ;   in Loop: Header=BB2_350 Depth=4
	v_cndmask_b32_e64 v19, v9, v49, s[40:41]
.LBB2_899:                              ;   in Loop: Header=BB2_350 Depth=4
	s_or_b64 exec, exec, s[46:47]
	v_max_f32_e32 v3, v19, v19
	v_max_f32_e32 v4, v13, v13
	;; [unrolled: 1-line block ×3, first 2 shown]
	s_mov_b64 s[44:45], 0
.LBB2_900:                              ;   in Loop: Header=BB2_350 Depth=4
	s_and_b64 vcc, exec, s[44:45]
	s_cbranch_vccz .LBB2_914
; %bb.901:                              ;   in Loop: Header=BB2_350 Depth=4
	v_mov_b32_e32 v13, 0
	s_and_saveexec_b64 s[44:45], s[42:43]
	s_cbranch_execz .LBB2_907
; %bb.902:                              ;   in Loop: Header=BB2_350 Depth=4
	v_cmp_ne_u16_e32 vcc, s59, v12
	v_bfrev_b32_e32 v13, 1
	s_and_saveexec_b64 s[42:43], vcc
	s_cbranch_execz .LBB2_906
; %bb.903:                              ;   in Loop: Header=BB2_350 Depth=4
	v_and_b32_e32 v19, 0x7f, v12
	v_cmp_ne_u32_e32 vcc, s97, v19
	v_mov_b32_e32 v13, 0x7f800001
	s_and_saveexec_b64 s[46:47], vcc
	s_cbranch_execz .LBB2_905
; %bb.904:                              ;   in Loop: Header=BB2_350 Depth=4
	v_and_b32_e32 v3, 7, v12
	v_ffbh_u32_e32 v13, v3
	v_lshrrev_b32_e32 v4, 3, v19
	v_cmp_gt_u32_e32 vcc, 8, v19
	v_min_u32_e32 v19, 32, v13
	v_subrev_u32_e32 v13, 28, v19
	v_lshlrev_b64 v[12:13], v13, v[12:13]
	v_sub_u32_e32 v13, 29, v19
	v_and_b32_e32 v12, 7, v12
	v_cndmask_b32_e32 v4, v4, v13, vcc
	v_cndmask_b32_e32 v3, v3, v12, vcc
	v_lshlrev_b32_e32 v12, 16, v34
	v_lshlrev_b32_e32 v3, 20, v3
	v_and_b32_e32 v12, 0x80000000, v12
	v_lshl_add_u32 v4, v4, 23, v48
	v_or3_b32 v13, v12, v4, v3
.LBB2_905:                              ;   in Loop: Header=BB2_350 Depth=4
	s_or_b64 exec, exec, s[46:47]
.LBB2_906:                              ;   in Loop: Header=BB2_350 Depth=4
	s_or_b64 exec, exec, s[42:43]
.LBB2_907:                              ;   in Loop: Header=BB2_350 Depth=4
	s_or_b64 exec, exec, s[44:45]
	v_cmp_lt_i16_e32 vcc, s97, v8
	s_mov_b64 s[42:43], 0
	s_and_saveexec_b64 s[44:45], vcc
	s_xor_b64 s[44:45], exec, s[44:45]
	s_cbranch_execz .LBB2_1048
; %bb.908:                              ;   in Loop: Header=BB2_350 Depth=4
	v_cmp_eq_u16_e32 vcc, s59, v8
	s_mov_b64 s[42:43], -1
	s_and_saveexec_b64 s[46:47], vcc
; %bb.909:                              ;   in Loop: Header=BB2_350 Depth=4
	s_xor_b64 s[42:43], exec, -1
; %bb.910:                              ;   in Loop: Header=BB2_350 Depth=4
	s_or_b64 exec, exec, s[46:47]
	s_and_b64 s[42:43], s[42:43], exec
                                        ; implicit-def: $vgpr8
	s_or_saveexec_b64 s[44:45], s[44:45]
	v_bfrev_b32_e32 v12, 1
	s_xor_b64 exec, exec, s[44:45]
	s_cbranch_execnz .LBB2_1049
.LBB2_911:                              ;   in Loop: Header=BB2_350 Depth=4
	s_or_b64 exec, exec, s[44:45]
	s_and_saveexec_b64 s[44:45], s[42:43]
.LBB2_912:                              ;   in Loop: Header=BB2_350 Depth=4
	v_cndmask_b32_e64 v12, v9, v49, s[40:41]
.LBB2_913:                              ;   in Loop: Header=BB2_350 Depth=4
	s_or_b64 exec, exec, s[44:45]
	v_max_f32_e32 v3, v12, v12
	v_max_f32_e32 v4, v13, v13
	v_min_f32_e32 v13, v4, v3
.LBB2_914:                              ;   in Loop: Header=BB2_350 Depth=4
	v_and_b32_e32 v34, 0x7f800000, v13
	v_cmp_ne_u64_e32 vcc, s[90:91], v[34:35]
                                        ; implicit-def: $vgpr19
	s_and_saveexec_b64 s[40:41], vcc
	s_xor_b64 s[42:43], exec, s[40:41]
	s_cbranch_execz .LBB2_928
; %bb.915:                              ;   in Loop: Header=BB2_350 Depth=4
	v_and_b32_e32 v34, 0x7fffffff, v13
	v_cmp_gt_u64_e32 vcc, s[92:93], v[34:35]
	v_and_b32_sdwa v24, v13, s59 dst_sel:DWORD dst_unused:UNUSED_PAD src0_sel:BYTE_3 src1_sel:DWORD
                                        ; implicit-def: $vgpr19
	s_and_saveexec_b64 s[40:41], vcc
	s_xor_b64 s[44:45], exec, s[40:41]
	s_cbranch_execz .LBB2_925
; %bb.916:                              ;   in Loop: Header=BB2_350 Depth=4
	v_mov_b32_e32 v19, 0
	v_cmp_ne_u32_e32 vcc, 0, v13
	s_and_saveexec_b64 s[46:47], vcc
	s_cbranch_execz .LBB2_924
; %bb.917:                              ;   in Loop: Header=BB2_350 Depth=4
	v_bfe_u32 v19, v13, 23, 8
	v_cmp_gt_u32_e64 s[40:41], s56, v19
	v_sub_u32_e32 v4, 0x79, v19
	v_and_b32_e32 v3, 0x7fffff, v13
	v_cmp_eq_u32_e32 vcc, 0, v19
	v_cndmask_b32_e64 v4, 0, v4, s[40:41]
	v_mov_b32_e32 v9, 0x78
	v_or_b32_e32 v8, 0x800000, v3
	v_cndmask_b32_e32 v25, v4, v9, vcc
	v_cndmask_b32_e32 v34, v8, v3, vcc
	v_add_u32_e32 v3, 20, v25
	v_lshlrev_b64 v[8:9], v3, -1
	v_add_u32_e32 v3, 19, v25
	v_lshlrev_b64 v[12:13], v3, 1
	v_bfi_b32 v9, v9, 0, 0
	v_bfi_b32 v8, v8, 0, v34
	v_cmp_eq_u64_e64 s[40:41], v[8:9], v[12:13]
	v_lshrrev_b64 v[8:9], v25, v[34:35]
	v_mov_b32_e32 v13, v9
	v_mov_b32_e32 v12, v8
	s_and_saveexec_b64 s[52:53], s[40:41]
; %bb.918:                              ;   in Loop: Header=BB2_350 Depth=4
	v_bfe_u32 v3, v8, 20, 1
	v_add_co_u32_e64 v3, s[40:41], v8, v3
	v_add_co_u32_e64 v12, s[40:41], -1, v3
; %bb.919:                              ;   in Loop: Header=BB2_350 Depth=4
	s_or_b64 exec, exec, s[52:53]
	v_add_u32_e32 v3, 0xffffff81, v19
	v_cndmask_b32_e32 v3, v3, v52, vcc
	v_lshrrev_b32_e32 v4, 23, v8
	v_add3_u32 v19, v25, v3, v4
	v_add_u32_e32 v13, 6, v19
	v_and_b32_e32 v3, 0xfffff, v12
	v_add_u32_e32 v34, v3, v8
	v_cmp_ne_u32_e32 vcc, 0, v13
                                        ; implicit-def: $vgpr8_vgpr9
                                        ; implicit-def: $vgpr12
	s_and_saveexec_b64 s[40:41], vcc
	s_xor_b64 s[40:41], exec, s[40:41]
; %bb.920:                              ;   in Loop: Header=BB2_350 Depth=4
	v_cmp_lt_u64_e32 vcc, s[94:95], v[34:35]
	v_add_u32_e32 v3, 7, v19
	v_cndmask_b32_e32 v12, v13, v3, vcc
	v_cndmask_b32_e64 v3, 0, 1, vcc
	v_lshrrev_b64 v[8:9], v3, v[34:35]
; %bb.921:                              ;   in Loop: Header=BB2_350 Depth=4
	s_andn2_saveexec_b64 s[40:41], s[40:41]
; %bb.922:                              ;   in Loop: Header=BB2_350 Depth=4
	v_mov_b32_e32 v8, v34
	v_bfe_u32 v12, v34, 23, 1
	v_mov_b32_e32 v9, v35
; %bb.923:                              ;   in Loop: Header=BB2_350 Depth=4
	s_or_b64 exec, exec, s[40:41]
	v_lshrrev_b64 v[8:9], 20, v[8:9]
	v_cmp_gt_i32_e32 vcc, 16, v12
	v_cndmask_b32_e32 v9, 0, v9, vcc
	v_cndmask_b32_e32 v8, 7, v8, vcc
	v_min_i32_e32 v3, 15, v12
	v_cmp_eq_u64_e64 s[40:41], 0, v[8:9]
	v_lshlrev_b32_e32 v3, 3, v3
	v_cmp_eq_u32_e32 vcc, 0, v12
	v_and_b32_e32 v3, 0xf8, v3
	v_and_or_b32 v3, v8, 7, v3
	s_and_b64 s[40:41], vcc, s[40:41]
	v_cndmask_b32_e64 v3, v3, 0, s[40:41]
	v_or_b32_e32 v19, v3, v24
.LBB2_924:                              ;   in Loop: Header=BB2_350 Depth=4
	s_or_b64 exec, exec, s[46:47]
                                        ; implicit-def: $vgpr24
.LBB2_925:                              ;   in Loop: Header=BB2_350 Depth=4
	s_andn2_saveexec_b64 s[40:41], s[44:45]
; %bb.926:                              ;   in Loop: Header=BB2_350 Depth=4
	v_or_b32_e32 v19, 0x7e, v24
; %bb.927:                              ;   in Loop: Header=BB2_350 Depth=4
	s_or_b64 exec, exec, s[40:41]
                                        ; implicit-def: $vgpr13
.LBB2_928:                              ;   in Loop: Header=BB2_350 Depth=4
	s_andn2_saveexec_b64 s[40:41], s[42:43]
; %bb.929:                              ;   in Loop: Header=BB2_350 Depth=4
	v_or_b32_sdwa v19, v13, s97 dst_sel:DWORD dst_unused:UNUSED_PAD src0_sel:BYTE_3 src1_sel:DWORD
; %bb.930:                              ;   in Loop: Header=BB2_350 Depth=4
	s_or_b64 exec, exec, s[40:41]
	v_bfe_u32 v3, v15, 16, 3
	v_bfe_u32 v4, v15, 16, 7
	v_cmp_eq_u32_e64 s[40:41], s97, v4
	v_cmp_gt_u32_e32 vcc, 8, v4
	v_ffbh_u32_e32 v4, v3
	v_lshrrev_b32_e32 v8, 16, v15
	v_min_u32_e32 v4, 32, v4
	v_bfe_u32 v9, v8, 3, 4
	v_subrev_u32_e32 v12, 28, v4
	v_lshlrev_b64 v[12:13], v12, v[8:9]
	v_sub_u32_e32 v4, 29, v4
	v_and_b32_e32 v12, 7, v12
	v_cndmask_b32_e32 v4, v9, v4, vcc
	v_cndmask_b32_e32 v3, v3, v12, vcc
	v_lshlrev_b32_e32 v9, 8, v15
	v_lshlrev_b32_e32 v3, 20, v3
	v_and_b32_e32 v9, 0x80000000, v9
	v_lshl_add_u32 v4, v4, 23, v48
	v_or3_b32 v12, v9, v4, v3
	v_lshrrev_b32_e32 v9, 16, v11
	v_cmp_ne_u16_sdwa s[42:43], v9, v35 src0_sel:BYTE_0 src1_sel:DWORD
	s_mov_b64 s[44:45], -1
	s_and_b64 vcc, exec, s[50:51]
                                        ; implicit-def: $vgpr13
	s_cbranch_vccz .LBB2_944
; %bb.931:                              ;   in Loop: Header=BB2_350 Depth=4
	v_mov_b32_e32 v13, 0
	s_and_saveexec_b64 s[44:45], s[42:43]
	s_cbranch_execz .LBB2_937
; %bb.932:                              ;   in Loop: Header=BB2_350 Depth=4
	v_cmp_ne_u16_sdwa vcc, v9, s59 src0_sel:BYTE_0 src1_sel:DWORD
	v_bfrev_b32_e32 v13, 1
	s_and_saveexec_b64 s[46:47], vcc
	s_cbranch_execz .LBB2_936
; %bb.933:                              ;   in Loop: Header=BB2_350 Depth=4
	v_bfe_u32 v24, v11, 16, 7
	v_cmp_ne_u32_e32 vcc, s97, v24
	v_mov_b32_e32 v13, 0x7f800001
	s_and_saveexec_b64 s[52:53], vcc
	s_cbranch_execz .LBB2_935
; %bb.934:                              ;   in Loop: Header=BB2_350 Depth=4
	v_and_b32_e32 v3, 7, v9
	v_ffbh_u32_e32 v13, v3
	v_min_u32_e32 v13, 32, v13
	v_lshrrev_b32_e32 v4, 3, v24
	v_cmp_gt_u32_e32 vcc, 8, v24
	v_subrev_u32_e32 v24, 28, v13
	v_lshlrev_b64 v[24:25], v24, v[9:10]
	v_sub_u32_e32 v13, 29, v13
	v_and_b32_e32 v24, 7, v24
	v_cndmask_b32_e32 v4, v4, v13, vcc
	v_cndmask_b32_e32 v3, v3, v24, vcc
	v_lshlrev_b32_e32 v13, 24, v9
	v_lshlrev_b32_e32 v3, 20, v3
	v_and_b32_e32 v13, 0x80000000, v13
	v_lshl_add_u32 v4, v4, 23, v48
	v_or3_b32 v13, v13, v4, v3
.LBB2_935:                              ;   in Loop: Header=BB2_350 Depth=4
	s_or_b64 exec, exec, s[52:53]
.LBB2_936:                              ;   in Loop: Header=BB2_350 Depth=4
	s_or_b64 exec, exec, s[46:47]
.LBB2_937:                              ;   in Loop: Header=BB2_350 Depth=4
	s_or_b64 exec, exec, s[44:45]
	v_cmp_gt_i16_sdwa s[46:47], v8, s97 src0_sel:BYTE_0 src1_sel:DWORD
	s_mov_b64 s[44:45], 0
	s_and_saveexec_b64 vcc, s[46:47]
	s_xor_b64 s[46:47], exec, vcc
	s_cbranch_execz .LBB2_1050
; %bb.938:                              ;   in Loop: Header=BB2_350 Depth=4
	v_cmp_eq_u16_sdwa s[52:53], v8, s59 src0_sel:BYTE_0 src1_sel:DWORD
	s_mov_b64 s[44:45], -1
	s_and_saveexec_b64 vcc, s[52:53]
; %bb.939:                              ;   in Loop: Header=BB2_350 Depth=4
	s_xor_b64 s[44:45], exec, -1
; %bb.940:                              ;   in Loop: Header=BB2_350 Depth=4
	s_or_b64 exec, exec, vcc
	s_and_b64 s[44:45], s[44:45], exec
	s_or_saveexec_b64 s[46:47], s[46:47]
	v_bfrev_b32_e32 v24, 1
	s_xor_b64 exec, exec, s[46:47]
	s_cbranch_execnz .LBB2_1051
.LBB2_941:                              ;   in Loop: Header=BB2_350 Depth=4
	s_or_b64 exec, exec, s[46:47]
	s_and_saveexec_b64 s[46:47], s[44:45]
.LBB2_942:                              ;   in Loop: Header=BB2_350 Depth=4
	v_cndmask_b32_e64 v24, v12, v49, s[40:41]
.LBB2_943:                              ;   in Loop: Header=BB2_350 Depth=4
	s_or_b64 exec, exec, s[46:47]
	v_max_f32_e32 v3, v24, v24
	v_max_f32_e32 v4, v13, v13
	;; [unrolled: 1-line block ×3, first 2 shown]
	s_mov_b64 s[44:45], 0
.LBB2_944:                              ;   in Loop: Header=BB2_350 Depth=4
	s_and_b64 vcc, exec, s[44:45]
	s_cbranch_vccz .LBB2_958
; %bb.945:                              ;   in Loop: Header=BB2_350 Depth=4
	v_mov_b32_e32 v13, 0
	s_and_saveexec_b64 s[44:45], s[42:43]
	s_cbranch_execz .LBB2_951
; %bb.946:                              ;   in Loop: Header=BB2_350 Depth=4
	v_cmp_ne_u16_sdwa s[46:47], v9, s59 src0_sel:BYTE_0 src1_sel:DWORD
	v_bfrev_b32_e32 v13, 1
	s_and_saveexec_b64 s[42:43], s[46:47]
	s_cbranch_execz .LBB2_950
; %bb.947:                              ;   in Loop: Header=BB2_350 Depth=4
	v_bfe_u32 v24, v11, 16, 7
	v_cmp_ne_u32_e32 vcc, s97, v24
	v_mov_b32_e32 v13, 0x7f800001
	s_and_saveexec_b64 s[46:47], vcc
	s_cbranch_execz .LBB2_949
; %bb.948:                              ;   in Loop: Header=BB2_350 Depth=4
	v_and_b32_e32 v3, 7, v9
	v_ffbh_u32_e32 v13, v3
	v_min_u32_e32 v13, 32, v13
	v_lshrrev_b32_e32 v4, 3, v24
	v_cmp_gt_u32_e32 vcc, 8, v24
	v_subrev_u32_e32 v24, 28, v13
	v_lshlrev_b64 v[24:25], v24, v[9:10]
	v_sub_u32_e32 v13, 29, v13
	v_and_b32_e32 v24, 7, v24
	v_cndmask_b32_e32 v4, v4, v13, vcc
	v_cndmask_b32_e32 v3, v3, v24, vcc
	v_lshlrev_b32_e32 v9, 24, v9
	v_lshlrev_b32_e32 v3, 20, v3
	v_and_b32_e32 v9, 0x80000000, v9
	v_lshl_add_u32 v4, v4, 23, v48
	v_or3_b32 v13, v9, v4, v3
.LBB2_949:                              ;   in Loop: Header=BB2_350 Depth=4
	s_or_b64 exec, exec, s[46:47]
.LBB2_950:                              ;   in Loop: Header=BB2_350 Depth=4
	s_or_b64 exec, exec, s[42:43]
.LBB2_951:                              ;   in Loop: Header=BB2_350 Depth=4
	s_or_b64 exec, exec, s[44:45]
	v_cmp_gt_i16_sdwa s[44:45], v8, s97 src0_sel:BYTE_0 src1_sel:DWORD
	s_mov_b64 s[42:43], 0
	s_and_saveexec_b64 s[46:47], s[44:45]
	s_xor_b64 s[44:45], exec, s[46:47]
	s_cbranch_execz .LBB2_1052
; %bb.952:                              ;   in Loop: Header=BB2_350 Depth=4
	v_cmp_eq_u16_sdwa vcc, v8, s59 src0_sel:BYTE_0 src1_sel:DWORD
	s_mov_b64 s[42:43], -1
	s_and_saveexec_b64 s[46:47], vcc
; %bb.953:                              ;   in Loop: Header=BB2_350 Depth=4
	s_xor_b64 s[42:43], exec, -1
; %bb.954:                              ;   in Loop: Header=BB2_350 Depth=4
	s_or_b64 exec, exec, s[46:47]
	s_and_b64 s[42:43], s[42:43], exec
                                        ; implicit-def: $vgpr8
	s_or_saveexec_b64 s[44:45], s[44:45]
	v_bfrev_b32_e32 v9, 1
	s_xor_b64 exec, exec, s[44:45]
	s_cbranch_execnz .LBB2_1053
.LBB2_955:                              ;   in Loop: Header=BB2_350 Depth=4
	s_or_b64 exec, exec, s[44:45]
	s_and_saveexec_b64 s[44:45], s[42:43]
.LBB2_956:                              ;   in Loop: Header=BB2_350 Depth=4
	v_cndmask_b32_e64 v9, v12, v49, s[40:41]
.LBB2_957:                              ;   in Loop: Header=BB2_350 Depth=4
	s_or_b64 exec, exec, s[44:45]
	v_max_f32_e32 v3, v9, v9
	v_max_f32_e32 v4, v13, v13
	v_min_f32_e32 v13, v4, v3
.LBB2_958:                              ;   in Loop: Header=BB2_350 Depth=4
	v_and_b32_e32 v34, 0x7f800000, v13
	v_cmp_ne_u64_e32 vcc, s[90:91], v[34:35]
                                        ; implicit-def: $vgpr12
	s_and_saveexec_b64 s[40:41], vcc
	s_xor_b64 s[42:43], exec, s[40:41]
	s_cbranch_execz .LBB2_972
; %bb.959:                              ;   in Loop: Header=BB2_350 Depth=4
	v_and_b32_e32 v34, 0x7fffffff, v13
	v_cmp_gt_u64_e32 vcc, s[92:93], v[34:35]
	v_and_b32_sdwa v24, v13, s59 dst_sel:DWORD dst_unused:UNUSED_PAD src0_sel:BYTE_3 src1_sel:DWORD
                                        ; implicit-def: $vgpr12
	s_and_saveexec_b64 s[40:41], vcc
	s_xor_b64 s[44:45], exec, s[40:41]
	s_cbranch_execz .LBB2_969
; %bb.960:                              ;   in Loop: Header=BB2_350 Depth=4
	v_mov_b32_e32 v12, 0
	v_cmp_ne_u32_e32 vcc, 0, v13
	s_and_saveexec_b64 s[46:47], vcc
	s_cbranch_execz .LBB2_968
; %bb.961:                              ;   in Loop: Header=BB2_350 Depth=4
	v_bfe_u32 v25, v13, 23, 8
	v_cmp_gt_u32_e64 s[40:41], s56, v25
	v_sub_u32_e32 v4, 0x79, v25
	v_and_b32_e32 v3, 0x7fffff, v13
	v_cmp_eq_u32_e32 vcc, 0, v25
	v_cndmask_b32_e64 v4, 0, v4, s[40:41]
	v_mov_b32_e32 v9, 0x78
	v_or_b32_e32 v8, 0x800000, v3
	v_cndmask_b32_e32 v40, v4, v9, vcc
	v_cndmask_b32_e32 v34, v8, v3, vcc
	v_add_u32_e32 v3, 20, v40
	v_lshlrev_b64 v[8:9], v3, -1
	v_add_u32_e32 v3, 19, v40
	v_lshlrev_b64 v[12:13], v3, 1
	v_bfi_b32 v9, v9, 0, 0
	v_bfi_b32 v8, v8, 0, v34
	v_cmp_eq_u64_e64 s[40:41], v[8:9], v[12:13]
	v_lshrrev_b64 v[8:9], v40, v[34:35]
	v_mov_b32_e32 v13, v9
	v_mov_b32_e32 v12, v8
	s_and_saveexec_b64 s[52:53], s[40:41]
; %bb.962:                              ;   in Loop: Header=BB2_350 Depth=4
	v_bfe_u32 v3, v8, 20, 1
	v_add_co_u32_e64 v3, s[40:41], v8, v3
	v_add_co_u32_e64 v12, s[40:41], -1, v3
; %bb.963:                              ;   in Loop: Header=BB2_350 Depth=4
	s_or_b64 exec, exec, s[52:53]
	v_add_u32_e32 v3, 0xffffff81, v25
	v_cndmask_b32_e32 v3, v3, v52, vcc
	v_lshrrev_b32_e32 v4, 23, v8
	v_add3_u32 v25, v40, v3, v4
	v_add_u32_e32 v13, 6, v25
	v_and_b32_e32 v3, 0xfffff, v12
	v_add_u32_e32 v34, v3, v8
	v_cmp_ne_u32_e32 vcc, 0, v13
                                        ; implicit-def: $vgpr8_vgpr9
                                        ; implicit-def: $vgpr12
	s_and_saveexec_b64 s[40:41], vcc
	s_xor_b64 s[40:41], exec, s[40:41]
; %bb.964:                              ;   in Loop: Header=BB2_350 Depth=4
	v_cmp_lt_u64_e32 vcc, s[94:95], v[34:35]
	v_add_u32_e32 v3, 7, v25
	v_cndmask_b32_e32 v12, v13, v3, vcc
	v_cndmask_b32_e64 v3, 0, 1, vcc
	v_lshrrev_b64 v[8:9], v3, v[34:35]
; %bb.965:                              ;   in Loop: Header=BB2_350 Depth=4
	s_andn2_saveexec_b64 s[40:41], s[40:41]
; %bb.966:                              ;   in Loop: Header=BB2_350 Depth=4
	v_mov_b32_e32 v8, v34
	v_bfe_u32 v12, v34, 23, 1
	v_mov_b32_e32 v9, v35
; %bb.967:                              ;   in Loop: Header=BB2_350 Depth=4
	s_or_b64 exec, exec, s[40:41]
	v_lshrrev_b64 v[8:9], 20, v[8:9]
	v_cmp_gt_i32_e32 vcc, 16, v12
	v_cndmask_b32_e32 v9, 0, v9, vcc
	v_cndmask_b32_e32 v8, 7, v8, vcc
	v_min_i32_e32 v3, 15, v12
	v_cmp_eq_u64_e64 s[40:41], 0, v[8:9]
	v_lshlrev_b32_e32 v3, 3, v3
	v_cmp_eq_u32_e32 vcc, 0, v12
	v_and_b32_e32 v3, 0xf8, v3
	v_and_or_b32 v3, v8, 7, v3
	s_and_b64 s[40:41], vcc, s[40:41]
	v_cndmask_b32_e64 v3, v3, 0, s[40:41]
	v_or_b32_e32 v12, v3, v24
.LBB2_968:                              ;   in Loop: Header=BB2_350 Depth=4
	s_or_b64 exec, exec, s[46:47]
                                        ; implicit-def: $vgpr24
.LBB2_969:                              ;   in Loop: Header=BB2_350 Depth=4
	s_andn2_saveexec_b64 s[40:41], s[44:45]
; %bb.970:                              ;   in Loop: Header=BB2_350 Depth=4
	v_or_b32_e32 v12, 0x7e, v24
; %bb.971:                              ;   in Loop: Header=BB2_350 Depth=4
	s_or_b64 exec, exec, s[40:41]
                                        ; implicit-def: $vgpr13
.LBB2_972:                              ;   in Loop: Header=BB2_350 Depth=4
	s_andn2_saveexec_b64 s[40:41], s[42:43]
; %bb.973:                              ;   in Loop: Header=BB2_350 Depth=4
	v_or_b32_sdwa v12, v13, s97 dst_sel:DWORD dst_unused:UNUSED_PAD src0_sel:BYTE_3 src1_sel:DWORD
; %bb.974:                              ;   in Loop: Header=BB2_350 Depth=4
	s_or_b64 exec, exec, s[40:41]
	v_bfe_u32 v3, v15, 24, 3
	v_bfe_u32 v4, v15, 24, 7
	v_cmp_eq_u32_e64 s[44:45], s97, v4
	v_cmp_gt_u32_e32 vcc, 8, v4
	v_ffbh_u32_e32 v4, v3
	v_min_u32_e32 v4, 32, v4
	v_lshrrev_b32_e32 v9, 24, v15
	v_subrev_u32_e32 v13, 28, v4
	v_cmp_gt_u64_e64 s[40:41], s[60:61], v[14:15]
	v_lshlrev_b64 v[13:14], v13, v[9:10]
	v_bfe_u32 v24, v9, 3, 4
	v_cmp_eq_u32_e64 s[42:43], s59, v9
	v_sub_u32_e32 v4, 29, v4
	v_and_b32_e32 v9, 7, v13
	v_cndmask_b32_e32 v4, v24, v4, vcc
	v_cndmask_b32_e32 v3, v3, v9, vcc
	v_lshlrev_b32_e32 v3, 20, v3
	v_and_b32_e32 v9, 0x80000000, v15
	v_lshl_add_u32 v4, v4, 23, v48
	v_cmp_lt_u64_e64 s[46:47], s[62:63], v[10:11]
	v_lshrrev_b32_e32 v8, 24, v11
	v_or3_b32 v9, v9, v4, v3
	s_mov_b64 s[52:53], -1
	s_and_b64 vcc, exec, s[50:51]
                                        ; implicit-def: $vgpr10
	s_cbranch_vccz .LBB2_982
; %bb.975:                              ;   in Loop: Header=BB2_350 Depth=4
	v_mov_b32_e32 v10, 0
	s_and_saveexec_b64 s[52:53], s[46:47]
	s_cbranch_execz .LBB2_981
; %bb.976:                              ;   in Loop: Header=BB2_350 Depth=4
	v_cmp_ne_u32_e32 vcc, s59, v8
	v_bfrev_b32_e32 v10, 1
	s_and_saveexec_b64 s[54:55], vcc
	s_cbranch_execz .LBB2_980
; %bb.977:                              ;   in Loop: Header=BB2_350 Depth=4
	v_bfe_u32 v13, v11, 24, 7
	v_cmp_ne_u32_e32 vcc, s97, v13
	v_mov_b32_e32 v10, 0x7f800001
	s_and_saveexec_b64 s[64:65], vcc
	s_cbranch_execz .LBB2_979
; %bb.978:                              ;   in Loop: Header=BB2_350 Depth=4
	v_and_b32_e32 v3, 7, v8
	v_ffbh_u32_e32 v10, v3
	v_min_u32_e32 v10, 32, v10
	v_lshrrev_b32_e32 v4, 3, v13
	v_cmp_gt_u32_e32 vcc, 8, v13
	v_subrev_u32_e32 v13, 28, v10
	v_lshlrev_b64 v[13:14], v13, v[8:9]
	v_sub_u32_e32 v10, 29, v10
	v_and_b32_e32 v13, 7, v13
	v_cndmask_b32_e32 v4, v4, v10, vcc
	v_cndmask_b32_e32 v3, v3, v13, vcc
	v_lshlrev_b32_e32 v10, 24, v8
	v_lshlrev_b32_e32 v3, 20, v3
	v_and_b32_e32 v10, 0x80000000, v10
	v_lshl_add_u32 v4, v4, 23, v48
	v_or3_b32 v10, v10, v4, v3
.LBB2_979:                              ;   in Loop: Header=BB2_350 Depth=4
	s_or_b64 exec, exec, s[64:65]
.LBB2_980:                              ;   in Loop: Header=BB2_350 Depth=4
	s_or_b64 exec, exec, s[54:55]
.LBB2_981:                              ;   in Loop: Header=BB2_350 Depth=4
	s_or_b64 exec, exec, s[52:53]
	v_cndmask_b32_e64 v3, v9, v49, s[44:45]
	v_cndmask_b32_e64 v3, v3, v0, s[42:43]
	;; [unrolled: 1-line block ×3, first 2 shown]
	v_max_f32_e32 v3, v3, v3
	v_max_f32_e32 v4, v10, v10
	;; [unrolled: 1-line block ×3, first 2 shown]
	s_mov_b64 s[52:53], 0
.LBB2_982:                              ;   in Loop: Header=BB2_350 Depth=4
	s_and_b64 vcc, exec, s[52:53]
	s_cbranch_vccz .LBB2_990
; %bb.983:                              ;   in Loop: Header=BB2_350 Depth=4
	v_mov_b32_e32 v10, 0
	s_and_saveexec_b64 s[52:53], s[46:47]
	s_cbranch_execz .LBB2_989
; %bb.984:                              ;   in Loop: Header=BB2_350 Depth=4
	v_cmp_ne_u32_e32 vcc, s59, v8
	v_bfrev_b32_e32 v10, 1
	s_and_saveexec_b64 s[46:47], vcc
	s_cbranch_execz .LBB2_988
; %bb.985:                              ;   in Loop: Header=BB2_350 Depth=4
	v_bfe_u32 v11, v11, 24, 7
	v_cmp_ne_u32_e32 vcc, s97, v11
	v_mov_b32_e32 v10, 0x7f800001
	s_and_saveexec_b64 s[54:55], vcc
	s_cbranch_execz .LBB2_987
; %bb.986:                              ;   in Loop: Header=BB2_350 Depth=4
	v_and_b32_e32 v3, 7, v8
	v_ffbh_u32_e32 v10, v3
	v_min_u32_e32 v13, 32, v10
	v_subrev_u32_e32 v10, 28, v13
	v_lshrrev_b32_e32 v4, 3, v11
	v_cmp_gt_u32_e32 vcc, 8, v11
	v_lshlrev_b64 v[10:11], v10, v[8:9]
	v_sub_u32_e32 v11, 29, v13
	v_and_b32_e32 v10, 7, v10
	v_cndmask_b32_e32 v4, v4, v11, vcc
	v_cndmask_b32_e32 v3, v3, v10, vcc
	v_lshlrev_b32_e32 v8, 24, v8
	v_lshlrev_b32_e32 v3, 20, v3
	v_and_b32_e32 v8, 0x80000000, v8
	v_lshl_add_u32 v4, v4, 23, v48
	v_or3_b32 v10, v8, v4, v3
.LBB2_987:                              ;   in Loop: Header=BB2_350 Depth=4
	s_or_b64 exec, exec, s[54:55]
.LBB2_988:                              ;   in Loop: Header=BB2_350 Depth=4
	s_or_b64 exec, exec, s[46:47]
.LBB2_989:                              ;   in Loop: Header=BB2_350 Depth=4
	s_or_b64 exec, exec, s[52:53]
	v_cndmask_b32_e64 v3, v9, v49, s[44:45]
	v_cndmask_b32_e64 v3, v3, v0, s[42:43]
	;; [unrolled: 1-line block ×3, first 2 shown]
	v_max_f32_e32 v3, v3, v3
	v_max_f32_e32 v4, v10, v10
	v_min_f32_e32 v10, v4, v3
.LBB2_990:                              ;   in Loop: Header=BB2_350 Depth=4
	v_and_b32_e32 v34, 0x7f800000, v10
	v_cmp_ne_u64_e32 vcc, s[90:91], v[34:35]
                                        ; implicit-def: $vgpr8
	s_and_saveexec_b64 s[40:41], vcc
	s_xor_b64 s[42:43], exec, s[40:41]
	s_cbranch_execz .LBB2_1004
; %bb.991:                              ;   in Loop: Header=BB2_350 Depth=4
	v_and_b32_e32 v34, 0x7fffffff, v10
	v_cmp_gt_u64_e32 vcc, s[92:93], v[34:35]
	v_and_b32_sdwa v11, v10, s59 dst_sel:DWORD dst_unused:UNUSED_PAD src0_sel:BYTE_3 src1_sel:DWORD
                                        ; implicit-def: $vgpr8
	s_and_saveexec_b64 s[40:41], vcc
	s_xor_b64 s[44:45], exec, s[40:41]
	s_cbranch_execz .LBB2_1001
; %bb.992:                              ;   in Loop: Header=BB2_350 Depth=4
	v_mov_b32_e32 v8, 0
	v_cmp_ne_u32_e32 vcc, 0, v10
	s_and_saveexec_b64 s[46:47], vcc
	s_cbranch_execz .LBB2_1000
; %bb.993:                              ;   in Loop: Header=BB2_350 Depth=4
	v_bfe_u32 v13, v10, 23, 8
	v_cmp_gt_u32_e64 s[40:41], s56, v13
	v_sub_u32_e32 v4, 0x79, v13
	v_and_b32_e32 v3, 0x7fffff, v10
	v_cmp_eq_u32_e32 vcc, 0, v13
	v_cndmask_b32_e64 v4, 0, v4, s[40:41]
	v_mov_b32_e32 v9, 0x78
	v_or_b32_e32 v8, 0x800000, v3
	v_cndmask_b32_e32 v14, v4, v9, vcc
	v_cndmask_b32_e32 v34, v8, v3, vcc
	v_add_u32_e32 v3, 20, v14
	v_lshlrev_b64 v[8:9], v3, -1
	v_add_u32_e32 v3, 19, v14
	v_lshlrev_b64 v[24:25], v3, 1
	v_bfi_b32 v9, v9, 0, 0
	v_bfi_b32 v8, v8, 0, v34
	v_cmp_eq_u64_e64 s[40:41], v[8:9], v[24:25]
	v_lshrrev_b64 v[8:9], v14, v[34:35]
	v_mov_b32_e32 v10, v9
	v_mov_b32_e32 v9, v8
	s_and_saveexec_b64 s[52:53], s[40:41]
; %bb.994:                              ;   in Loop: Header=BB2_350 Depth=4
	v_bfe_u32 v3, v8, 20, 1
	v_add_co_u32_e64 v3, s[40:41], v8, v3
	v_add_co_u32_e64 v9, s[40:41], -1, v3
; %bb.995:                              ;   in Loop: Header=BB2_350 Depth=4
	s_or_b64 exec, exec, s[52:53]
	v_add_u32_e32 v3, 0xffffff81, v13
	v_cndmask_b32_e32 v3, v3, v52, vcc
	v_lshrrev_b32_e32 v4, 23, v8
	v_add3_u32 v14, v14, v3, v4
	v_add_u32_e32 v13, 6, v14
	v_and_b32_e32 v3, 0xfffff, v9
	v_add_u32_e32 v34, v3, v8
	v_cmp_ne_u32_e32 vcc, 0, v13
                                        ; implicit-def: $vgpr8_vgpr9
                                        ; implicit-def: $vgpr10
	s_and_saveexec_b64 s[40:41], vcc
	s_xor_b64 s[40:41], exec, s[40:41]
; %bb.996:                              ;   in Loop: Header=BB2_350 Depth=4
	v_cmp_lt_u64_e32 vcc, s[94:95], v[34:35]
	v_add_u32_e32 v3, 7, v14
	v_cndmask_b32_e32 v10, v13, v3, vcc
	v_cndmask_b32_e64 v3, 0, 1, vcc
	v_lshrrev_b64 v[8:9], v3, v[34:35]
; %bb.997:                              ;   in Loop: Header=BB2_350 Depth=4
	s_andn2_saveexec_b64 s[40:41], s[40:41]
; %bb.998:                              ;   in Loop: Header=BB2_350 Depth=4
	v_mov_b32_e32 v8, v34
	v_bfe_u32 v10, v34, 23, 1
	v_mov_b32_e32 v9, v35
; %bb.999:                              ;   in Loop: Header=BB2_350 Depth=4
	s_or_b64 exec, exec, s[40:41]
	v_lshrrev_b64 v[8:9], 20, v[8:9]
	v_cmp_gt_i32_e32 vcc, 16, v10
	v_cndmask_b32_e32 v9, 0, v9, vcc
	v_cndmask_b32_e32 v8, 7, v8, vcc
	v_min_i32_e32 v3, 15, v10
	v_cmp_eq_u64_e64 s[40:41], 0, v[8:9]
	v_lshlrev_b32_e32 v3, 3, v3
	v_cmp_eq_u32_e32 vcc, 0, v10
	v_and_b32_e32 v3, 0xf8, v3
	v_and_or_b32 v3, v8, 7, v3
	s_and_b64 s[40:41], vcc, s[40:41]
	v_cndmask_b32_e64 v3, v3, 0, s[40:41]
	v_or_b32_e32 v8, v3, v11
.LBB2_1000:                             ;   in Loop: Header=BB2_350 Depth=4
	s_or_b64 exec, exec, s[46:47]
                                        ; implicit-def: $vgpr11
.LBB2_1001:                             ;   in Loop: Header=BB2_350 Depth=4
	s_andn2_saveexec_b64 s[40:41], s[44:45]
; %bb.1002:                             ;   in Loop: Header=BB2_350 Depth=4
	v_or_b32_e32 v8, 0x7e, v11
; %bb.1003:                             ;   in Loop: Header=BB2_350 Depth=4
	s_or_b64 exec, exec, s[40:41]
                                        ; implicit-def: $vgpr10
.LBB2_1004:                             ;   in Loop: Header=BB2_350 Depth=4
	s_andn2_saveexec_b64 s[40:41], s[42:43]
	s_cbranch_execz .LBB2_349
; %bb.1005:                             ;   in Loop: Header=BB2_350 Depth=4
	v_or_b32_sdwa v8, v10, s97 dst_sel:DWORD dst_unused:UNUSED_PAD src0_sel:BYTE_3 src1_sel:DWORD
	s_branch .LBB2_349
.LBB2_1006:                             ;   in Loop: Header=BB2_350 Depth=4
	s_or_saveexec_b64 s[46:47], s[46:47]
	v_bfrev_b32_e32 v16, 1
	s_xor_b64 exec, exec, s[46:47]
	s_cbranch_execz .LBB2_361
.LBB2_1007:                             ;   in Loop: Header=BB2_350 Depth=4
	v_cmp_ne_u16_sdwa vcc, v12, v35 src0_sel:BYTE_0 src1_sel:DWORD
	s_andn2_b64 s[44:45], s[44:45], exec
	s_and_b64 vcc, vcc, exec
	v_mov_b32_e32 v16, 0
	s_or_b64 s[44:45], s[44:45], vcc
	s_or_b64 exec, exec, s[46:47]
	s_and_saveexec_b64 s[46:47], s[44:45]
	s_cbranch_execnz .LBB2_362
	s_branch .LBB2_363
.LBB2_1008:                             ;   in Loop: Header=BB2_350 Depth=4
	s_or_saveexec_b64 s[44:45], s[44:45]
	v_bfrev_b32_e32 v16, 1
	s_xor_b64 exec, exec, s[44:45]
	s_cbranch_execz .LBB2_375
.LBB2_1009:                             ;   in Loop: Header=BB2_350 Depth=4
	v_cmp_ne_u16_sdwa s[46:47], v12, v35 src0_sel:BYTE_0 src1_sel:DWORD
	s_andn2_b64 s[42:43], s[42:43], exec
	s_and_b64 s[46:47], s[46:47], exec
	v_mov_b32_e32 v16, 0
	s_or_b64 s[42:43], s[42:43], s[46:47]
	s_or_b64 exec, exec, s[44:45]
	s_and_saveexec_b64 s[44:45], s[42:43]
	s_cbranch_execnz .LBB2_376
	s_branch .LBB2_377
.LBB2_1010:                             ;   in Loop: Header=BB2_350 Depth=4
	s_or_saveexec_b64 s[46:47], s[46:47]
	v_bfrev_b32_e32 v18, 1
	s_xor_b64 exec, exec, s[46:47]
	s_cbranch_execz .LBB2_405
.LBB2_1011:                             ;   in Loop: Header=BB2_350 Depth=4
	v_cmp_ne_u16_e32 vcc, 0, v34
	s_andn2_b64 s[44:45], s[44:45], exec
	s_and_b64 vcc, vcc, exec
	v_mov_b32_e32 v18, 0
	s_or_b64 s[44:45], s[44:45], vcc
	s_or_b64 exec, exec, s[46:47]
	s_and_saveexec_b64 s[46:47], s[44:45]
	s_cbranch_execnz .LBB2_406
	s_branch .LBB2_407
.LBB2_1012:                             ;   in Loop: Header=BB2_350 Depth=4
	s_or_saveexec_b64 s[44:45], s[44:45]
	v_bfrev_b32_e32 v18, 1
	s_xor_b64 exec, exec, s[44:45]
	s_cbranch_execz .LBB2_419
.LBB2_1013:                             ;   in Loop: Header=BB2_350 Depth=4
	v_cmp_ne_u16_e32 vcc, 0, v34
	s_andn2_b64 s[42:43], s[42:43], exec
	s_and_b64 s[46:47], vcc, exec
	v_mov_b32_e32 v18, 0
	s_or_b64 s[42:43], s[42:43], s[46:47]
	s_or_b64 exec, exec, s[44:45]
	s_and_saveexec_b64 s[44:45], s[42:43]
	s_cbranch_execnz .LBB2_420
	s_branch .LBB2_421
.LBB2_1014:                             ;   in Loop: Header=BB2_350 Depth=4
	s_or_saveexec_b64 s[46:47], s[46:47]
	v_bfrev_b32_e32 v18, 1
	s_xor_b64 exec, exec, s[46:47]
	s_cbranch_execz .LBB2_449
.LBB2_1015:                             ;   in Loop: Header=BB2_350 Depth=4
	v_cmp_ne_u16_sdwa vcc, v30, v35 src0_sel:BYTE_0 src1_sel:DWORD
	s_andn2_b64 s[44:45], s[44:45], exec
	s_and_b64 vcc, vcc, exec
	v_mov_b32_e32 v18, 0
	s_or_b64 s[44:45], s[44:45], vcc
	s_or_b64 exec, exec, s[46:47]
	s_and_saveexec_b64 s[46:47], s[44:45]
	s_cbranch_execnz .LBB2_450
	s_branch .LBB2_451
.LBB2_1016:                             ;   in Loop: Header=BB2_350 Depth=4
	s_or_saveexec_b64 s[44:45], s[44:45]
	v_bfrev_b32_e32 v18, 1
	s_xor_b64 exec, exec, s[44:45]
	s_cbranch_execz .LBB2_463
.LBB2_1017:                             ;   in Loop: Header=BB2_350 Depth=4
	v_cmp_ne_u16_sdwa s[46:47], v30, v35 src0_sel:BYTE_0 src1_sel:DWORD
	s_andn2_b64 s[42:43], s[42:43], exec
	s_and_b64 s[46:47], s[46:47], exec
	v_mov_b32_e32 v18, 0
	s_or_b64 s[42:43], s[42:43], s[46:47]
	s_or_b64 exec, exec, s[44:45]
	s_and_saveexec_b64 s[44:45], s[42:43]
	s_cbranch_execnz .LBB2_464
	s_branch .LBB2_465
.LBB2_1018:                             ;   in Loop: Header=BB2_350 Depth=4
	s_or_saveexec_b64 s[46:47], s[46:47]
	v_bfrev_b32_e32 v18, 1
	s_xor_b64 exec, exec, s[46:47]
	s_cbranch_execz .LBB2_525
.LBB2_1019:                             ;   in Loop: Header=BB2_350 Depth=4
	v_cmp_ne_u16_sdwa vcc, v13, v35 src0_sel:BYTE_0 src1_sel:DWORD
	s_andn2_b64 s[44:45], s[44:45], exec
	s_and_b64 vcc, vcc, exec
	v_mov_b32_e32 v18, 0
	s_or_b64 s[44:45], s[44:45], vcc
	s_or_b64 exec, exec, s[46:47]
	s_and_saveexec_b64 s[46:47], s[44:45]
	s_cbranch_execnz .LBB2_526
	s_branch .LBB2_527
.LBB2_1020:                             ;   in Loop: Header=BB2_350 Depth=4
	s_or_saveexec_b64 s[44:45], s[44:45]
	v_bfrev_b32_e32 v18, 1
	s_xor_b64 exec, exec, s[44:45]
	s_cbranch_execz .LBB2_539
.LBB2_1021:                             ;   in Loop: Header=BB2_350 Depth=4
	v_cmp_ne_u16_sdwa s[46:47], v13, v35 src0_sel:BYTE_0 src1_sel:DWORD
	s_andn2_b64 s[42:43], s[42:43], exec
	s_and_b64 s[46:47], s[46:47], exec
	v_mov_b32_e32 v18, 0
	s_or_b64 s[42:43], s[42:43], s[46:47]
	s_or_b64 exec, exec, s[44:45]
	s_and_saveexec_b64 s[44:45], s[42:43]
	s_cbranch_execnz .LBB2_540
	s_branch .LBB2_541
.LBB2_1022:                             ;   in Loop: Header=BB2_350 Depth=4
	s_or_saveexec_b64 s[46:47], s[46:47]
	v_bfrev_b32_e32 v18, 1
	s_xor_b64 exec, exec, s[46:47]
	s_cbranch_execz .LBB2_569
.LBB2_1023:                             ;   in Loop: Header=BB2_350 Depth=4
	v_cmp_ne_u16_e32 vcc, 0, v34
	s_andn2_b64 s[44:45], s[44:45], exec
	s_and_b64 vcc, vcc, exec
	v_mov_b32_e32 v18, 0
	s_or_b64 s[44:45], s[44:45], vcc
	s_or_b64 exec, exec, s[46:47]
	s_and_saveexec_b64 s[46:47], s[44:45]
	s_cbranch_execnz .LBB2_570
	s_branch .LBB2_571
.LBB2_1024:                             ;   in Loop: Header=BB2_350 Depth=4
	s_or_saveexec_b64 s[44:45], s[44:45]
	v_bfrev_b32_e32 v18, 1
	s_xor_b64 exec, exec, s[44:45]
	s_cbranch_execz .LBB2_583
.LBB2_1025:                             ;   in Loop: Header=BB2_350 Depth=4
	v_cmp_ne_u16_e32 vcc, 0, v34
	s_andn2_b64 s[42:43], s[42:43], exec
	s_and_b64 s[46:47], vcc, exec
	v_mov_b32_e32 v18, 0
	s_or_b64 s[42:43], s[42:43], s[46:47]
	s_or_b64 exec, exec, s[44:45]
	s_and_saveexec_b64 s[44:45], s[42:43]
	s_cbranch_execnz .LBB2_584
	s_branch .LBB2_585
.LBB2_1026:                             ;   in Loop: Header=BB2_350 Depth=4
	s_or_saveexec_b64 s[46:47], s[46:47]
	v_bfrev_b32_e32 v19, 1
	s_xor_b64 exec, exec, s[46:47]
	s_cbranch_execz .LBB2_613
.LBB2_1027:                             ;   in Loop: Header=BB2_350 Depth=4
	v_cmp_ne_u16_sdwa vcc, v30, v35 src0_sel:BYTE_0 src1_sel:DWORD
	s_andn2_b64 s[44:45], s[44:45], exec
	s_and_b64 vcc, vcc, exec
	v_mov_b32_e32 v19, 0
	s_or_b64 s[44:45], s[44:45], vcc
	s_or_b64 exec, exec, s[46:47]
	s_and_saveexec_b64 s[46:47], s[44:45]
	s_cbranch_execnz .LBB2_614
	s_branch .LBB2_615
.LBB2_1028:                             ;   in Loop: Header=BB2_350 Depth=4
	s_or_saveexec_b64 s[44:45], s[44:45]
	v_bfrev_b32_e32 v19, 1
	s_xor_b64 exec, exec, s[44:45]
	s_cbranch_execz .LBB2_627
.LBB2_1029:                             ;   in Loop: Header=BB2_350 Depth=4
	v_cmp_ne_u16_sdwa s[46:47], v30, v35 src0_sel:BYTE_0 src1_sel:DWORD
	s_andn2_b64 s[42:43], s[42:43], exec
	s_and_b64 s[46:47], s[46:47], exec
	v_mov_b32_e32 v19, 0
	s_or_b64 s[42:43], s[42:43], s[46:47]
	s_or_b64 exec, exec, s[44:45]
	s_and_saveexec_b64 s[44:45], s[42:43]
	s_cbranch_execnz .LBB2_628
	s_branch .LBB2_629
.LBB2_1030:                             ;   in Loop: Header=BB2_350 Depth=4
	s_or_saveexec_b64 s[46:47], s[46:47]
	v_bfrev_b32_e32 v9, 1
	s_xor_b64 exec, exec, s[46:47]
	s_cbranch_execz .LBB2_689
.LBB2_1031:                             ;   in Loop: Header=BB2_350 Depth=4
	v_cmp_ne_u16_sdwa vcc, v14, v35 src0_sel:BYTE_0 src1_sel:DWORD
	s_andn2_b64 s[44:45], s[44:45], exec
	s_and_b64 vcc, vcc, exec
	v_mov_b32_e32 v9, 0
	s_or_b64 s[44:45], s[44:45], vcc
	s_or_b64 exec, exec, s[46:47]
	s_and_saveexec_b64 s[46:47], s[44:45]
	s_cbranch_execnz .LBB2_690
	s_branch .LBB2_691
.LBB2_1032:                             ;   in Loop: Header=BB2_350 Depth=4
	s_or_saveexec_b64 s[44:45], s[44:45]
	v_bfrev_b32_e32 v9, 1
	s_xor_b64 exec, exec, s[44:45]
	s_cbranch_execz .LBB2_703
.LBB2_1033:                             ;   in Loop: Header=BB2_350 Depth=4
	v_cmp_ne_u16_sdwa s[46:47], v14, v35 src0_sel:BYTE_0 src1_sel:DWORD
	s_andn2_b64 s[42:43], s[42:43], exec
	s_and_b64 s[46:47], s[46:47], exec
	v_mov_b32_e32 v9, 0
	s_or_b64 s[42:43], s[42:43], s[46:47]
	s_or_b64 exec, exec, s[44:45]
	s_and_saveexec_b64 s[44:45], s[42:43]
	s_cbranch_execnz .LBB2_704
	s_branch .LBB2_705
.LBB2_1034:                             ;   in Loop: Header=BB2_350 Depth=4
	s_or_saveexec_b64 s[46:47], s[46:47]
	v_bfrev_b32_e32 v12, 1
	s_xor_b64 exec, exec, s[46:47]
	s_cbranch_execz .LBB2_733
.LBB2_1035:                             ;   in Loop: Header=BB2_350 Depth=4
	v_cmp_ne_u16_e32 vcc, 0, v34
	s_andn2_b64 s[44:45], s[44:45], exec
	s_and_b64 vcc, vcc, exec
	v_mov_b32_e32 v12, 0
	s_or_b64 s[44:45], s[44:45], vcc
	s_or_b64 exec, exec, s[46:47]
	s_and_saveexec_b64 s[46:47], s[44:45]
	s_cbranch_execnz .LBB2_734
	s_branch .LBB2_735
.LBB2_1036:                             ;   in Loop: Header=BB2_350 Depth=4
	s_or_saveexec_b64 s[44:45], s[44:45]
	v_bfrev_b32_e32 v8, 1
	s_xor_b64 exec, exec, s[44:45]
	s_cbranch_execz .LBB2_747
.LBB2_1037:                             ;   in Loop: Header=BB2_350 Depth=4
	v_cmp_ne_u16_e32 vcc, 0, v34
	s_andn2_b64 s[42:43], s[42:43], exec
	s_and_b64 s[46:47], vcc, exec
	v_mov_b32_e32 v8, 0
	s_or_b64 s[42:43], s[42:43], s[46:47]
	s_or_b64 exec, exec, s[44:45]
	s_and_saveexec_b64 s[44:45], s[42:43]
	s_cbranch_execnz .LBB2_748
	s_branch .LBB2_749
.LBB2_1038:                             ;   in Loop: Header=BB2_350 Depth=4
	s_or_saveexec_b64 s[46:47], s[46:47]
	v_bfrev_b32_e32 v13, 1
	s_xor_b64 exec, exec, s[46:47]
	s_cbranch_execz .LBB2_777
.LBB2_1039:                             ;   in Loop: Header=BB2_350 Depth=4
	v_cmp_ne_u16_sdwa vcc, v8, v35 src0_sel:BYTE_0 src1_sel:DWORD
	s_andn2_b64 s[44:45], s[44:45], exec
	s_and_b64 vcc, vcc, exec
	v_mov_b32_e32 v13, 0
	s_or_b64 s[44:45], s[44:45], vcc
	s_or_b64 exec, exec, s[46:47]
	s_and_saveexec_b64 s[46:47], s[44:45]
	s_cbranch_execnz .LBB2_778
	s_branch .LBB2_779
.LBB2_1040:                             ;   in Loop: Header=BB2_350 Depth=4
	s_or_saveexec_b64 s[44:45], s[44:45]
	v_bfrev_b32_e32 v9, 1
	s_xor_b64 exec, exec, s[44:45]
	s_cbranch_execz .LBB2_791
.LBB2_1041:                             ;   in Loop: Header=BB2_350 Depth=4
	v_cmp_ne_u16_sdwa s[46:47], v8, v35 src0_sel:BYTE_0 src1_sel:DWORD
	s_andn2_b64 s[42:43], s[42:43], exec
	s_and_b64 s[46:47], s[46:47], exec
	v_mov_b32_e32 v9, 0
	s_or_b64 s[42:43], s[42:43], s[46:47]
	s_or_b64 exec, exec, s[44:45]
	s_and_saveexec_b64 s[44:45], s[42:43]
	s_cbranch_execnz .LBB2_792
	s_branch .LBB2_793
.LBB2_1042:                             ;   in Loop: Header=BB2_350 Depth=4
	s_or_saveexec_b64 s[46:47], s[46:47]
	v_bfrev_b32_e32 v13, 1
	s_xor_b64 exec, exec, s[46:47]
	s_cbranch_execz .LBB2_853
.LBB2_1043:                             ;   in Loop: Header=BB2_350 Depth=4
	v_cmp_ne_u16_sdwa vcc, v15, v35 src0_sel:BYTE_0 src1_sel:DWORD
	s_andn2_b64 s[44:45], s[44:45], exec
	s_and_b64 vcc, vcc, exec
	v_mov_b32_e32 v13, 0
	s_or_b64 s[44:45], s[44:45], vcc
	s_or_b64 exec, exec, s[46:47]
	s_and_saveexec_b64 s[46:47], s[44:45]
	s_cbranch_execnz .LBB2_854
	s_branch .LBB2_855
.LBB2_1044:                             ;   in Loop: Header=BB2_350 Depth=4
	s_or_saveexec_b64 s[44:45], s[44:45]
	v_bfrev_b32_e32 v13, 1
	s_xor_b64 exec, exec, s[44:45]
	s_cbranch_execz .LBB2_867
.LBB2_1045:                             ;   in Loop: Header=BB2_350 Depth=4
	v_cmp_ne_u16_sdwa s[46:47], v15, v35 src0_sel:BYTE_0 src1_sel:DWORD
	s_andn2_b64 s[42:43], s[42:43], exec
	s_and_b64 s[46:47], s[46:47], exec
	v_mov_b32_e32 v13, 0
	s_or_b64 s[42:43], s[42:43], s[46:47]
	s_or_b64 exec, exec, s[44:45]
	s_and_saveexec_b64 s[44:45], s[42:43]
	s_cbranch_execnz .LBB2_868
	s_branch .LBB2_869
.LBB2_1046:                             ;   in Loop: Header=BB2_350 Depth=4
	s_or_saveexec_b64 s[46:47], s[46:47]
	v_bfrev_b32_e32 v19, 1
	s_xor_b64 exec, exec, s[46:47]
	s_cbranch_execz .LBB2_897
.LBB2_1047:                             ;   in Loop: Header=BB2_350 Depth=4
	v_cmp_ne_u16_e32 vcc, 0, v8
	s_andn2_b64 s[44:45], s[44:45], exec
	s_and_b64 vcc, vcc, exec
	v_mov_b32_e32 v19, 0
	s_or_b64 s[44:45], s[44:45], vcc
	s_or_b64 exec, exec, s[46:47]
	s_and_saveexec_b64 s[46:47], s[44:45]
	s_cbranch_execnz .LBB2_898
	s_branch .LBB2_899
.LBB2_1048:                             ;   in Loop: Header=BB2_350 Depth=4
	s_or_saveexec_b64 s[44:45], s[44:45]
	v_bfrev_b32_e32 v12, 1
	s_xor_b64 exec, exec, s[44:45]
	s_cbranch_execz .LBB2_911
.LBB2_1049:                             ;   in Loop: Header=BB2_350 Depth=4
	v_cmp_ne_u16_e32 vcc, 0, v8
	s_andn2_b64 s[42:43], s[42:43], exec
	s_and_b64 s[46:47], vcc, exec
	v_mov_b32_e32 v12, 0
	s_or_b64 s[42:43], s[42:43], s[46:47]
	s_or_b64 exec, exec, s[44:45]
	s_and_saveexec_b64 s[44:45], s[42:43]
	s_cbranch_execnz .LBB2_912
	s_branch .LBB2_913
.LBB2_1050:                             ;   in Loop: Header=BB2_350 Depth=4
	s_or_saveexec_b64 s[46:47], s[46:47]
	v_bfrev_b32_e32 v24, 1
	s_xor_b64 exec, exec, s[46:47]
	s_cbranch_execz .LBB2_941
.LBB2_1051:                             ;   in Loop: Header=BB2_350 Depth=4
	v_cmp_ne_u16_sdwa vcc, v8, v35 src0_sel:BYTE_0 src1_sel:DWORD
	s_andn2_b64 s[44:45], s[44:45], exec
	s_and_b64 vcc, vcc, exec
	v_mov_b32_e32 v24, 0
	s_or_b64 s[44:45], s[44:45], vcc
	s_or_b64 exec, exec, s[46:47]
	s_and_saveexec_b64 s[46:47], s[44:45]
	s_cbranch_execnz .LBB2_942
	s_branch .LBB2_943
.LBB2_1052:                             ;   in Loop: Header=BB2_350 Depth=4
	s_or_saveexec_b64 s[44:45], s[44:45]
	v_bfrev_b32_e32 v9, 1
	s_xor_b64 exec, exec, s[44:45]
	s_cbranch_execz .LBB2_955
.LBB2_1053:                             ;   in Loop: Header=BB2_350 Depth=4
	v_cmp_ne_u16_sdwa s[46:47], v8, v35 src0_sel:BYTE_0 src1_sel:DWORD
	s_andn2_b64 s[42:43], s[42:43], exec
	s_and_b64 s[46:47], s[46:47], exec
	v_mov_b32_e32 v9, 0
	s_or_b64 s[42:43], s[42:43], s[46:47]
	s_or_b64 exec, exec, s[44:45]
	s_and_saveexec_b64 s[44:45], s[42:43]
	s_cbranch_execnz .LBB2_956
	s_branch .LBB2_957
.LBB2_1054:                             ;   in Loop: Header=BB2_272 Depth=3
	s_or_b64 exec, exec, s[48:49]
	buffer_load_dword v58, off, s[0:3], s33 offset:172 ; 4-byte Folded Reload
	buffer_load_dword v59, off, s[0:3], s33 offset:176 ; 4-byte Folded Reload
	;; [unrolled: 1-line block ×4, first 2 shown]
.LBB2_1055:                             ;   in Loop: Header=BB2_272 Depth=3
	s_or_b64 exec, exec, s[38:39]
	v_and_b32_e32 v1, 15, v38
	s_waitcnt vmcnt(0)
	v_cndmask_b32_e64 v16, v8, v1, s[28:29]
	v_mov_b32_e32 v6, 0
	v_cmp_ne_u32_e32 vcc, 0, v16
	s_mov_b64 s[40:41], 0
                                        ; implicit-def: $vgpr7
                                        ; implicit-def: $vgpr21
	s_and_saveexec_b64 s[38:39], vcc
	s_cbranch_execz .LBB2_1765
; %bb.1056:                             ;   in Loop: Header=BB2_272 Depth=3
	buffer_load_dword v3, off, s[0:3], s33 offset:148 ; 4-byte Folded Reload
	v_sub_u32_e32 v1, v8, v1
	v_cndmask_b32_e64 v1, 0, v1, s[28:29]
	v_cmp_lt_i32_e32 vcc, 0, v27
	v_add_u32_e32 v7, v1, v4
	v_cndmask_b32_e32 v1, 0, v17, vcc
	v_sub_u32_e32 v1, v1, v27
	s_waitcnt vmcnt(0)
	v_lshl_or_b32 v1, v1, 6, v3
	v_ashrrev_i32_e32 v3, 31, v1
	v_lshrrev_b32_e32 v3, 26, v3
	v_add_u32_e32 v3, v1, v3
	v_ashrrev_i32_e32 v4, 6, v3
	v_and_b32_e32 v3, 0xffffffc0, v3
	v_sub_u32_e32 v8, v1, v3
	v_ashrrev_i32_e32 v3, 31, v16
	v_lshrrev_b32_e32 v3, 22, v3
	v_add_u32_e32 v3, v16, v3
	v_and_b32_e32 v9, 0xfffffc00, v3
	v_lshlrev_b32_e32 v1, 4, v8
	v_sub_u32_e32 v10, v16, v9
	v_lshl_add_u32 v1, v4, 10, v1
	v_ashrrev_i32_e32 v6, 10, v3
	v_cmp_lt_i32_e64 s[28:29], 15, v10
	v_sub_u32_e32 v26, v16, v1
	v_addc_co_u32_e64 v3, vcc, 0, v6, s[28:29]
	v_sub_u32_e32 v27, v3, v4
	v_cmp_lt_i32_e32 vcc, 15, v26
	s_and_saveexec_b64 s[48:49], vcc
	s_cbranch_execz .LBB2_1764
; %bb.1057:                             ;   in Loop: Header=BB2_272 Depth=3
	buffer_store_dword v10, off, s[0:3], s33 offset:192 ; 4-byte Folded Spill
	buffer_store_dword v9, off, s[0:3], s33 offset:188 ; 4-byte Folded Spill
	;; [unrolled: 1-line block ×4, first 2 shown]
	v_add_u32_e32 v1, v1, v7
	s_trap 2
	ds_read_b64 v[6:7], v0
	v_ashrrev_i32_e32 v3, 31, v1
	v_add_co_u32_e32 v46, vcc, v1, v44
	v_addc_co_u32_e32 v47, vcc, v3, v45, vcc
	s_waitcnt lgkmcnt(0)
	v_add_co_u32_e32 v55, vcc, v6, v1
	v_addc_co_u32_e32 v56, vcc, v7, v3, vcc
	v_add_co_u32_e32 v57, vcc, v1, v42
	s_bitcmp1_b32 s70, 0
	v_addc_co_u32_e32 v58, vcc, v3, v43, vcc
	s_mov_b64 s[50:51], 0
	s_cselect_b64 s[52:53], -1, 0
	s_branch .LBB2_1059
.LBB2_1058:                             ;   in Loop: Header=BB2_1059 Depth=4
	s_or_b64 exec, exec, s[40:41]
	v_lshl_or_b32 v3, v31, 8, v61
	v_lshlrev_b32_e32 v4, 16, v59
	v_lshlrev_b32_e32 v9, 24, v30
	v_or3_b32 v10, v3, v4, v9
	v_lshl_or_b32 v3, v21, 8, v6
	v_lshlrev_b32_e32 v4, 16, v36
	v_lshlrev_b32_e32 v6, 24, v39
	v_add_co_u32_e32 v46, vcc, v46, v5
	v_or3_b32 v9, v3, v4, v6
	v_lshl_or_b32 v1, v1, 8, v60
	v_lshlrev_b32_e32 v3, 16, v7
	v_lshlrev_b32_e32 v4, 24, v24
	v_addc_co_u32_e32 v47, vcc, 0, v47, vcc
	v_or3_b32 v11, v1, v3, v4
	v_lshlrev_b32_e32 v1, 24, v8
	v_lshlrev_b32_e32 v3, 16, v12
	v_lshl_or_b32 v4, v19, 8, v18
	v_add_co_u32_e32 v55, vcc, v55, v5
	v_or3_b32 v12, v4, v3, v1
	v_addc_co_u32_e32 v56, vcc, 0, v56, vcc
	global_store_dwordx4 v[57:58], v[9:12], off glc slc
	v_add_co_u32_e32 v57, vcc, v57, v5
	v_addc_co_u32_e32 v58, vcc, 0, v58, vcc
	v_sub_u32_e32 v26, v26, v5
	v_cmp_gt_i32_e32 vcc, 16, v26
	s_or_b64 s[50:51], vcc, s[50:51]
	v_sub_u32_e32 v27, v27, v17
	s_andn2_b64 exec, exec, s[50:51]
	s_cbranch_execz .LBB2_1763
.LBB2_1059:                             ;   Parent Loop BB2_47 Depth=1
                                        ;     Parent Loop BB2_269 Depth=2
                                        ;       Parent Loop BB2_272 Depth=3
                                        ; =>      This Inner Loop Header: Depth=4
	global_load_dwordx4 v[8:11], v[46:47], off glc slc
	global_load_dwordx4 v[12:15], v[55:56], off glc slc
	s_mov_b64 s[44:45], -1
	s_waitcnt vmcnt(1)
	v_cmp_ne_u16_sdwa s[42:43], v8, v35 src0_sel:BYTE_0 src1_sel:DWORD
	s_waitcnt vmcnt(0)
	v_and_b32_e32 v1, 7, v12
	v_ffbh_u32_e32 v1, v1
	v_and_b32_e32 v3, 0x7f, v12
	v_min_u32_e32 v1, 32, v1
	v_cmp_eq_u32_e64 s[40:41], s97, v3
	v_cmp_gt_u32_e32 vcc, 8, v3
	v_subrev_u32_e32 v3, 28, v1
	v_cndmask_b32_e32 v3, 0, v3, vcc
	v_lshlrev_b64 v[6:7], v3, v[12:13]
	v_bfe_u32 v4, v12, 3, 4
	v_sub_u32_e32 v1, 29, v1
	v_cndmask_b32_e32 v1, v4, v1, vcc
	v_lshlrev_b32_e32 v3, 20, v6
	v_lshlrev_b32_e32 v4, 24, v12
	v_and_b32_e32 v3, 0x700000, v3
	v_and_b32_e32 v4, 0x80000000, v4
	v_lshl_add_u32 v1, v1, 23, v48
	v_or3_b32 v1, v4, v1, v3
	s_and_b64 vcc, exec, s[52:53]
                                        ; implicit-def: $vgpr7
	s_cbranch_vccz .LBB2_1073
; %bb.1060:                             ;   in Loop: Header=BB2_1059 Depth=4
	v_mov_b32_e32 v6, 0
	s_and_saveexec_b64 s[44:45], s[42:43]
	s_cbranch_execz .LBB2_1066
; %bb.1061:                             ;   in Loop: Header=BB2_1059 Depth=4
	v_cmp_ne_u16_sdwa vcc, v8, s59 src0_sel:BYTE_0 src1_sel:DWORD
	v_bfrev_b32_e32 v6, 1
	s_and_saveexec_b64 s[46:47], vcc
	s_cbranch_execz .LBB2_1065
; %bb.1062:                             ;   in Loop: Header=BB2_1059 Depth=4
	v_and_b32_e32 v7, 0x7f, v8
	v_cmp_ne_u32_e32 vcc, s97, v7
	v_mov_b32_e32 v6, 0x7f800001
	s_and_saveexec_b64 s[54:55], vcc
	s_cbranch_execz .LBB2_1064
; %bb.1063:                             ;   in Loop: Header=BB2_1059 Depth=4
	v_and_b32_e32 v3, 7, v8
	v_ffbh_u32_e32 v3, v3
	v_min_u32_e32 v3, 32, v3
	v_lshrrev_b32_e32 v4, 3, v7
	v_cmp_gt_u32_e32 vcc, 8, v7
	v_subrev_u32_e32 v6, 28, v3
	v_sub_u32_e32 v3, 29, v3
	v_cndmask_b32_e32 v3, v4, v3, vcc
	v_cndmask_b32_e32 v4, 0, v6, vcc
	v_lshlrev_b64 v[6:7], v4, v[8:9]
	v_lshl_add_u32 v3, v3, 23, v48
	v_lshlrev_b32_e32 v4, 20, v6
	v_lshlrev_b32_e32 v6, 24, v8
	v_and_b32_e32 v4, 0x700000, v4
	v_and_b32_e32 v6, 0x80000000, v6
	v_or3_b32 v6, v6, v3, v4
.LBB2_1064:                             ;   in Loop: Header=BB2_1059 Depth=4
	s_or_b64 exec, exec, s[54:55]
.LBB2_1065:                             ;   in Loop: Header=BB2_1059 Depth=4
	s_or_b64 exec, exec, s[46:47]
.LBB2_1066:                             ;   in Loop: Header=BB2_1059 Depth=4
	s_or_b64 exec, exec, s[44:45]
	v_cmp_gt_i16_sdwa s[46:47], v12, s97 src0_sel:BYTE_0 src1_sel:DWORD
	s_mov_b64 s[44:45], 0
	s_and_saveexec_b64 vcc, s[46:47]
	s_xor_b64 s[46:47], exec, vcc
	s_cbranch_execz .LBB2_1715
; %bb.1067:                             ;   in Loop: Header=BB2_1059 Depth=4
	v_cmp_eq_u16_sdwa s[54:55], v12, s59 src0_sel:BYTE_0 src1_sel:DWORD
	s_mov_b64 s[44:45], -1
	s_and_saveexec_b64 vcc, s[54:55]
; %bb.1068:                             ;   in Loop: Header=BB2_1059 Depth=4
	s_xor_b64 s[44:45], exec, -1
; %bb.1069:                             ;   in Loop: Header=BB2_1059 Depth=4
	s_or_b64 exec, exec, vcc
	s_and_b64 s[44:45], s[44:45], exec
	s_or_saveexec_b64 s[46:47], s[46:47]
	v_bfrev_b32_e32 v7, 1
	s_xor_b64 exec, exec, s[46:47]
	s_cbranch_execnz .LBB2_1716
.LBB2_1070:                             ;   in Loop: Header=BB2_1059 Depth=4
	s_or_b64 exec, exec, s[46:47]
	s_and_saveexec_b64 s[46:47], s[44:45]
.LBB2_1071:                             ;   in Loop: Header=BB2_1059 Depth=4
	v_cndmask_b32_e64 v7, v1, v49, s[40:41]
.LBB2_1072:                             ;   in Loop: Header=BB2_1059 Depth=4
	s_or_b64 exec, exec, s[46:47]
	v_max_f32_e32 v3, v7, v7
	v_max_f32_e32 v4, v6, v6
	;; [unrolled: 1-line block ×3, first 2 shown]
	s_mov_b64 s[44:45], 0
.LBB2_1073:                             ;   in Loop: Header=BB2_1059 Depth=4
	s_and_b64 vcc, exec, s[44:45]
	s_cbranch_vccz .LBB2_1087
; %bb.1074:                             ;   in Loop: Header=BB2_1059 Depth=4
	v_mov_b32_e32 v6, 0
	s_and_saveexec_b64 s[44:45], s[42:43]
	s_cbranch_execz .LBB2_1080
; %bb.1075:                             ;   in Loop: Header=BB2_1059 Depth=4
	v_cmp_ne_u16_sdwa s[46:47], v8, s59 src0_sel:BYTE_0 src1_sel:DWORD
	v_bfrev_b32_e32 v6, 1
	s_and_saveexec_b64 s[42:43], s[46:47]
	s_cbranch_execz .LBB2_1079
; %bb.1076:                             ;   in Loop: Header=BB2_1059 Depth=4
	v_and_b32_e32 v7, 0x7f, v8
	v_cmp_ne_u32_e32 vcc, s97, v7
	v_mov_b32_e32 v6, 0x7f800001
	s_and_saveexec_b64 s[46:47], vcc
	s_cbranch_execz .LBB2_1078
; %bb.1077:                             ;   in Loop: Header=BB2_1059 Depth=4
	v_and_b32_e32 v3, 7, v8
	v_ffbh_u32_e32 v3, v3
	v_min_u32_e32 v3, 32, v3
	v_lshrrev_b32_e32 v4, 3, v7
	v_cmp_gt_u32_e32 vcc, 8, v7
	v_subrev_u32_e32 v6, 28, v3
	v_sub_u32_e32 v3, 29, v3
	v_cndmask_b32_e32 v3, v4, v3, vcc
	v_cndmask_b32_e32 v4, 0, v6, vcc
	v_lshlrev_b64 v[6:7], v4, v[8:9]
	v_lshl_add_u32 v3, v3, 23, v48
	v_lshlrev_b32_e32 v4, 20, v6
	v_lshlrev_b32_e32 v6, 24, v8
	v_and_b32_e32 v4, 0x700000, v4
	v_and_b32_e32 v6, 0x80000000, v6
	v_or3_b32 v6, v6, v3, v4
.LBB2_1078:                             ;   in Loop: Header=BB2_1059 Depth=4
	s_or_b64 exec, exec, s[46:47]
.LBB2_1079:                             ;   in Loop: Header=BB2_1059 Depth=4
	s_or_b64 exec, exec, s[42:43]
.LBB2_1080:                             ;   in Loop: Header=BB2_1059 Depth=4
	s_or_b64 exec, exec, s[44:45]
	v_cmp_gt_i16_sdwa s[44:45], v12, s97 src0_sel:BYTE_0 src1_sel:DWORD
	s_mov_b64 s[42:43], 0
	s_and_saveexec_b64 s[46:47], s[44:45]
	s_xor_b64 s[44:45], exec, s[46:47]
	s_cbranch_execz .LBB2_1717
; %bb.1081:                             ;   in Loop: Header=BB2_1059 Depth=4
	v_cmp_eq_u16_sdwa vcc, v12, s59 src0_sel:BYTE_0 src1_sel:DWORD
	s_mov_b64 s[42:43], -1
	s_and_saveexec_b64 s[46:47], vcc
; %bb.1082:                             ;   in Loop: Header=BB2_1059 Depth=4
	s_xor_b64 s[42:43], exec, -1
; %bb.1083:                             ;   in Loop: Header=BB2_1059 Depth=4
	s_or_b64 exec, exec, s[46:47]
	s_and_b64 s[42:43], s[42:43], exec
	s_or_saveexec_b64 s[44:45], s[44:45]
	v_bfrev_b32_e32 v7, 1
	s_xor_b64 exec, exec, s[44:45]
	s_cbranch_execnz .LBB2_1718
.LBB2_1084:                             ;   in Loop: Header=BB2_1059 Depth=4
	s_or_b64 exec, exec, s[44:45]
	s_and_saveexec_b64 s[44:45], s[42:43]
.LBB2_1085:                             ;   in Loop: Header=BB2_1059 Depth=4
	v_cndmask_b32_e64 v7, v1, v49, s[40:41]
.LBB2_1086:                             ;   in Loop: Header=BB2_1059 Depth=4
	s_or_b64 exec, exec, s[44:45]
	v_max_f32_e32 v1, v7, v7
	v_max_f32_e32 v3, v6, v6
	v_min_f32_e32 v7, v3, v1
.LBB2_1087:                             ;   in Loop: Header=BB2_1059 Depth=4
	v_and_b32_e32 v34, 0x7f800000, v7
	v_cmp_ne_u64_e32 vcc, s[90:91], v[34:35]
                                        ; implicit-def: $vgpr6
	s_and_saveexec_b64 s[40:41], vcc
	s_xor_b64 s[42:43], exec, s[40:41]
	s_cbranch_execz .LBB2_1101
; %bb.1088:                             ;   in Loop: Header=BB2_1059 Depth=4
	v_and_b32_e32 v34, 0x7fffffff, v7
	v_cmp_gt_u64_e32 vcc, s[92:93], v[34:35]
	v_and_b32_sdwa v1, v7, s59 dst_sel:DWORD dst_unused:UNUSED_PAD src0_sel:BYTE_3 src1_sel:DWORD
                                        ; implicit-def: $vgpr6
	s_and_saveexec_b64 s[40:41], vcc
	s_xor_b64 s[44:45], exec, s[40:41]
	s_cbranch_execz .LBB2_1098
; %bb.1089:                             ;   in Loop: Header=BB2_1059 Depth=4
	v_mov_b32_e32 v6, 0
	v_cmp_ne_u32_e32 vcc, 0, v7
	s_and_saveexec_b64 s[46:47], vcc
	s_cbranch_execz .LBB2_1097
; %bb.1090:                             ;   in Loop: Header=BB2_1059 Depth=4
	v_bfe_u32 v6, v7, 23, 8
	v_cmp_gt_u32_e64 s[40:41], s56, v6
	v_sub_u32_e32 v4, 0x79, v6
	v_and_b32_e32 v3, 0x7fffff, v7
	v_cmp_eq_u32_e32 vcc, 0, v6
	v_cndmask_b32_e64 v4, 0, v4, s[40:41]
	v_mov_b32_e32 v7, 0x78
	v_or_b32_e32 v18, 0x800000, v3
	v_cndmask_b32_e32 v7, v4, v7, vcc
	v_cndmask_b32_e32 v34, v18, v3, vcc
	v_add_u32_e32 v3, 20, v7
	v_lshlrev_b64 v[18:19], v3, -1
	v_add_u32_e32 v3, 19, v7
	v_lshlrev_b64 v[24:25], v3, 1
	v_bfi_b32 v19, v19, 0, 0
	v_bfi_b32 v18, v18, 0, v34
	v_lshrrev_b64 v[59:60], v7, v[34:35]
	v_cmp_eq_u64_e64 s[40:41], v[18:19], v[24:25]
	v_mov_b32_e32 v18, v59
	v_mov_b32_e32 v19, v60
	s_and_saveexec_b64 s[54:55], s[40:41]
; %bb.1091:                             ;   in Loop: Header=BB2_1059 Depth=4
	v_bfe_u32 v3, v59, 20, 1
	v_add_co_u32_e64 v3, s[40:41], v59, v3
	v_add_co_u32_e64 v18, s[40:41], -1, v3
; %bb.1092:                             ;   in Loop: Header=BB2_1059 Depth=4
	s_or_b64 exec, exec, s[54:55]
	v_add_u32_e32 v3, 0xffffff81, v6
	v_cndmask_b32_e32 v3, v3, v52, vcc
	v_lshrrev_b32_e32 v4, 23, v59
	v_add3_u32 v19, v7, v3, v4
	v_add_u32_e32 v7, 6, v19
	v_and_b32_e32 v3, 0xfffff, v18
	v_add_u32_e32 v34, v3, v59
	v_cmp_ne_u32_e32 vcc, 0, v7
                                        ; implicit-def: $vgpr59_vgpr60
                                        ; implicit-def: $vgpr6
	s_and_saveexec_b64 s[40:41], vcc
	s_xor_b64 s[40:41], exec, s[40:41]
; %bb.1093:                             ;   in Loop: Header=BB2_1059 Depth=4
	v_cmp_lt_u64_e32 vcc, s[94:95], v[34:35]
	v_add_u32_e32 v3, 7, v19
	v_cndmask_b32_e32 v6, v7, v3, vcc
	v_cndmask_b32_e64 v3, 0, 1, vcc
	v_lshrrev_b64 v[59:60], v3, v[34:35]
; %bb.1094:                             ;   in Loop: Header=BB2_1059 Depth=4
	s_andn2_saveexec_b64 s[40:41], s[40:41]
; %bb.1095:                             ;   in Loop: Header=BB2_1059 Depth=4
	v_mov_b32_e32 v60, v35
	v_bfe_u32 v6, v34, 23, 1
	v_mov_b32_e32 v59, v34
; %bb.1096:                             ;   in Loop: Header=BB2_1059 Depth=4
	s_or_b64 exec, exec, s[40:41]
	v_lshrrev_b64 v[18:19], 20, v[59:60]
	v_cmp_gt_i32_e32 vcc, 16, v6
	v_cndmask_b32_e32 v19, 0, v19, vcc
	v_cndmask_b32_e32 v18, 7, v18, vcc
	v_min_i32_e32 v3, 15, v6
	v_cmp_eq_u64_e64 s[40:41], 0, v[18:19]
	v_lshlrev_b32_e32 v3, 3, v3
	v_cmp_eq_u32_e32 vcc, 0, v6
	v_and_b32_e32 v3, 0xf8, v3
	v_and_or_b32 v3, v18, 7, v3
	s_and_b64 s[40:41], vcc, s[40:41]
	v_cndmask_b32_e64 v3, v3, 0, s[40:41]
	v_or_b32_e32 v6, v3, v1
.LBB2_1097:                             ;   in Loop: Header=BB2_1059 Depth=4
	s_or_b64 exec, exec, s[46:47]
                                        ; implicit-def: $vgpr1
.LBB2_1098:                             ;   in Loop: Header=BB2_1059 Depth=4
	s_andn2_saveexec_b64 s[40:41], s[44:45]
; %bb.1099:                             ;   in Loop: Header=BB2_1059 Depth=4
	v_or_b32_e32 v6, 0x7e, v1
; %bb.1100:                             ;   in Loop: Header=BB2_1059 Depth=4
	s_or_b64 exec, exec, s[40:41]
                                        ; implicit-def: $vgpr7
.LBB2_1101:                             ;   in Loop: Header=BB2_1059 Depth=4
	s_andn2_saveexec_b64 s[40:41], s[42:43]
; %bb.1102:                             ;   in Loop: Header=BB2_1059 Depth=4
	v_or_b32_sdwa v6, v7, s97 dst_sel:DWORD dst_unused:UNUSED_PAD src0_sel:BYTE_3 src1_sel:DWORD
; %bb.1103:                             ;   in Loop: Header=BB2_1059 Depth=4
	s_or_b64 exec, exec, s[40:41]
	v_lshrrev_b16_e32 v34, 8, v12
	v_and_b32_e32 v1, 7, v34
	v_and_b32_e32 v3, 0x7f, v34
	v_cmp_eq_u32_e64 s[40:41], s97, v3
	v_cmp_gt_u32_e32 vcc, 8, v3
	v_ffbh_u32_e32 v3, v1
	v_min_u32_e32 v3, 32, v3
	v_subrev_u32_e32 v7, 28, v3
	v_lshlrev_b64 v[18:19], v7, v[34:35]
	v_bfe_u32 v4, v34, 3, 4
	v_sub_u32_e32 v3, 29, v3
	v_and_b32_e32 v7, 7, v18
	v_cndmask_b32_e32 v3, v4, v3, vcc
	v_cndmask_b32_e32 v1, v1, v7, vcc
	v_lshlrev_b32_e32 v4, 24, v34
	v_lshlrev_b32_e32 v1, 20, v1
	v_and_b32_e32 v4, 0x80000000, v4
	v_lshl_add_u32 v3, v3, 23, v48
	v_lshrrev_b16_e32 v30, 8, v8
	v_or3_b32 v1, v4, v3, v1
	v_cmp_ne_u16_e64 s[42:43], 0, v30
	s_mov_b64 s[44:45], -1
	s_and_b64 vcc, exec, s[52:53]
                                        ; implicit-def: $vgpr7
	s_cbranch_vccz .LBB2_1117
; %bb.1104:                             ;   in Loop: Header=BB2_1059 Depth=4
	v_mov_b32_e32 v7, 0
	s_and_saveexec_b64 s[44:45], s[42:43]
	s_cbranch_execz .LBB2_1110
; %bb.1105:                             ;   in Loop: Header=BB2_1059 Depth=4
	v_cmp_ne_u16_e32 vcc, s59, v30
	v_bfrev_b32_e32 v7, 1
	s_and_saveexec_b64 s[46:47], vcc
	s_cbranch_execz .LBB2_1109
; %bb.1106:                             ;   in Loop: Header=BB2_1059 Depth=4
	v_and_b32_e32 v18, 0x7f, v30
	v_cmp_ne_u32_e32 vcc, s97, v18
	v_mov_b32_e32 v7, 0x7f800001
	s_and_saveexec_b64 s[54:55], vcc
	s_cbranch_execz .LBB2_1108
; %bb.1107:                             ;   in Loop: Header=BB2_1059 Depth=4
	v_and_b32_e32 v3, 7, v30
	v_ffbh_u32_e32 v7, v3
	v_min_u32_e32 v7, 32, v7
	v_lshrrev_b32_e32 v4, 3, v18
	v_cmp_gt_u32_e32 vcc, 8, v18
	v_subrev_u32_e32 v18, 28, v7
	v_lshlrev_b64 v[18:19], v18, v[30:31]
	v_sub_u32_e32 v7, 29, v7
	v_and_b32_e32 v18, 7, v18
	v_cndmask_b32_e32 v4, v4, v7, vcc
	v_cndmask_b32_e32 v3, v3, v18, vcc
	v_lshlrev_b32_e32 v7, 16, v8
	v_lshlrev_b32_e32 v3, 20, v3
	v_and_b32_e32 v7, 0x80000000, v7
	v_lshl_add_u32 v4, v4, 23, v48
	v_or3_b32 v7, v7, v4, v3
.LBB2_1108:                             ;   in Loop: Header=BB2_1059 Depth=4
	s_or_b64 exec, exec, s[54:55]
.LBB2_1109:                             ;   in Loop: Header=BB2_1059 Depth=4
	s_or_b64 exec, exec, s[46:47]
.LBB2_1110:                             ;   in Loop: Header=BB2_1059 Depth=4
	s_or_b64 exec, exec, s[44:45]
	v_cmp_lt_i16_e32 vcc, s97, v34
	s_mov_b64 s[44:45], 0
	s_and_saveexec_b64 s[46:47], vcc
	s_xor_b64 s[46:47], exec, s[46:47]
	s_cbranch_execz .LBB2_1719
; %bb.1111:                             ;   in Loop: Header=BB2_1059 Depth=4
	v_cmp_eq_u16_e32 vcc, s59, v34
	s_mov_b64 s[44:45], -1
	s_and_saveexec_b64 s[54:55], vcc
; %bb.1112:                             ;   in Loop: Header=BB2_1059 Depth=4
	s_xor_b64 s[44:45], exec, -1
; %bb.1113:                             ;   in Loop: Header=BB2_1059 Depth=4
	s_or_b64 exec, exec, s[54:55]
	s_and_b64 s[44:45], s[44:45], exec
	s_or_saveexec_b64 s[46:47], s[46:47]
	v_bfrev_b32_e32 v18, 1
	s_xor_b64 exec, exec, s[46:47]
	s_cbranch_execnz .LBB2_1720
.LBB2_1114:                             ;   in Loop: Header=BB2_1059 Depth=4
	s_or_b64 exec, exec, s[46:47]
	s_and_saveexec_b64 s[46:47], s[44:45]
.LBB2_1115:                             ;   in Loop: Header=BB2_1059 Depth=4
	v_cndmask_b32_e64 v18, v1, v49, s[40:41]
.LBB2_1116:                             ;   in Loop: Header=BB2_1059 Depth=4
	s_or_b64 exec, exec, s[46:47]
	v_max_f32_e32 v3, v18, v18
	v_max_f32_e32 v4, v7, v7
	;; [unrolled: 1-line block ×3, first 2 shown]
	s_mov_b64 s[44:45], 0
.LBB2_1117:                             ;   in Loop: Header=BB2_1059 Depth=4
	s_and_b64 vcc, exec, s[44:45]
	s_cbranch_vccz .LBB2_1131
; %bb.1118:                             ;   in Loop: Header=BB2_1059 Depth=4
	v_mov_b32_e32 v7, 0
	s_and_saveexec_b64 s[44:45], s[42:43]
	s_cbranch_execz .LBB2_1124
; %bb.1119:                             ;   in Loop: Header=BB2_1059 Depth=4
	v_cmp_ne_u16_e32 vcc, s59, v30
	v_bfrev_b32_e32 v7, 1
	s_and_saveexec_b64 s[42:43], vcc
	s_cbranch_execz .LBB2_1123
; %bb.1120:                             ;   in Loop: Header=BB2_1059 Depth=4
	v_and_b32_e32 v18, 0x7f, v30
	v_cmp_ne_u32_e32 vcc, s97, v18
	v_mov_b32_e32 v7, 0x7f800001
	s_and_saveexec_b64 s[46:47], vcc
	s_cbranch_execz .LBB2_1122
; %bb.1121:                             ;   in Loop: Header=BB2_1059 Depth=4
	v_and_b32_e32 v3, 7, v30
	v_ffbh_u32_e32 v7, v3
	v_min_u32_e32 v7, 32, v7
	v_lshrrev_b32_e32 v4, 3, v18
	v_cmp_gt_u32_e32 vcc, 8, v18
	v_subrev_u32_e32 v18, 28, v7
	v_lshlrev_b64 v[18:19], v18, v[30:31]
	v_sub_u32_e32 v7, 29, v7
	v_and_b32_e32 v18, 7, v18
	v_cndmask_b32_e32 v4, v4, v7, vcc
	v_cndmask_b32_e32 v3, v3, v18, vcc
	v_lshlrev_b32_e32 v7, 16, v8
	v_lshlrev_b32_e32 v3, 20, v3
	v_and_b32_e32 v7, 0x80000000, v7
	v_lshl_add_u32 v4, v4, 23, v48
	v_or3_b32 v7, v7, v4, v3
.LBB2_1122:                             ;   in Loop: Header=BB2_1059 Depth=4
	s_or_b64 exec, exec, s[46:47]
.LBB2_1123:                             ;   in Loop: Header=BB2_1059 Depth=4
	s_or_b64 exec, exec, s[42:43]
.LBB2_1124:                             ;   in Loop: Header=BB2_1059 Depth=4
	s_or_b64 exec, exec, s[44:45]
	v_cmp_lt_i16_e32 vcc, s97, v34
	s_mov_b64 s[42:43], 0
	s_and_saveexec_b64 s[44:45], vcc
	s_xor_b64 s[44:45], exec, s[44:45]
	s_cbranch_execz .LBB2_1721
; %bb.1125:                             ;   in Loop: Header=BB2_1059 Depth=4
	v_cmp_eq_u16_e32 vcc, s59, v34
	s_mov_b64 s[42:43], -1
	s_and_saveexec_b64 s[46:47], vcc
; %bb.1126:                             ;   in Loop: Header=BB2_1059 Depth=4
	s_xor_b64 s[42:43], exec, -1
; %bb.1127:                             ;   in Loop: Header=BB2_1059 Depth=4
	s_or_b64 exec, exec, s[46:47]
	s_and_b64 s[42:43], s[42:43], exec
	s_or_saveexec_b64 s[44:45], s[44:45]
	v_bfrev_b32_e32 v18, 1
	s_xor_b64 exec, exec, s[44:45]
	s_cbranch_execnz .LBB2_1722
.LBB2_1128:                             ;   in Loop: Header=BB2_1059 Depth=4
	s_or_b64 exec, exec, s[44:45]
	s_and_saveexec_b64 s[44:45], s[42:43]
.LBB2_1129:                             ;   in Loop: Header=BB2_1059 Depth=4
	v_cndmask_b32_e64 v18, v1, v49, s[40:41]
.LBB2_1130:                             ;   in Loop: Header=BB2_1059 Depth=4
	s_or_b64 exec, exec, s[44:45]
	v_max_f32_e32 v1, v18, v18
	v_max_f32_e32 v3, v7, v7
	v_min_f32_e32 v7, v3, v1
.LBB2_1131:                             ;   in Loop: Header=BB2_1059 Depth=4
	v_and_b32_e32 v34, 0x7f800000, v7
	v_cmp_ne_u64_e32 vcc, s[90:91], v[34:35]
                                        ; implicit-def: $vgpr21
	s_and_saveexec_b64 s[40:41], vcc
	s_xor_b64 s[42:43], exec, s[40:41]
	s_cbranch_execz .LBB2_1145
; %bb.1132:                             ;   in Loop: Header=BB2_1059 Depth=4
	v_and_b32_e32 v34, 0x7fffffff, v7
	v_cmp_gt_u64_e32 vcc, s[92:93], v[34:35]
	v_and_b32_sdwa v1, v7, s59 dst_sel:DWORD dst_unused:UNUSED_PAD src0_sel:BYTE_3 src1_sel:DWORD
                                        ; implicit-def: $vgpr21
	s_and_saveexec_b64 s[40:41], vcc
	s_xor_b64 s[44:45], exec, s[40:41]
	s_cbranch_execz .LBB2_1142
; %bb.1133:                             ;   in Loop: Header=BB2_1059 Depth=4
	v_mov_b32_e32 v21, 0
	v_cmp_ne_u32_e32 vcc, 0, v7
	s_and_saveexec_b64 s[46:47], vcc
	s_cbranch_execz .LBB2_1141
; %bb.1134:                             ;   in Loop: Header=BB2_1059 Depth=4
	v_and_b32_e32 v3, 0x7fffff, v7
	v_bfe_u32 v7, v7, 23, 8
	v_cmp_gt_u32_e64 s[40:41], s56, v7
	v_sub_u32_e32 v4, 0x79, v7
	v_cmp_eq_u32_e32 vcc, 0, v7
	v_cndmask_b32_e64 v4, 0, v4, s[40:41]
	v_mov_b32_e32 v19, 0x78
	v_or_b32_e32 v18, 0x800000, v3
	v_cndmask_b32_e32 v21, v4, v19, vcc
	v_cndmask_b32_e32 v34, v18, v3, vcc
	v_add_u32_e32 v3, 20, v21
	v_lshlrev_b64 v[18:19], v3, -1
	v_add_u32_e32 v3, 19, v21
	v_lshlrev_b64 v[24:25], v3, 1
	v_bfi_b32 v19, v19, 0, 0
	v_bfi_b32 v18, v18, 0, v34
	v_lshrrev_b64 v[59:60], v21, v[34:35]
	v_cmp_eq_u64_e64 s[40:41], v[18:19], v[24:25]
	v_mov_b32_e32 v18, v59
	v_mov_b32_e32 v19, v60
	s_and_saveexec_b64 s[54:55], s[40:41]
; %bb.1135:                             ;   in Loop: Header=BB2_1059 Depth=4
	v_bfe_u32 v3, v59, 20, 1
	v_add_co_u32_e64 v3, s[40:41], v59, v3
	v_add_co_u32_e64 v18, s[40:41], -1, v3
; %bb.1136:                             ;   in Loop: Header=BB2_1059 Depth=4
	s_or_b64 exec, exec, s[54:55]
	v_add_u32_e32 v3, 0xffffff81, v7
	v_cndmask_b32_e32 v3, v3, v52, vcc
	v_lshrrev_b32_e32 v4, 23, v59
	v_add3_u32 v21, v21, v3, v4
	v_add_u32_e32 v19, 6, v21
	v_and_b32_e32 v3, 0xfffff, v18
	v_add_u32_e32 v34, v3, v59
	v_cmp_ne_u32_e32 vcc, 0, v19
                                        ; implicit-def: $vgpr59_vgpr60
                                        ; implicit-def: $vgpr7
	s_and_saveexec_b64 s[40:41], vcc
	s_xor_b64 s[40:41], exec, s[40:41]
; %bb.1137:                             ;   in Loop: Header=BB2_1059 Depth=4
	v_cmp_lt_u64_e32 vcc, s[94:95], v[34:35]
	v_add_u32_e32 v3, 7, v21
	v_cndmask_b32_e32 v7, v19, v3, vcc
	v_cndmask_b32_e64 v3, 0, 1, vcc
	v_lshrrev_b64 v[59:60], v3, v[34:35]
; %bb.1138:                             ;   in Loop: Header=BB2_1059 Depth=4
	s_andn2_saveexec_b64 s[40:41], s[40:41]
; %bb.1139:                             ;   in Loop: Header=BB2_1059 Depth=4
	v_mov_b32_e32 v60, v35
	v_bfe_u32 v7, v34, 23, 1
	v_mov_b32_e32 v59, v34
; %bb.1140:                             ;   in Loop: Header=BB2_1059 Depth=4
	s_or_b64 exec, exec, s[40:41]
	v_lshrrev_b64 v[18:19], 20, v[59:60]
	v_cmp_gt_i32_e32 vcc, 16, v7
	v_cndmask_b32_e32 v19, 0, v19, vcc
	v_cndmask_b32_e32 v18, 7, v18, vcc
	v_min_i32_e32 v3, 15, v7
	v_cmp_eq_u64_e64 s[40:41], 0, v[18:19]
	v_lshlrev_b32_e32 v3, 3, v3
	v_cmp_eq_u32_e32 vcc, 0, v7
	v_and_b32_e32 v3, 0xf8, v3
	v_and_or_b32 v3, v18, 7, v3
	s_and_b64 s[40:41], vcc, s[40:41]
	v_cndmask_b32_e64 v3, v3, 0, s[40:41]
	v_or_b32_e32 v21, v3, v1
.LBB2_1141:                             ;   in Loop: Header=BB2_1059 Depth=4
	s_or_b64 exec, exec, s[46:47]
                                        ; implicit-def: $vgpr1
.LBB2_1142:                             ;   in Loop: Header=BB2_1059 Depth=4
	s_andn2_saveexec_b64 s[40:41], s[44:45]
; %bb.1143:                             ;   in Loop: Header=BB2_1059 Depth=4
	v_or_b32_e32 v21, 0x7e, v1
; %bb.1144:                             ;   in Loop: Header=BB2_1059 Depth=4
	s_or_b64 exec, exec, s[40:41]
                                        ; implicit-def: $vgpr7
.LBB2_1145:                             ;   in Loop: Header=BB2_1059 Depth=4
	s_andn2_saveexec_b64 s[40:41], s[42:43]
; %bb.1146:                             ;   in Loop: Header=BB2_1059 Depth=4
	v_or_b32_sdwa v21, v7, s97 dst_sel:DWORD dst_unused:UNUSED_PAD src0_sel:BYTE_3 src1_sel:DWORD
; %bb.1147:                             ;   in Loop: Header=BB2_1059 Depth=4
	s_or_b64 exec, exec, s[40:41]
	v_bfe_u32 v1, v12, 16, 3
	v_bfe_u32 v3, v12, 16, 7
	v_cmp_eq_u32_e64 s[40:41], s97, v3
	v_cmp_gt_u32_e32 vcc, 8, v3
	v_ffbh_u32_e32 v3, v1
	v_min_u32_e32 v3, 32, v3
	v_lshrrev_b32_e32 v30, 16, v12
	v_subrev_u32_e32 v7, 28, v3
	v_lshlrev_b64 v[18:19], v7, v[30:31]
	v_bfe_u32 v4, v30, 3, 4
	v_sub_u32_e32 v3, 29, v3
	v_and_b32_e32 v7, 7, v18
	v_cndmask_b32_e32 v3, v4, v3, vcc
	v_cndmask_b32_e32 v1, v1, v7, vcc
	v_lshlrev_b32_e32 v4, 8, v12
	v_lshlrev_b32_e32 v1, 20, v1
	v_and_b32_e32 v4, 0x80000000, v4
	v_lshl_add_u32 v3, v3, 23, v48
	v_lshrrev_b32_e32 v34, 16, v8
	v_or3_b32 v1, v4, v3, v1
	v_cmp_ne_u16_sdwa s[42:43], v34, v35 src0_sel:BYTE_0 src1_sel:DWORD
	s_mov_b64 s[44:45], -1
	s_and_b64 vcc, exec, s[52:53]
                                        ; implicit-def: $vgpr7
	s_cbranch_vccz .LBB2_1161
; %bb.1148:                             ;   in Loop: Header=BB2_1059 Depth=4
	v_mov_b32_e32 v7, 0
	s_and_saveexec_b64 s[44:45], s[42:43]
	s_cbranch_execz .LBB2_1154
; %bb.1149:                             ;   in Loop: Header=BB2_1059 Depth=4
	v_cmp_ne_u16_sdwa vcc, v34, s59 src0_sel:BYTE_0 src1_sel:DWORD
	v_bfrev_b32_e32 v7, 1
	s_and_saveexec_b64 s[46:47], vcc
	s_cbranch_execz .LBB2_1153
; %bb.1150:                             ;   in Loop: Header=BB2_1059 Depth=4
	v_bfe_u32 v18, v8, 16, 7
	v_cmp_ne_u32_e32 vcc, s97, v18
	v_mov_b32_e32 v7, 0x7f800001
	s_and_saveexec_b64 s[54:55], vcc
	s_cbranch_execz .LBB2_1152
; %bb.1151:                             ;   in Loop: Header=BB2_1059 Depth=4
	v_and_b32_e32 v3, 7, v34
	v_ffbh_u32_e32 v7, v3
	v_min_u32_e32 v7, 32, v7
	v_lshrrev_b32_e32 v4, 3, v18
	v_cmp_gt_u32_e32 vcc, 8, v18
	v_subrev_u32_e32 v18, 28, v7
	v_lshlrev_b64 v[18:19], v18, v[34:35]
	v_sub_u32_e32 v7, 29, v7
	v_and_b32_e32 v18, 7, v18
	v_cndmask_b32_e32 v4, v4, v7, vcc
	v_cndmask_b32_e32 v3, v3, v18, vcc
	v_lshlrev_b32_e32 v7, 24, v34
	v_lshlrev_b32_e32 v3, 20, v3
	v_and_b32_e32 v7, 0x80000000, v7
	v_lshl_add_u32 v4, v4, 23, v48
	v_or3_b32 v7, v7, v4, v3
.LBB2_1152:                             ;   in Loop: Header=BB2_1059 Depth=4
	s_or_b64 exec, exec, s[54:55]
.LBB2_1153:                             ;   in Loop: Header=BB2_1059 Depth=4
	s_or_b64 exec, exec, s[46:47]
.LBB2_1154:                             ;   in Loop: Header=BB2_1059 Depth=4
	s_or_b64 exec, exec, s[44:45]
	v_cmp_gt_i16_sdwa s[46:47], v30, s97 src0_sel:BYTE_0 src1_sel:DWORD
	s_mov_b64 s[44:45], 0
	s_and_saveexec_b64 vcc, s[46:47]
	s_xor_b64 s[46:47], exec, vcc
	s_cbranch_execz .LBB2_1723
; %bb.1155:                             ;   in Loop: Header=BB2_1059 Depth=4
	v_cmp_eq_u16_sdwa s[54:55], v30, s59 src0_sel:BYTE_0 src1_sel:DWORD
	s_mov_b64 s[44:45], -1
	s_and_saveexec_b64 vcc, s[54:55]
; %bb.1156:                             ;   in Loop: Header=BB2_1059 Depth=4
	s_xor_b64 s[44:45], exec, -1
; %bb.1157:                             ;   in Loop: Header=BB2_1059 Depth=4
	s_or_b64 exec, exec, vcc
	s_and_b64 s[44:45], s[44:45], exec
	s_or_saveexec_b64 s[46:47], s[46:47]
	v_bfrev_b32_e32 v18, 1
	s_xor_b64 exec, exec, s[46:47]
	s_cbranch_execnz .LBB2_1724
.LBB2_1158:                             ;   in Loop: Header=BB2_1059 Depth=4
	s_or_b64 exec, exec, s[46:47]
	s_and_saveexec_b64 s[46:47], s[44:45]
.LBB2_1159:                             ;   in Loop: Header=BB2_1059 Depth=4
	v_cndmask_b32_e64 v18, v1, v49, s[40:41]
.LBB2_1160:                             ;   in Loop: Header=BB2_1059 Depth=4
	s_or_b64 exec, exec, s[46:47]
	v_max_f32_e32 v3, v18, v18
	v_max_f32_e32 v4, v7, v7
	;; [unrolled: 1-line block ×3, first 2 shown]
	s_mov_b64 s[44:45], 0
.LBB2_1161:                             ;   in Loop: Header=BB2_1059 Depth=4
	s_and_b64 vcc, exec, s[44:45]
	s_cbranch_vccz .LBB2_1175
; %bb.1162:                             ;   in Loop: Header=BB2_1059 Depth=4
	v_mov_b32_e32 v7, 0
	s_and_saveexec_b64 s[44:45], s[42:43]
	s_cbranch_execz .LBB2_1168
; %bb.1163:                             ;   in Loop: Header=BB2_1059 Depth=4
	v_cmp_ne_u16_sdwa s[46:47], v34, s59 src0_sel:BYTE_0 src1_sel:DWORD
	v_bfrev_b32_e32 v7, 1
	s_and_saveexec_b64 s[42:43], s[46:47]
	s_cbranch_execz .LBB2_1167
; %bb.1164:                             ;   in Loop: Header=BB2_1059 Depth=4
	v_bfe_u32 v18, v8, 16, 7
	v_cmp_ne_u32_e32 vcc, s97, v18
	v_mov_b32_e32 v7, 0x7f800001
	s_and_saveexec_b64 s[46:47], vcc
	s_cbranch_execz .LBB2_1166
; %bb.1165:                             ;   in Loop: Header=BB2_1059 Depth=4
	v_and_b32_e32 v3, 7, v34
	v_ffbh_u32_e32 v7, v3
	v_min_u32_e32 v7, 32, v7
	v_lshrrev_b32_e32 v4, 3, v18
	v_cmp_gt_u32_e32 vcc, 8, v18
	v_subrev_u32_e32 v18, 28, v7
	v_lshlrev_b64 v[18:19], v18, v[34:35]
	v_sub_u32_e32 v7, 29, v7
	v_and_b32_e32 v18, 7, v18
	v_cndmask_b32_e32 v4, v4, v7, vcc
	v_cndmask_b32_e32 v3, v3, v18, vcc
	v_lshlrev_b32_e32 v7, 24, v34
	v_lshlrev_b32_e32 v3, 20, v3
	v_and_b32_e32 v7, 0x80000000, v7
	v_lshl_add_u32 v4, v4, 23, v48
	v_or3_b32 v7, v7, v4, v3
.LBB2_1166:                             ;   in Loop: Header=BB2_1059 Depth=4
	s_or_b64 exec, exec, s[46:47]
.LBB2_1167:                             ;   in Loop: Header=BB2_1059 Depth=4
	s_or_b64 exec, exec, s[42:43]
.LBB2_1168:                             ;   in Loop: Header=BB2_1059 Depth=4
	s_or_b64 exec, exec, s[44:45]
	v_cmp_gt_i16_sdwa s[44:45], v30, s97 src0_sel:BYTE_0 src1_sel:DWORD
	s_mov_b64 s[42:43], 0
	s_and_saveexec_b64 s[46:47], s[44:45]
	s_xor_b64 s[44:45], exec, s[46:47]
	s_cbranch_execz .LBB2_1725
; %bb.1169:                             ;   in Loop: Header=BB2_1059 Depth=4
	v_cmp_eq_u16_sdwa vcc, v30, s59 src0_sel:BYTE_0 src1_sel:DWORD
	s_mov_b64 s[42:43], -1
	s_and_saveexec_b64 s[46:47], vcc
; %bb.1170:                             ;   in Loop: Header=BB2_1059 Depth=4
	s_xor_b64 s[42:43], exec, -1
; %bb.1171:                             ;   in Loop: Header=BB2_1059 Depth=4
	s_or_b64 exec, exec, s[46:47]
	s_and_b64 s[42:43], s[42:43], exec
                                        ; implicit-def: $vgpr30
	s_or_saveexec_b64 s[44:45], s[44:45]
	v_bfrev_b32_e32 v18, 1
	s_xor_b64 exec, exec, s[44:45]
	s_cbranch_execnz .LBB2_1726
.LBB2_1172:                             ;   in Loop: Header=BB2_1059 Depth=4
	s_or_b64 exec, exec, s[44:45]
	s_and_saveexec_b64 s[44:45], s[42:43]
.LBB2_1173:                             ;   in Loop: Header=BB2_1059 Depth=4
	v_cndmask_b32_e64 v18, v1, v49, s[40:41]
.LBB2_1174:                             ;   in Loop: Header=BB2_1059 Depth=4
	s_or_b64 exec, exec, s[44:45]
	v_max_f32_e32 v1, v18, v18
	v_max_f32_e32 v3, v7, v7
	v_min_f32_e32 v7, v3, v1
.LBB2_1175:                             ;   in Loop: Header=BB2_1059 Depth=4
	v_and_b32_e32 v34, 0x7f800000, v7
	v_cmp_ne_u64_e32 vcc, s[90:91], v[34:35]
                                        ; implicit-def: $vgpr36
	s_and_saveexec_b64 s[40:41], vcc
	s_xor_b64 s[42:43], exec, s[40:41]
	s_cbranch_execz .LBB2_1189
; %bb.1176:                             ;   in Loop: Header=BB2_1059 Depth=4
	v_and_b32_e32 v34, 0x7fffffff, v7
	v_cmp_gt_u64_e32 vcc, s[92:93], v[34:35]
	v_and_b32_sdwa v1, v7, s59 dst_sel:DWORD dst_unused:UNUSED_PAD src0_sel:BYTE_3 src1_sel:DWORD
                                        ; implicit-def: $vgpr36
	s_and_saveexec_b64 s[40:41], vcc
	s_xor_b64 s[44:45], exec, s[40:41]
	s_cbranch_execz .LBB2_1186
; %bb.1177:                             ;   in Loop: Header=BB2_1059 Depth=4
	v_mov_b32_e32 v36, 0
	v_cmp_ne_u32_e32 vcc, 0, v7
	s_and_saveexec_b64 s[46:47], vcc
	s_cbranch_execz .LBB2_1185
; %bb.1178:                             ;   in Loop: Header=BB2_1059 Depth=4
	v_and_b32_e32 v3, 0x7fffff, v7
	v_bfe_u32 v7, v7, 23, 8
	v_cmp_gt_u32_e64 s[40:41], s56, v7
	v_sub_u32_e32 v4, 0x79, v7
	v_cmp_eq_u32_e32 vcc, 0, v7
	v_cndmask_b32_e64 v4, 0, v4, s[40:41]
	v_mov_b32_e32 v19, 0x78
	v_or_b32_e32 v18, 0x800000, v3
	v_cndmask_b32_e32 v24, v4, v19, vcc
	v_cndmask_b32_e32 v34, v18, v3, vcc
	v_add_u32_e32 v3, 20, v24
	v_lshlrev_b64 v[18:19], v3, -1
	v_add_u32_e32 v3, 19, v24
	v_lshlrev_b64 v[30:31], v3, 1
	v_bfi_b32 v19, v19, 0, 0
	v_bfi_b32 v18, v18, 0, v34
	v_lshrrev_b64 v[59:60], v24, v[34:35]
	v_cmp_eq_u64_e64 s[40:41], v[18:19], v[30:31]
	v_mov_b32_e32 v18, v59
	v_mov_b32_e32 v19, v60
	s_and_saveexec_b64 s[54:55], s[40:41]
; %bb.1179:                             ;   in Loop: Header=BB2_1059 Depth=4
	v_bfe_u32 v3, v59, 20, 1
	v_add_co_u32_e64 v3, s[40:41], v59, v3
	v_add_co_u32_e64 v18, s[40:41], -1, v3
; %bb.1180:                             ;   in Loop: Header=BB2_1059 Depth=4
	s_or_b64 exec, exec, s[54:55]
	v_add_u32_e32 v3, 0xffffff81, v7
	v_cndmask_b32_e32 v3, v3, v52, vcc
	v_lshrrev_b32_e32 v4, 23, v59
	v_add3_u32 v24, v24, v3, v4
	v_add_u32_e32 v19, 6, v24
	v_and_b32_e32 v3, 0xfffff, v18
	v_add_u32_e32 v34, v3, v59
	v_cmp_ne_u32_e32 vcc, 0, v19
                                        ; implicit-def: $vgpr59_vgpr60
                                        ; implicit-def: $vgpr7
	s_and_saveexec_b64 s[40:41], vcc
	s_xor_b64 s[40:41], exec, s[40:41]
; %bb.1181:                             ;   in Loop: Header=BB2_1059 Depth=4
	v_cmp_lt_u64_e32 vcc, s[94:95], v[34:35]
	v_add_u32_e32 v3, 7, v24
	v_cndmask_b32_e32 v7, v19, v3, vcc
	v_cndmask_b32_e64 v3, 0, 1, vcc
	v_lshrrev_b64 v[59:60], v3, v[34:35]
; %bb.1182:                             ;   in Loop: Header=BB2_1059 Depth=4
	s_andn2_saveexec_b64 s[40:41], s[40:41]
; %bb.1183:                             ;   in Loop: Header=BB2_1059 Depth=4
	v_mov_b32_e32 v60, v35
	v_bfe_u32 v7, v34, 23, 1
	v_mov_b32_e32 v59, v34
; %bb.1184:                             ;   in Loop: Header=BB2_1059 Depth=4
	s_or_b64 exec, exec, s[40:41]
	v_lshrrev_b64 v[18:19], 20, v[59:60]
	v_cmp_gt_i32_e32 vcc, 16, v7
	v_cndmask_b32_e32 v19, 0, v19, vcc
	v_cndmask_b32_e32 v18, 7, v18, vcc
	v_min_i32_e32 v3, 15, v7
	v_cmp_eq_u64_e64 s[40:41], 0, v[18:19]
	v_lshlrev_b32_e32 v3, 3, v3
	v_cmp_eq_u32_e32 vcc, 0, v7
	v_and_b32_e32 v3, 0xf8, v3
	v_and_or_b32 v3, v18, 7, v3
	s_and_b64 s[40:41], vcc, s[40:41]
	v_cndmask_b32_e64 v3, v3, 0, s[40:41]
	v_or_b32_e32 v36, v3, v1
.LBB2_1185:                             ;   in Loop: Header=BB2_1059 Depth=4
	s_or_b64 exec, exec, s[46:47]
                                        ; implicit-def: $vgpr1
.LBB2_1186:                             ;   in Loop: Header=BB2_1059 Depth=4
	s_andn2_saveexec_b64 s[40:41], s[44:45]
; %bb.1187:                             ;   in Loop: Header=BB2_1059 Depth=4
	v_or_b32_e32 v36, 0x7e, v1
; %bb.1188:                             ;   in Loop: Header=BB2_1059 Depth=4
	s_or_b64 exec, exec, s[40:41]
                                        ; implicit-def: $vgpr7
.LBB2_1189:                             ;   in Loop: Header=BB2_1059 Depth=4
	s_andn2_saveexec_b64 s[40:41], s[42:43]
; %bb.1190:                             ;   in Loop: Header=BB2_1059 Depth=4
	v_or_b32_sdwa v36, v7, s97 dst_sel:DWORD dst_unused:UNUSED_PAD src0_sel:BYTE_3 src1_sel:DWORD
; %bb.1191:                             ;   in Loop: Header=BB2_1059 Depth=4
	s_or_b64 exec, exec, s[40:41]
	v_bfe_u32 v3, v12, 24, 3
	v_bfe_u32 v4, v12, 24, 7
	v_cmp_eq_u32_e64 s[44:45], s97, v4
	v_cmp_gt_u32_e32 vcc, 8, v4
	v_ffbh_u32_e32 v4, v3
	v_min_u32_e32 v4, 32, v4
	v_lshrrev_b32_e32 v1, 24, v12
	v_subrev_u32_e32 v18, 28, v4
	v_lshlrev_b64 v[18:19], v18, v[1:2]
	v_bfe_u32 v7, v1, 3, 4
	v_cmp_eq_u32_e64 s[42:43], s59, v1
	v_sub_u32_e32 v1, 29, v4
	v_and_b32_e32 v4, 7, v18
	v_cndmask_b32_e32 v1, v7, v1, vcc
	v_cndmask_b32_e32 v3, v3, v4, vcc
	v_lshlrev_b32_e32 v3, 20, v3
	v_and_b32_e32 v4, 0x80000000, v12
	v_lshl_add_u32 v1, v1, 23, v48
	v_lshrrev_b32_e32 v30, 24, v8
	v_cmp_gt_u32_e64 s[40:41], s61, v12
	v_or3_b32 v1, v4, v1, v3
	v_cmp_lt_u32_e64 s[46:47], s63, v8
	s_mov_b64 s[54:55], -1
	s_and_b64 vcc, exec, s[52:53]
                                        ; implicit-def: $vgpr7
	s_cbranch_vccz .LBB2_1199
; %bb.1192:                             ;   in Loop: Header=BB2_1059 Depth=4
	v_mov_b32_e32 v7, 0
	s_and_saveexec_b64 s[54:55], s[46:47]
	s_cbranch_execz .LBB2_1198
; %bb.1193:                             ;   in Loop: Header=BB2_1059 Depth=4
	v_cmp_ne_u32_e32 vcc, s59, v30
	v_bfrev_b32_e32 v7, 1
	s_and_saveexec_b64 s[64:65], vcc
	s_cbranch_execz .LBB2_1197
; %bb.1194:                             ;   in Loop: Header=BB2_1059 Depth=4
	v_bfe_u32 v18, v8, 24, 7
	v_cmp_ne_u32_e32 vcc, s97, v18
	v_mov_b32_e32 v7, 0x7f800001
	s_and_saveexec_b64 s[66:67], vcc
	s_cbranch_execz .LBB2_1196
; %bb.1195:                             ;   in Loop: Header=BB2_1059 Depth=4
	v_and_b32_e32 v3, 7, v30
	v_ffbh_u32_e32 v7, v3
	v_min_u32_e32 v7, 32, v7
	v_lshrrev_b32_e32 v4, 3, v18
	v_cmp_gt_u32_e32 vcc, 8, v18
	v_subrev_u32_e32 v18, 28, v7
	v_lshlrev_b64 v[18:19], v18, v[30:31]
	v_sub_u32_e32 v7, 29, v7
	v_and_b32_e32 v18, 7, v18
	v_cndmask_b32_e32 v4, v4, v7, vcc
	v_cndmask_b32_e32 v3, v3, v18, vcc
	v_lshlrev_b32_e32 v7, 24, v30
	v_lshlrev_b32_e32 v3, 20, v3
	v_and_b32_e32 v7, 0x80000000, v7
	v_lshl_add_u32 v4, v4, 23, v48
	v_or3_b32 v7, v7, v4, v3
.LBB2_1196:                             ;   in Loop: Header=BB2_1059 Depth=4
	s_or_b64 exec, exec, s[66:67]
.LBB2_1197:                             ;   in Loop: Header=BB2_1059 Depth=4
	s_or_b64 exec, exec, s[64:65]
.LBB2_1198:                             ;   in Loop: Header=BB2_1059 Depth=4
	s_or_b64 exec, exec, s[54:55]
	v_cndmask_b32_e64 v3, v1, v49, s[44:45]
	v_cndmask_b32_e64 v3, v3, v0, s[42:43]
	;; [unrolled: 1-line block ×3, first 2 shown]
	v_max_f32_e32 v3, v3, v3
	v_max_f32_e32 v4, v7, v7
	;; [unrolled: 1-line block ×3, first 2 shown]
	s_mov_b64 s[54:55], 0
.LBB2_1199:                             ;   in Loop: Header=BB2_1059 Depth=4
	s_and_b64 vcc, exec, s[54:55]
	s_cbranch_vccz .LBB2_1207
; %bb.1200:                             ;   in Loop: Header=BB2_1059 Depth=4
	v_mov_b32_e32 v7, 0
	s_and_saveexec_b64 s[54:55], s[46:47]
	s_cbranch_execz .LBB2_1206
; %bb.1201:                             ;   in Loop: Header=BB2_1059 Depth=4
	v_cmp_ne_u32_e32 vcc, s59, v30
	v_bfrev_b32_e32 v7, 1
	s_and_saveexec_b64 s[46:47], vcc
	s_cbranch_execz .LBB2_1205
; %bb.1202:                             ;   in Loop: Header=BB2_1059 Depth=4
	v_bfe_u32 v18, v8, 24, 7
	v_cmp_ne_u32_e32 vcc, s97, v18
	v_mov_b32_e32 v7, 0x7f800001
	s_and_saveexec_b64 s[64:65], vcc
	s_cbranch_execz .LBB2_1204
; %bb.1203:                             ;   in Loop: Header=BB2_1059 Depth=4
	v_and_b32_e32 v3, 7, v30
	v_ffbh_u32_e32 v7, v3
	v_min_u32_e32 v7, 32, v7
	v_lshrrev_b32_e32 v4, 3, v18
	v_cmp_gt_u32_e32 vcc, 8, v18
	v_subrev_u32_e32 v18, 28, v7
	v_lshlrev_b64 v[18:19], v18, v[30:31]
	v_sub_u32_e32 v7, 29, v7
	v_and_b32_e32 v18, 7, v18
	v_cndmask_b32_e32 v4, v4, v7, vcc
	v_cndmask_b32_e32 v3, v3, v18, vcc
	v_lshlrev_b32_e32 v7, 24, v30
	v_lshlrev_b32_e32 v3, 20, v3
	v_and_b32_e32 v7, 0x80000000, v7
	v_lshl_add_u32 v4, v4, 23, v48
	v_or3_b32 v7, v7, v4, v3
.LBB2_1204:                             ;   in Loop: Header=BB2_1059 Depth=4
	s_or_b64 exec, exec, s[64:65]
.LBB2_1205:                             ;   in Loop: Header=BB2_1059 Depth=4
	s_or_b64 exec, exec, s[46:47]
.LBB2_1206:                             ;   in Loop: Header=BB2_1059 Depth=4
	s_or_b64 exec, exec, s[54:55]
	v_cndmask_b32_e64 v1, v1, v49, s[44:45]
	v_cndmask_b32_e64 v1, v1, v0, s[42:43]
	;; [unrolled: 1-line block ×3, first 2 shown]
	v_max_f32_e32 v1, v1, v1
	v_max_f32_e32 v3, v7, v7
	v_min_f32_e32 v7, v3, v1
.LBB2_1207:                             ;   in Loop: Header=BB2_1059 Depth=4
	v_and_b32_e32 v34, 0x7f800000, v7
	v_cmp_ne_u64_e32 vcc, s[90:91], v[34:35]
                                        ; implicit-def: $vgpr39
	s_and_saveexec_b64 s[40:41], vcc
	s_xor_b64 s[42:43], exec, s[40:41]
	s_cbranch_execz .LBB2_1221
; %bb.1208:                             ;   in Loop: Header=BB2_1059 Depth=4
	v_and_b32_e32 v34, 0x7fffffff, v7
	v_cmp_gt_u64_e32 vcc, s[92:93], v[34:35]
	v_and_b32_sdwa v1, v7, s59 dst_sel:DWORD dst_unused:UNUSED_PAD src0_sel:BYTE_3 src1_sel:DWORD
                                        ; implicit-def: $vgpr39
	s_and_saveexec_b64 s[40:41], vcc
	s_xor_b64 s[44:45], exec, s[40:41]
	s_cbranch_execz .LBB2_1218
; %bb.1209:                             ;   in Loop: Header=BB2_1059 Depth=4
	v_mov_b32_e32 v39, 0
	v_cmp_ne_u32_e32 vcc, 0, v7
	s_and_saveexec_b64 s[46:47], vcc
	s_cbranch_execz .LBB2_1217
; %bb.1210:                             ;   in Loop: Header=BB2_1059 Depth=4
	v_and_b32_e32 v3, 0x7fffff, v7
	v_bfe_u32 v7, v7, 23, 8
	v_cmp_gt_u32_e64 s[40:41], s56, v7
	v_sub_u32_e32 v4, 0x79, v7
	v_cmp_eq_u32_e32 vcc, 0, v7
	v_cndmask_b32_e64 v4, 0, v4, s[40:41]
	v_mov_b32_e32 v19, 0x78
	v_or_b32_e32 v18, 0x800000, v3
	v_cndmask_b32_e32 v24, v4, v19, vcc
	v_cndmask_b32_e32 v34, v18, v3, vcc
	v_add_u32_e32 v3, 20, v24
	v_lshlrev_b64 v[18:19], v3, -1
	v_add_u32_e32 v3, 19, v24
	v_lshlrev_b64 v[30:31], v3, 1
	v_bfi_b32 v19, v19, 0, 0
	v_bfi_b32 v18, v18, 0, v34
	v_lshrrev_b64 v[59:60], v24, v[34:35]
	v_cmp_eq_u64_e64 s[40:41], v[18:19], v[30:31]
	v_mov_b32_e32 v18, v59
	v_mov_b32_e32 v19, v60
	s_and_saveexec_b64 s[54:55], s[40:41]
; %bb.1211:                             ;   in Loop: Header=BB2_1059 Depth=4
	v_bfe_u32 v3, v59, 20, 1
	v_add_co_u32_e64 v3, s[40:41], v59, v3
	v_add_co_u32_e64 v18, s[40:41], -1, v3
; %bb.1212:                             ;   in Loop: Header=BB2_1059 Depth=4
	s_or_b64 exec, exec, s[54:55]
	v_add_u32_e32 v3, 0xffffff81, v7
	v_cndmask_b32_e32 v3, v3, v52, vcc
	v_lshrrev_b32_e32 v4, 23, v59
	v_add3_u32 v24, v24, v3, v4
	v_add_u32_e32 v19, 6, v24
	v_and_b32_e32 v3, 0xfffff, v18
	v_add_u32_e32 v34, v3, v59
	v_cmp_ne_u32_e32 vcc, 0, v19
                                        ; implicit-def: $vgpr59_vgpr60
                                        ; implicit-def: $vgpr7
	s_and_saveexec_b64 s[40:41], vcc
	s_xor_b64 s[40:41], exec, s[40:41]
; %bb.1213:                             ;   in Loop: Header=BB2_1059 Depth=4
	v_cmp_lt_u64_e32 vcc, s[94:95], v[34:35]
	v_add_u32_e32 v3, 7, v24
	v_cndmask_b32_e32 v7, v19, v3, vcc
	v_cndmask_b32_e64 v3, 0, 1, vcc
	v_lshrrev_b64 v[59:60], v3, v[34:35]
; %bb.1214:                             ;   in Loop: Header=BB2_1059 Depth=4
	s_andn2_saveexec_b64 s[40:41], s[40:41]
; %bb.1215:                             ;   in Loop: Header=BB2_1059 Depth=4
	v_mov_b32_e32 v60, v35
	v_bfe_u32 v7, v34, 23, 1
	v_mov_b32_e32 v59, v34
; %bb.1216:                             ;   in Loop: Header=BB2_1059 Depth=4
	s_or_b64 exec, exec, s[40:41]
	v_lshrrev_b64 v[18:19], 20, v[59:60]
	v_cmp_gt_i32_e32 vcc, 16, v7
	v_cndmask_b32_e32 v19, 0, v19, vcc
	v_cndmask_b32_e32 v18, 7, v18, vcc
	v_min_i32_e32 v3, 15, v7
	v_cmp_eq_u64_e64 s[40:41], 0, v[18:19]
	v_lshlrev_b32_e32 v3, 3, v3
	v_cmp_eq_u32_e32 vcc, 0, v7
	v_and_b32_e32 v3, 0xf8, v3
	v_and_or_b32 v3, v18, 7, v3
	s_and_b64 s[40:41], vcc, s[40:41]
	v_cndmask_b32_e64 v3, v3, 0, s[40:41]
	v_or_b32_e32 v39, v3, v1
.LBB2_1217:                             ;   in Loop: Header=BB2_1059 Depth=4
	s_or_b64 exec, exec, s[46:47]
                                        ; implicit-def: $vgpr1
.LBB2_1218:                             ;   in Loop: Header=BB2_1059 Depth=4
	s_andn2_saveexec_b64 s[40:41], s[44:45]
; %bb.1219:                             ;   in Loop: Header=BB2_1059 Depth=4
	v_or_b32_e32 v39, 0x7e, v1
; %bb.1220:                             ;   in Loop: Header=BB2_1059 Depth=4
	s_or_b64 exec, exec, s[40:41]
                                        ; implicit-def: $vgpr7
.LBB2_1221:                             ;   in Loop: Header=BB2_1059 Depth=4
	s_andn2_saveexec_b64 s[40:41], s[42:43]
; %bb.1222:                             ;   in Loop: Header=BB2_1059 Depth=4
	v_or_b32_sdwa v39, v7, s97 dst_sel:DWORD dst_unused:UNUSED_PAD src0_sel:BYTE_3 src1_sel:DWORD
; %bb.1223:                             ;   in Loop: Header=BB2_1059 Depth=4
	s_or_b64 exec, exec, s[40:41]
	v_and_b32_e32 v1, 7, v13
	v_ffbh_u32_e32 v1, v1
	v_and_b32_e32 v3, 0x7f, v13
	v_min_u32_e32 v1, 32, v1
	v_cmp_eq_u32_e64 s[40:41], s97, v3
	v_cmp_gt_u32_e32 vcc, 8, v3
	v_subrev_u32_e32 v3, 28, v1
	v_mov_b32_e32 v34, v13
	v_cndmask_b32_e32 v3, 0, v3, vcc
	v_lshlrev_b64 v[18:19], v3, v[34:35]
	v_bfe_u32 v4, v13, 3, 4
	v_sub_u32_e32 v1, 29, v1
	v_cndmask_b32_e32 v1, v4, v1, vcc
	v_lshlrev_b32_e32 v3, 20, v18
	v_lshlrev_b32_e32 v4, 24, v13
	v_and_b32_e32 v3, 0x700000, v3
	v_and_b32_e32 v4, 0x80000000, v4
	v_lshl_add_u32 v1, v1, 23, v48
	v_or3_b32 v1, v4, v1, v3
	v_mov_b32_e32 v59, v9
	v_mov_b32_e32 v60, v35
	v_cmp_ne_u16_sdwa s[42:43], v9, v35 src0_sel:BYTE_0 src1_sel:DWORD
	s_mov_b64 s[44:45], -1
	s_and_b64 vcc, exec, s[52:53]
                                        ; implicit-def: $vgpr7
	s_cbranch_vccz .LBB2_1237
; %bb.1224:                             ;   in Loop: Header=BB2_1059 Depth=4
	v_mov_b32_e32 v7, 0
	s_and_saveexec_b64 s[44:45], s[42:43]
	s_cbranch_execz .LBB2_1230
; %bb.1225:                             ;   in Loop: Header=BB2_1059 Depth=4
	v_cmp_ne_u16_sdwa vcc, v9, s59 src0_sel:BYTE_0 src1_sel:DWORD
	v_bfrev_b32_e32 v7, 1
	s_and_saveexec_b64 s[46:47], vcc
	s_cbranch_execz .LBB2_1229
; %bb.1226:                             ;   in Loop: Header=BB2_1059 Depth=4
	v_and_b32_e32 v18, 0x7f, v9
	v_cmp_ne_u32_e32 vcc, s97, v18
	v_mov_b32_e32 v7, 0x7f800001
	s_and_saveexec_b64 s[54:55], vcc
	s_cbranch_execz .LBB2_1228
; %bb.1227:                             ;   in Loop: Header=BB2_1059 Depth=4
	v_and_b32_e32 v3, 7, v9
	v_ffbh_u32_e32 v3, v3
	v_min_u32_e32 v3, 32, v3
	v_lshrrev_b32_e32 v4, 3, v18
	v_cmp_gt_u32_e32 vcc, 8, v18
	v_subrev_u32_e32 v7, 28, v3
	v_sub_u32_e32 v3, 29, v3
	v_cndmask_b32_e32 v3, v4, v3, vcc
	v_cndmask_b32_e32 v4, 0, v7, vcc
	v_lshlrev_b64 v[18:19], v4, v[59:60]
	v_lshlrev_b32_e32 v7, 24, v59
	v_lshlrev_b32_e32 v4, 20, v18
	v_and_b32_e32 v4, 0x700000, v4
	v_and_b32_e32 v7, 0x80000000, v7
	v_lshl_add_u32 v3, v3, 23, v48
	v_or3_b32 v7, v7, v3, v4
.LBB2_1228:                             ;   in Loop: Header=BB2_1059 Depth=4
	s_or_b64 exec, exec, s[54:55]
.LBB2_1229:                             ;   in Loop: Header=BB2_1059 Depth=4
	s_or_b64 exec, exec, s[46:47]
.LBB2_1230:                             ;   in Loop: Header=BB2_1059 Depth=4
	s_or_b64 exec, exec, s[44:45]
	v_cmp_gt_i16_sdwa s[46:47], v13, s97 src0_sel:BYTE_0 src1_sel:DWORD
	s_mov_b64 s[44:45], 0
	s_and_saveexec_b64 vcc, s[46:47]
	s_xor_b64 s[46:47], exec, vcc
	s_cbranch_execz .LBB2_1727
; %bb.1231:                             ;   in Loop: Header=BB2_1059 Depth=4
	v_cmp_eq_u16_sdwa s[54:55], v13, s59 src0_sel:BYTE_0 src1_sel:DWORD
	s_mov_b64 s[44:45], -1
	s_and_saveexec_b64 vcc, s[54:55]
; %bb.1232:                             ;   in Loop: Header=BB2_1059 Depth=4
	s_xor_b64 s[44:45], exec, -1
; %bb.1233:                             ;   in Loop: Header=BB2_1059 Depth=4
	s_or_b64 exec, exec, vcc
	s_and_b64 s[44:45], s[44:45], exec
	s_or_saveexec_b64 s[46:47], s[46:47]
	v_bfrev_b32_e32 v18, 1
	s_xor_b64 exec, exec, s[46:47]
	s_cbranch_execnz .LBB2_1728
.LBB2_1234:                             ;   in Loop: Header=BB2_1059 Depth=4
	s_or_b64 exec, exec, s[46:47]
	s_and_saveexec_b64 s[46:47], s[44:45]
.LBB2_1235:                             ;   in Loop: Header=BB2_1059 Depth=4
	v_cndmask_b32_e64 v18, v1, v49, s[40:41]
.LBB2_1236:                             ;   in Loop: Header=BB2_1059 Depth=4
	s_or_b64 exec, exec, s[46:47]
	v_max_f32_e32 v3, v18, v18
	v_max_f32_e32 v4, v7, v7
	v_max_f32_e32 v7, v4, v3
	s_mov_b64 s[44:45], 0
.LBB2_1237:                             ;   in Loop: Header=BB2_1059 Depth=4
	s_and_b64 vcc, exec, s[44:45]
	s_cbranch_vccz .LBB2_1251
; %bb.1238:                             ;   in Loop: Header=BB2_1059 Depth=4
	v_mov_b32_e32 v7, 0
	s_and_saveexec_b64 s[44:45], s[42:43]
	s_cbranch_execz .LBB2_1244
; %bb.1239:                             ;   in Loop: Header=BB2_1059 Depth=4
	v_cmp_ne_u16_sdwa s[46:47], v9, s59 src0_sel:BYTE_0 src1_sel:DWORD
	v_bfrev_b32_e32 v7, 1
	s_and_saveexec_b64 s[42:43], s[46:47]
	s_cbranch_execz .LBB2_1243
; %bb.1240:                             ;   in Loop: Header=BB2_1059 Depth=4
	v_and_b32_e32 v18, 0x7f, v9
	v_cmp_ne_u32_e32 vcc, s97, v18
	v_mov_b32_e32 v7, 0x7f800001
	s_and_saveexec_b64 s[46:47], vcc
	s_cbranch_execz .LBB2_1242
; %bb.1241:                             ;   in Loop: Header=BB2_1059 Depth=4
	v_and_b32_e32 v3, 7, v9
	v_ffbh_u32_e32 v3, v3
	v_min_u32_e32 v3, 32, v3
	v_lshrrev_b32_e32 v4, 3, v18
	v_cmp_gt_u32_e32 vcc, 8, v18
	v_subrev_u32_e32 v7, 28, v3
	v_sub_u32_e32 v3, 29, v3
	v_cndmask_b32_e32 v3, v4, v3, vcc
	v_cndmask_b32_e32 v4, 0, v7, vcc
	v_lshlrev_b64 v[18:19], v4, v[59:60]
	v_lshlrev_b32_e32 v7, 24, v59
	v_lshlrev_b32_e32 v4, 20, v18
	v_and_b32_e32 v4, 0x700000, v4
	v_and_b32_e32 v7, 0x80000000, v7
	v_lshl_add_u32 v3, v3, 23, v48
	v_or3_b32 v7, v7, v3, v4
.LBB2_1242:                             ;   in Loop: Header=BB2_1059 Depth=4
	s_or_b64 exec, exec, s[46:47]
.LBB2_1243:                             ;   in Loop: Header=BB2_1059 Depth=4
	s_or_b64 exec, exec, s[42:43]
.LBB2_1244:                             ;   in Loop: Header=BB2_1059 Depth=4
	s_or_b64 exec, exec, s[44:45]
	v_cmp_gt_i16_sdwa s[44:45], v13, s97 src0_sel:BYTE_0 src1_sel:DWORD
	s_mov_b64 s[42:43], 0
	s_and_saveexec_b64 s[46:47], s[44:45]
	s_xor_b64 s[44:45], exec, s[46:47]
	s_cbranch_execz .LBB2_1729
; %bb.1245:                             ;   in Loop: Header=BB2_1059 Depth=4
	v_cmp_eq_u16_sdwa vcc, v13, s59 src0_sel:BYTE_0 src1_sel:DWORD
	s_mov_b64 s[42:43], -1
	s_and_saveexec_b64 s[46:47], vcc
; %bb.1246:                             ;   in Loop: Header=BB2_1059 Depth=4
	s_xor_b64 s[42:43], exec, -1
; %bb.1247:                             ;   in Loop: Header=BB2_1059 Depth=4
	s_or_b64 exec, exec, s[46:47]
	s_and_b64 s[42:43], s[42:43], exec
	s_or_saveexec_b64 s[44:45], s[44:45]
	v_bfrev_b32_e32 v18, 1
	s_xor_b64 exec, exec, s[44:45]
	s_cbranch_execnz .LBB2_1730
.LBB2_1248:                             ;   in Loop: Header=BB2_1059 Depth=4
	s_or_b64 exec, exec, s[44:45]
	s_and_saveexec_b64 s[44:45], s[42:43]
.LBB2_1249:                             ;   in Loop: Header=BB2_1059 Depth=4
	v_cndmask_b32_e64 v18, v1, v49, s[40:41]
.LBB2_1250:                             ;   in Loop: Header=BB2_1059 Depth=4
	s_or_b64 exec, exec, s[44:45]
	v_max_f32_e32 v1, v18, v18
	v_max_f32_e32 v3, v7, v7
	v_min_f32_e32 v7, v3, v1
.LBB2_1251:                             ;   in Loop: Header=BB2_1059 Depth=4
	v_and_b32_e32 v18, 0x7f800000, v7
	v_mov_b32_e32 v19, v35
	v_cmp_ne_u64_e32 vcc, s[90:91], v[18:19]
                                        ; implicit-def: $vgpr61
	s_and_saveexec_b64 s[40:41], vcc
	s_xor_b64 s[42:43], exec, s[40:41]
	s_cbranch_execz .LBB2_1265
; %bb.1252:                             ;   in Loop: Header=BB2_1059 Depth=4
	v_and_b32_e32 v18, 0x7fffffff, v7
	v_mov_b32_e32 v19, v35
	v_cmp_gt_u64_e32 vcc, s[92:93], v[18:19]
	v_and_b32_sdwa v1, v7, s59 dst_sel:DWORD dst_unused:UNUSED_PAD src0_sel:BYTE_3 src1_sel:DWORD
                                        ; implicit-def: $vgpr61
	s_and_saveexec_b64 s[40:41], vcc
	s_xor_b64 s[44:45], exec, s[40:41]
	s_cbranch_execz .LBB2_1262
; %bb.1253:                             ;   in Loop: Header=BB2_1059 Depth=4
	v_mov_b32_e32 v61, 0
	v_cmp_ne_u32_e32 vcc, 0, v7
	s_and_saveexec_b64 s[46:47], vcc
	s_cbranch_execz .LBB2_1261
; %bb.1254:                             ;   in Loop: Header=BB2_1059 Depth=4
	v_and_b32_e32 v3, 0x7fffff, v7
	v_bfe_u32 v7, v7, 23, 8
	v_cmp_gt_u32_e64 s[40:41], s56, v7
	v_sub_u32_e32 v4, 0x79, v7
	v_cmp_eq_u32_e32 vcc, 0, v7
	v_cndmask_b32_e64 v4, 0, v4, s[40:41]
	v_mov_b32_e32 v19, 0x78
	v_or_b32_e32 v18, 0x800000, v3
	v_cndmask_b32_e32 v24, v4, v19, vcc
	v_cndmask_b32_e32 v18, v18, v3, vcc
	v_add_u32_e32 v3, 20, v24
	v_lshlrev_b64 v[30:31], v3, -1
	v_add_u32_e32 v3, 19, v24
	v_mov_b32_e32 v19, v35
	v_lshlrev_b64 v[40:41], v3, 1
	v_bfi_b32 v31, v31, 0, 0
	v_bfi_b32 v30, v30, 0, v18
	v_lshrrev_b64 v[60:61], v24, v[18:19]
	v_cmp_eq_u64_e64 s[40:41], v[30:31], v[40:41]
	v_mov_b32_e32 v18, v60
	v_mov_b32_e32 v19, v61
	s_and_saveexec_b64 s[54:55], s[40:41]
; %bb.1255:                             ;   in Loop: Header=BB2_1059 Depth=4
	v_bfe_u32 v3, v60, 20, 1
	v_add_co_u32_e64 v3, s[40:41], v60, v3
	v_add_co_u32_e64 v18, s[40:41], -1, v3
; %bb.1256:                             ;   in Loop: Header=BB2_1059 Depth=4
	s_or_b64 exec, exec, s[54:55]
	v_add_u32_e32 v3, 0xffffff81, v7
	v_cndmask_b32_e32 v3, v3, v52, vcc
	v_lshrrev_b32_e32 v4, 23, v60
	v_add3_u32 v24, v24, v3, v4
	v_add_u32_e32 v19, 6, v24
	v_and_b32_e32 v3, 0xfffff, v18
	v_add_u32_e32 v60, v3, v60
	v_mov_b32_e32 v61, v35
	v_cmp_ne_u32_e32 vcc, 0, v19
                                        ; implicit-def: $vgpr7
	s_and_saveexec_b64 s[40:41], vcc
	s_xor_b64 s[40:41], exec, s[40:41]
; %bb.1257:                             ;   in Loop: Header=BB2_1059 Depth=4
	v_cmp_lt_u64_e32 vcc, s[94:95], v[60:61]
	v_add_u32_e32 v3, 7, v24
	v_cndmask_b32_e32 v7, v19, v3, vcc
	v_cndmask_b32_e64 v3, 0, 1, vcc
	v_lshrrev_b64 v[60:61], v3, v[60:61]
; %bb.1258:                             ;   in Loop: Header=BB2_1059 Depth=4
	s_andn2_saveexec_b64 s[40:41], s[40:41]
; %bb.1259:                             ;   in Loop: Header=BB2_1059 Depth=4
	v_bfe_u32 v7, v60, 23, 1
; %bb.1260:                             ;   in Loop: Header=BB2_1059 Depth=4
	s_or_b64 exec, exec, s[40:41]
	v_lshrrev_b64 v[18:19], 20, v[60:61]
	v_cmp_gt_i32_e32 vcc, 16, v7
	v_cndmask_b32_e32 v19, 0, v19, vcc
	v_cndmask_b32_e32 v18, 7, v18, vcc
	v_min_i32_e32 v3, 15, v7
	v_cmp_eq_u64_e64 s[40:41], 0, v[18:19]
	v_lshlrev_b32_e32 v3, 3, v3
	v_cmp_eq_u32_e32 vcc, 0, v7
	v_and_b32_e32 v3, 0xf8, v3
	v_and_or_b32 v3, v18, 7, v3
	s_and_b64 s[40:41], vcc, s[40:41]
	v_cndmask_b32_e64 v3, v3, 0, s[40:41]
	v_or_b32_e32 v61, v3, v1
.LBB2_1261:                             ;   in Loop: Header=BB2_1059 Depth=4
	s_or_b64 exec, exec, s[46:47]
                                        ; implicit-def: $vgpr1
.LBB2_1262:                             ;   in Loop: Header=BB2_1059 Depth=4
	s_andn2_saveexec_b64 s[40:41], s[44:45]
; %bb.1263:                             ;   in Loop: Header=BB2_1059 Depth=4
	v_or_b32_e32 v61, 0x7e, v1
; %bb.1264:                             ;   in Loop: Header=BB2_1059 Depth=4
	s_or_b64 exec, exec, s[40:41]
                                        ; implicit-def: $vgpr7
.LBB2_1265:                             ;   in Loop: Header=BB2_1059 Depth=4
	s_andn2_saveexec_b64 s[40:41], s[42:43]
; %bb.1266:                             ;   in Loop: Header=BB2_1059 Depth=4
	v_or_b32_sdwa v61, v7, s97 dst_sel:DWORD dst_unused:UNUSED_PAD src0_sel:BYTE_3 src1_sel:DWORD
; %bb.1267:                             ;   in Loop: Header=BB2_1059 Depth=4
	s_or_b64 exec, exec, s[40:41]
	v_lshrrev_b16_e32 v34, 8, v34
	v_and_b32_e32 v1, 7, v34
	v_and_b32_e32 v3, 0x7f, v34
	v_cmp_eq_u32_e64 s[40:41], s97, v3
	v_cmp_gt_u32_e32 vcc, 8, v3
	v_ffbh_u32_e32 v3, v1
	v_min_u32_e32 v3, 32, v3
	v_subrev_u32_e32 v7, 28, v3
	v_lshlrev_b64 v[18:19], v7, v[34:35]
	v_bfe_u32 v4, v34, 3, 4
	v_sub_u32_e32 v3, 29, v3
	v_and_b32_e32 v7, 7, v18
	v_cndmask_b32_e32 v3, v4, v3, vcc
	v_cndmask_b32_e32 v1, v1, v7, vcc
	v_lshlrev_b32_e32 v4, 24, v34
	v_lshrrev_b16_e32 v30, 8, v59
	v_lshlrev_b32_e32 v1, 20, v1
	v_and_b32_e32 v4, 0x80000000, v4
	v_lshl_add_u32 v3, v3, 23, v48
	v_or3_b32 v1, v4, v3, v1
	v_cmp_ne_u16_e64 s[42:43], 0, v30
	s_mov_b64 s[44:45], -1
	s_and_b64 vcc, exec, s[52:53]
                                        ; implicit-def: $vgpr7
	s_cbranch_vccz .LBB2_1281
; %bb.1268:                             ;   in Loop: Header=BB2_1059 Depth=4
	v_mov_b32_e32 v7, 0
	s_and_saveexec_b64 s[44:45], s[42:43]
	s_cbranch_execz .LBB2_1274
; %bb.1269:                             ;   in Loop: Header=BB2_1059 Depth=4
	v_cmp_ne_u16_e32 vcc, s59, v30
	v_bfrev_b32_e32 v7, 1
	s_and_saveexec_b64 s[46:47], vcc
	s_cbranch_execz .LBB2_1273
; %bb.1270:                             ;   in Loop: Header=BB2_1059 Depth=4
	v_and_b32_e32 v18, 0x7f, v30
	v_cmp_ne_u32_e32 vcc, s97, v18
	v_mov_b32_e32 v7, 0x7f800001
	s_and_saveexec_b64 s[54:55], vcc
	s_cbranch_execz .LBB2_1272
; %bb.1271:                             ;   in Loop: Header=BB2_1059 Depth=4
	v_and_b32_e32 v3, 7, v30
	v_ffbh_u32_e32 v7, v3
	v_min_u32_e32 v7, 32, v7
	v_lshrrev_b32_e32 v4, 3, v18
	v_cmp_gt_u32_e32 vcc, 8, v18
	v_subrev_u32_e32 v18, 28, v7
	v_lshlrev_b64 v[18:19], v18, v[30:31]
	v_sub_u32_e32 v7, 29, v7
	v_and_b32_e32 v18, 7, v18
	v_cndmask_b32_e32 v4, v4, v7, vcc
	v_cndmask_b32_e32 v3, v3, v18, vcc
	v_lshlrev_b32_e32 v7, 16, v59
	v_lshlrev_b32_e32 v3, 20, v3
	v_and_b32_e32 v7, 0x80000000, v7
	v_lshl_add_u32 v4, v4, 23, v48
	v_or3_b32 v7, v7, v4, v3
.LBB2_1272:                             ;   in Loop: Header=BB2_1059 Depth=4
	s_or_b64 exec, exec, s[54:55]
.LBB2_1273:                             ;   in Loop: Header=BB2_1059 Depth=4
	s_or_b64 exec, exec, s[46:47]
.LBB2_1274:                             ;   in Loop: Header=BB2_1059 Depth=4
	s_or_b64 exec, exec, s[44:45]
	v_cmp_lt_i16_e32 vcc, s97, v34
	s_mov_b64 s[44:45], 0
	s_and_saveexec_b64 s[46:47], vcc
	s_xor_b64 s[46:47], exec, s[46:47]
	s_cbranch_execz .LBB2_1731
; %bb.1275:                             ;   in Loop: Header=BB2_1059 Depth=4
	v_cmp_eq_u16_e32 vcc, s59, v34
	s_mov_b64 s[44:45], -1
	s_and_saveexec_b64 s[54:55], vcc
; %bb.1276:                             ;   in Loop: Header=BB2_1059 Depth=4
	s_xor_b64 s[44:45], exec, -1
; %bb.1277:                             ;   in Loop: Header=BB2_1059 Depth=4
	s_or_b64 exec, exec, s[54:55]
	s_and_b64 s[44:45], s[44:45], exec
	s_or_saveexec_b64 s[46:47], s[46:47]
	v_bfrev_b32_e32 v18, 1
	s_xor_b64 exec, exec, s[46:47]
	s_cbranch_execnz .LBB2_1732
.LBB2_1278:                             ;   in Loop: Header=BB2_1059 Depth=4
	s_or_b64 exec, exec, s[46:47]
	s_and_saveexec_b64 s[46:47], s[44:45]
.LBB2_1279:                             ;   in Loop: Header=BB2_1059 Depth=4
	v_cndmask_b32_e64 v18, v1, v49, s[40:41]
.LBB2_1280:                             ;   in Loop: Header=BB2_1059 Depth=4
	s_or_b64 exec, exec, s[46:47]
	v_max_f32_e32 v3, v18, v18
	v_max_f32_e32 v4, v7, v7
	;; [unrolled: 1-line block ×3, first 2 shown]
	s_mov_b64 s[44:45], 0
.LBB2_1281:                             ;   in Loop: Header=BB2_1059 Depth=4
	s_and_b64 vcc, exec, s[44:45]
	s_cbranch_vccz .LBB2_1295
; %bb.1282:                             ;   in Loop: Header=BB2_1059 Depth=4
	v_mov_b32_e32 v7, 0
	s_and_saveexec_b64 s[44:45], s[42:43]
	s_cbranch_execz .LBB2_1288
; %bb.1283:                             ;   in Loop: Header=BB2_1059 Depth=4
	v_cmp_ne_u16_e32 vcc, s59, v30
	v_bfrev_b32_e32 v7, 1
	s_and_saveexec_b64 s[42:43], vcc
	s_cbranch_execz .LBB2_1287
; %bb.1284:                             ;   in Loop: Header=BB2_1059 Depth=4
	v_and_b32_e32 v18, 0x7f, v30
	v_cmp_ne_u32_e32 vcc, s97, v18
	v_mov_b32_e32 v7, 0x7f800001
	s_and_saveexec_b64 s[46:47], vcc
	s_cbranch_execz .LBB2_1286
; %bb.1285:                             ;   in Loop: Header=BB2_1059 Depth=4
	v_and_b32_e32 v3, 7, v30
	v_ffbh_u32_e32 v7, v3
	v_min_u32_e32 v7, 32, v7
	v_lshrrev_b32_e32 v4, 3, v18
	v_cmp_gt_u32_e32 vcc, 8, v18
	v_subrev_u32_e32 v18, 28, v7
	v_lshlrev_b64 v[18:19], v18, v[30:31]
	v_sub_u32_e32 v7, 29, v7
	v_and_b32_e32 v18, 7, v18
	v_cndmask_b32_e32 v4, v4, v7, vcc
	v_cndmask_b32_e32 v3, v3, v18, vcc
	v_lshlrev_b32_e32 v7, 16, v59
	v_lshlrev_b32_e32 v3, 20, v3
	v_and_b32_e32 v7, 0x80000000, v7
	v_lshl_add_u32 v4, v4, 23, v48
	v_or3_b32 v7, v7, v4, v3
.LBB2_1286:                             ;   in Loop: Header=BB2_1059 Depth=4
	s_or_b64 exec, exec, s[46:47]
.LBB2_1287:                             ;   in Loop: Header=BB2_1059 Depth=4
	s_or_b64 exec, exec, s[42:43]
.LBB2_1288:                             ;   in Loop: Header=BB2_1059 Depth=4
	s_or_b64 exec, exec, s[44:45]
	v_cmp_lt_i16_e32 vcc, s97, v34
	s_mov_b64 s[42:43], 0
	s_and_saveexec_b64 s[44:45], vcc
	s_xor_b64 s[44:45], exec, s[44:45]
	s_cbranch_execz .LBB2_1733
; %bb.1289:                             ;   in Loop: Header=BB2_1059 Depth=4
	v_cmp_eq_u16_e32 vcc, s59, v34
	s_mov_b64 s[42:43], -1
	s_and_saveexec_b64 s[46:47], vcc
; %bb.1290:                             ;   in Loop: Header=BB2_1059 Depth=4
	s_xor_b64 s[42:43], exec, -1
; %bb.1291:                             ;   in Loop: Header=BB2_1059 Depth=4
	s_or_b64 exec, exec, s[46:47]
	s_and_b64 s[42:43], s[42:43], exec
	s_or_saveexec_b64 s[44:45], s[44:45]
	v_bfrev_b32_e32 v18, 1
	s_xor_b64 exec, exec, s[44:45]
	s_cbranch_execnz .LBB2_1734
.LBB2_1292:                             ;   in Loop: Header=BB2_1059 Depth=4
	s_or_b64 exec, exec, s[44:45]
	s_and_saveexec_b64 s[44:45], s[42:43]
.LBB2_1293:                             ;   in Loop: Header=BB2_1059 Depth=4
	v_cndmask_b32_e64 v18, v1, v49, s[40:41]
.LBB2_1294:                             ;   in Loop: Header=BB2_1059 Depth=4
	s_or_b64 exec, exec, s[44:45]
	v_max_f32_e32 v1, v18, v18
	v_max_f32_e32 v3, v7, v7
	v_min_f32_e32 v7, v3, v1
.LBB2_1295:                             ;   in Loop: Header=BB2_1059 Depth=4
	v_and_b32_e32 v34, 0x7f800000, v7
	v_cmp_ne_u64_e32 vcc, s[90:91], v[34:35]
                                        ; implicit-def: $vgpr31
	s_and_saveexec_b64 s[40:41], vcc
	s_xor_b64 s[42:43], exec, s[40:41]
	s_cbranch_execz .LBB2_1309
; %bb.1296:                             ;   in Loop: Header=BB2_1059 Depth=4
	v_and_b32_e32 v34, 0x7fffffff, v7
	v_cmp_gt_u64_e32 vcc, s[92:93], v[34:35]
	v_and_b32_sdwa v1, v7, s59 dst_sel:DWORD dst_unused:UNUSED_PAD src0_sel:BYTE_3 src1_sel:DWORD
                                        ; implicit-def: $vgpr31
	s_and_saveexec_b64 s[40:41], vcc
	s_xor_b64 s[44:45], exec, s[40:41]
	s_cbranch_execz .LBB2_1306
; %bb.1297:                             ;   in Loop: Header=BB2_1059 Depth=4
	v_mov_b32_e32 v31, 0
	v_cmp_ne_u32_e32 vcc, 0, v7
	s_and_saveexec_b64 s[46:47], vcc
	s_cbranch_execz .LBB2_1305
; %bb.1298:                             ;   in Loop: Header=BB2_1059 Depth=4
	v_and_b32_e32 v3, 0x7fffff, v7
	v_bfe_u32 v7, v7, 23, 8
	v_cmp_gt_u32_e64 s[40:41], s56, v7
	v_sub_u32_e32 v4, 0x79, v7
	v_cmp_eq_u32_e32 vcc, 0, v7
	v_cndmask_b32_e64 v4, 0, v4, s[40:41]
	v_mov_b32_e32 v19, 0x78
	v_or_b32_e32 v18, 0x800000, v3
	v_cndmask_b32_e32 v24, v4, v19, vcc
	v_cndmask_b32_e32 v34, v18, v3, vcc
	v_add_u32_e32 v3, 20, v24
	v_lshlrev_b64 v[18:19], v3, -1
	v_add_u32_e32 v3, 19, v24
	v_lshlrev_b64 v[30:31], v3, 1
	v_bfi_b32 v19, v19, 0, 0
	v_bfi_b32 v18, v18, 0, v34
	v_lshrrev_b64 v[59:60], v24, v[34:35]
	v_cmp_eq_u64_e64 s[40:41], v[18:19], v[30:31]
	v_mov_b32_e32 v18, v59
	v_mov_b32_e32 v19, v60
	s_and_saveexec_b64 s[54:55], s[40:41]
; %bb.1299:                             ;   in Loop: Header=BB2_1059 Depth=4
	v_bfe_u32 v3, v59, 20, 1
	v_add_co_u32_e64 v3, s[40:41], v59, v3
	v_add_co_u32_e64 v18, s[40:41], -1, v3
; %bb.1300:                             ;   in Loop: Header=BB2_1059 Depth=4
	s_or_b64 exec, exec, s[54:55]
	v_add_u32_e32 v3, 0xffffff81, v7
	v_cndmask_b32_e32 v3, v3, v52, vcc
	v_lshrrev_b32_e32 v4, 23, v59
	v_add3_u32 v24, v24, v3, v4
	v_add_u32_e32 v19, 6, v24
	v_and_b32_e32 v3, 0xfffff, v18
	v_add_u32_e32 v34, v3, v59
	v_cmp_ne_u32_e32 vcc, 0, v19
                                        ; implicit-def: $vgpr59_vgpr60
                                        ; implicit-def: $vgpr7
	s_and_saveexec_b64 s[40:41], vcc
	s_xor_b64 s[40:41], exec, s[40:41]
; %bb.1301:                             ;   in Loop: Header=BB2_1059 Depth=4
	v_cmp_lt_u64_e32 vcc, s[94:95], v[34:35]
	v_add_u32_e32 v3, 7, v24
	v_cndmask_b32_e32 v7, v19, v3, vcc
	v_cndmask_b32_e64 v3, 0, 1, vcc
	v_lshrrev_b64 v[59:60], v3, v[34:35]
; %bb.1302:                             ;   in Loop: Header=BB2_1059 Depth=4
	s_andn2_saveexec_b64 s[40:41], s[40:41]
; %bb.1303:                             ;   in Loop: Header=BB2_1059 Depth=4
	v_mov_b32_e32 v60, v35
	v_bfe_u32 v7, v34, 23, 1
	v_mov_b32_e32 v59, v34
; %bb.1304:                             ;   in Loop: Header=BB2_1059 Depth=4
	s_or_b64 exec, exec, s[40:41]
	v_lshrrev_b64 v[18:19], 20, v[59:60]
	v_cmp_gt_i32_e32 vcc, 16, v7
	v_cndmask_b32_e32 v19, 0, v19, vcc
	v_cndmask_b32_e32 v18, 7, v18, vcc
	v_min_i32_e32 v3, 15, v7
	v_cmp_eq_u64_e64 s[40:41], 0, v[18:19]
	v_lshlrev_b32_e32 v3, 3, v3
	v_cmp_eq_u32_e32 vcc, 0, v7
	v_and_b32_e32 v3, 0xf8, v3
	v_and_or_b32 v3, v18, 7, v3
	s_and_b64 s[40:41], vcc, s[40:41]
	v_cndmask_b32_e64 v3, v3, 0, s[40:41]
	v_or_b32_e32 v31, v3, v1
.LBB2_1305:                             ;   in Loop: Header=BB2_1059 Depth=4
	s_or_b64 exec, exec, s[46:47]
                                        ; implicit-def: $vgpr1
.LBB2_1306:                             ;   in Loop: Header=BB2_1059 Depth=4
	s_andn2_saveexec_b64 s[40:41], s[44:45]
; %bb.1307:                             ;   in Loop: Header=BB2_1059 Depth=4
	v_or_b32_e32 v31, 0x7e, v1
; %bb.1308:                             ;   in Loop: Header=BB2_1059 Depth=4
	s_or_b64 exec, exec, s[40:41]
                                        ; implicit-def: $vgpr7
.LBB2_1309:                             ;   in Loop: Header=BB2_1059 Depth=4
	s_andn2_saveexec_b64 s[40:41], s[42:43]
; %bb.1310:                             ;   in Loop: Header=BB2_1059 Depth=4
	v_or_b32_sdwa v31, v7, s97 dst_sel:DWORD dst_unused:UNUSED_PAD src0_sel:BYTE_3 src1_sel:DWORD
; %bb.1311:                             ;   in Loop: Header=BB2_1059 Depth=4
	s_or_b64 exec, exec, s[40:41]
	v_bfe_u32 v1, v13, 16, 3
	v_bfe_u32 v3, v13, 16, 7
	v_cmp_eq_u32_e64 s[40:41], s97, v3
	v_cmp_gt_u32_e32 vcc, 8, v3
	v_ffbh_u32_e32 v3, v1
	v_min_u32_e32 v3, 32, v3
	v_lshrrev_b32_e32 v30, 16, v13
	v_subrev_u32_e32 v7, 28, v3
	v_lshlrev_b64 v[18:19], v7, v[30:31]
	v_bfe_u32 v4, v30, 3, 4
	v_sub_u32_e32 v3, 29, v3
	v_and_b32_e32 v7, 7, v18
	v_cndmask_b32_e32 v3, v4, v3, vcc
	v_cndmask_b32_e32 v1, v1, v7, vcc
	v_lshlrev_b32_e32 v4, 8, v13
	v_lshlrev_b32_e32 v1, 20, v1
	v_and_b32_e32 v4, 0x80000000, v4
	v_lshl_add_u32 v3, v3, 23, v48
	v_lshrrev_b32_e32 v34, 16, v9
	v_or3_b32 v1, v4, v3, v1
	v_cmp_ne_u16_sdwa s[42:43], v34, v35 src0_sel:BYTE_0 src1_sel:DWORD
	s_mov_b64 s[44:45], -1
	s_and_b64 vcc, exec, s[52:53]
                                        ; implicit-def: $vgpr7
	s_cbranch_vccz .LBB2_1325
; %bb.1312:                             ;   in Loop: Header=BB2_1059 Depth=4
	v_mov_b32_e32 v7, 0
	s_and_saveexec_b64 s[44:45], s[42:43]
	s_cbranch_execz .LBB2_1318
; %bb.1313:                             ;   in Loop: Header=BB2_1059 Depth=4
	v_cmp_ne_u16_sdwa vcc, v34, s59 src0_sel:BYTE_0 src1_sel:DWORD
	v_bfrev_b32_e32 v7, 1
	s_and_saveexec_b64 s[46:47], vcc
	s_cbranch_execz .LBB2_1317
; %bb.1314:                             ;   in Loop: Header=BB2_1059 Depth=4
	v_bfe_u32 v18, v9, 16, 7
	v_cmp_ne_u32_e32 vcc, s97, v18
	v_mov_b32_e32 v7, 0x7f800001
	s_and_saveexec_b64 s[54:55], vcc
	s_cbranch_execz .LBB2_1316
; %bb.1315:                             ;   in Loop: Header=BB2_1059 Depth=4
	v_and_b32_e32 v3, 7, v34
	v_ffbh_u32_e32 v7, v3
	v_min_u32_e32 v7, 32, v7
	v_lshrrev_b32_e32 v4, 3, v18
	v_cmp_gt_u32_e32 vcc, 8, v18
	v_subrev_u32_e32 v18, 28, v7
	v_lshlrev_b64 v[18:19], v18, v[34:35]
	v_sub_u32_e32 v7, 29, v7
	v_and_b32_e32 v18, 7, v18
	v_cndmask_b32_e32 v4, v4, v7, vcc
	v_cndmask_b32_e32 v3, v3, v18, vcc
	v_lshlrev_b32_e32 v7, 24, v34
	v_lshlrev_b32_e32 v3, 20, v3
	v_and_b32_e32 v7, 0x80000000, v7
	v_lshl_add_u32 v4, v4, 23, v48
	v_or3_b32 v7, v7, v4, v3
.LBB2_1316:                             ;   in Loop: Header=BB2_1059 Depth=4
	s_or_b64 exec, exec, s[54:55]
.LBB2_1317:                             ;   in Loop: Header=BB2_1059 Depth=4
	s_or_b64 exec, exec, s[46:47]
.LBB2_1318:                             ;   in Loop: Header=BB2_1059 Depth=4
	s_or_b64 exec, exec, s[44:45]
	v_cmp_gt_i16_sdwa s[46:47], v30, s97 src0_sel:BYTE_0 src1_sel:DWORD
	s_mov_b64 s[44:45], 0
	s_and_saveexec_b64 vcc, s[46:47]
	s_xor_b64 s[46:47], exec, vcc
	s_cbranch_execz .LBB2_1735
; %bb.1319:                             ;   in Loop: Header=BB2_1059 Depth=4
	v_cmp_eq_u16_sdwa s[54:55], v30, s59 src0_sel:BYTE_0 src1_sel:DWORD
	s_mov_b64 s[44:45], -1
	s_and_saveexec_b64 vcc, s[54:55]
; %bb.1320:                             ;   in Loop: Header=BB2_1059 Depth=4
	s_xor_b64 s[44:45], exec, -1
; %bb.1321:                             ;   in Loop: Header=BB2_1059 Depth=4
	s_or_b64 exec, exec, vcc
	s_and_b64 s[44:45], s[44:45], exec
	s_or_saveexec_b64 s[46:47], s[46:47]
	v_bfrev_b32_e32 v18, 1
	s_xor_b64 exec, exec, s[46:47]
	s_cbranch_execnz .LBB2_1736
.LBB2_1322:                             ;   in Loop: Header=BB2_1059 Depth=4
	s_or_b64 exec, exec, s[46:47]
	s_and_saveexec_b64 s[46:47], s[44:45]
.LBB2_1323:                             ;   in Loop: Header=BB2_1059 Depth=4
	v_cndmask_b32_e64 v18, v1, v49, s[40:41]
.LBB2_1324:                             ;   in Loop: Header=BB2_1059 Depth=4
	s_or_b64 exec, exec, s[46:47]
	v_max_f32_e32 v3, v18, v18
	v_max_f32_e32 v4, v7, v7
	v_max_f32_e32 v7, v4, v3
	s_mov_b64 s[44:45], 0
.LBB2_1325:                             ;   in Loop: Header=BB2_1059 Depth=4
	s_and_b64 vcc, exec, s[44:45]
	s_cbranch_vccz .LBB2_1339
; %bb.1326:                             ;   in Loop: Header=BB2_1059 Depth=4
	v_mov_b32_e32 v7, 0
	s_and_saveexec_b64 s[44:45], s[42:43]
	s_cbranch_execz .LBB2_1332
; %bb.1327:                             ;   in Loop: Header=BB2_1059 Depth=4
	v_cmp_ne_u16_sdwa s[46:47], v34, s59 src0_sel:BYTE_0 src1_sel:DWORD
	v_bfrev_b32_e32 v7, 1
	s_and_saveexec_b64 s[42:43], s[46:47]
	s_cbranch_execz .LBB2_1331
; %bb.1328:                             ;   in Loop: Header=BB2_1059 Depth=4
	v_bfe_u32 v18, v9, 16, 7
	v_cmp_ne_u32_e32 vcc, s97, v18
	v_mov_b32_e32 v7, 0x7f800001
	s_and_saveexec_b64 s[46:47], vcc
	s_cbranch_execz .LBB2_1330
; %bb.1329:                             ;   in Loop: Header=BB2_1059 Depth=4
	v_and_b32_e32 v3, 7, v34
	v_ffbh_u32_e32 v7, v3
	v_min_u32_e32 v7, 32, v7
	v_lshrrev_b32_e32 v4, 3, v18
	v_cmp_gt_u32_e32 vcc, 8, v18
	v_subrev_u32_e32 v18, 28, v7
	v_lshlrev_b64 v[18:19], v18, v[34:35]
	v_sub_u32_e32 v7, 29, v7
	v_and_b32_e32 v18, 7, v18
	v_cndmask_b32_e32 v4, v4, v7, vcc
	v_cndmask_b32_e32 v3, v3, v18, vcc
	v_lshlrev_b32_e32 v7, 24, v34
	v_lshlrev_b32_e32 v3, 20, v3
	v_and_b32_e32 v7, 0x80000000, v7
	v_lshl_add_u32 v4, v4, 23, v48
	v_or3_b32 v7, v7, v4, v3
.LBB2_1330:                             ;   in Loop: Header=BB2_1059 Depth=4
	s_or_b64 exec, exec, s[46:47]
.LBB2_1331:                             ;   in Loop: Header=BB2_1059 Depth=4
	s_or_b64 exec, exec, s[42:43]
.LBB2_1332:                             ;   in Loop: Header=BB2_1059 Depth=4
	s_or_b64 exec, exec, s[44:45]
	v_cmp_gt_i16_sdwa s[44:45], v30, s97 src0_sel:BYTE_0 src1_sel:DWORD
	s_mov_b64 s[42:43], 0
	s_and_saveexec_b64 s[46:47], s[44:45]
	s_xor_b64 s[44:45], exec, s[46:47]
	s_cbranch_execz .LBB2_1737
; %bb.1333:                             ;   in Loop: Header=BB2_1059 Depth=4
	v_cmp_eq_u16_sdwa vcc, v30, s59 src0_sel:BYTE_0 src1_sel:DWORD
	s_mov_b64 s[42:43], -1
	s_and_saveexec_b64 s[46:47], vcc
; %bb.1334:                             ;   in Loop: Header=BB2_1059 Depth=4
	s_xor_b64 s[42:43], exec, -1
; %bb.1335:                             ;   in Loop: Header=BB2_1059 Depth=4
	s_or_b64 exec, exec, s[46:47]
	s_and_b64 s[42:43], s[42:43], exec
                                        ; implicit-def: $vgpr30
	s_or_saveexec_b64 s[44:45], s[44:45]
	v_bfrev_b32_e32 v18, 1
	s_xor_b64 exec, exec, s[44:45]
	s_cbranch_execnz .LBB2_1738
.LBB2_1336:                             ;   in Loop: Header=BB2_1059 Depth=4
	s_or_b64 exec, exec, s[44:45]
	s_and_saveexec_b64 s[44:45], s[42:43]
.LBB2_1337:                             ;   in Loop: Header=BB2_1059 Depth=4
	v_cndmask_b32_e64 v18, v1, v49, s[40:41]
.LBB2_1338:                             ;   in Loop: Header=BB2_1059 Depth=4
	s_or_b64 exec, exec, s[44:45]
	v_max_f32_e32 v1, v18, v18
	v_max_f32_e32 v3, v7, v7
	v_min_f32_e32 v7, v3, v1
.LBB2_1339:                             ;   in Loop: Header=BB2_1059 Depth=4
	v_and_b32_e32 v34, 0x7f800000, v7
	v_cmp_ne_u64_e32 vcc, s[90:91], v[34:35]
                                        ; implicit-def: $vgpr59
	s_and_saveexec_b64 s[40:41], vcc
	s_xor_b64 s[42:43], exec, s[40:41]
	s_cbranch_execz .LBB2_1353
; %bb.1340:                             ;   in Loop: Header=BB2_1059 Depth=4
	v_and_b32_e32 v34, 0x7fffffff, v7
	v_cmp_gt_u64_e32 vcc, s[92:93], v[34:35]
	v_and_b32_sdwa v1, v7, s59 dst_sel:DWORD dst_unused:UNUSED_PAD src0_sel:BYTE_3 src1_sel:DWORD
                                        ; implicit-def: $vgpr59
	s_and_saveexec_b64 s[40:41], vcc
	s_xor_b64 s[44:45], exec, s[40:41]
	s_cbranch_execz .LBB2_1350
; %bb.1341:                             ;   in Loop: Header=BB2_1059 Depth=4
	v_mov_b32_e32 v59, 0
	v_cmp_ne_u32_e32 vcc, 0, v7
	s_and_saveexec_b64 s[46:47], vcc
	s_cbranch_execz .LBB2_1349
; %bb.1342:                             ;   in Loop: Header=BB2_1059 Depth=4
	v_and_b32_e32 v3, 0x7fffff, v7
	v_bfe_u32 v7, v7, 23, 8
	v_cmp_gt_u32_e64 s[40:41], s56, v7
	v_sub_u32_e32 v4, 0x79, v7
	v_cmp_eq_u32_e32 vcc, 0, v7
	v_cndmask_b32_e64 v4, 0, v4, s[40:41]
	v_mov_b32_e32 v19, 0x78
	v_or_b32_e32 v18, 0x800000, v3
	v_cndmask_b32_e32 v24, v4, v19, vcc
	v_cndmask_b32_e32 v34, v18, v3, vcc
	v_add_u32_e32 v3, 20, v24
	v_lshlrev_b64 v[18:19], v3, -1
	v_add_u32_e32 v3, 19, v24
	v_lshlrev_b64 v[40:41], v3, 1
	v_bfi_b32 v19, v19, 0, 0
	v_bfi_b32 v18, v18, 0, v34
	v_lshrrev_b64 v[59:60], v24, v[34:35]
	v_cmp_eq_u64_e64 s[40:41], v[18:19], v[40:41]
	v_mov_b32_e32 v18, v59
	v_mov_b32_e32 v19, v60
	s_and_saveexec_b64 s[54:55], s[40:41]
; %bb.1343:                             ;   in Loop: Header=BB2_1059 Depth=4
	v_bfe_u32 v3, v59, 20, 1
	v_add_co_u32_e64 v3, s[40:41], v59, v3
	v_add_co_u32_e64 v18, s[40:41], -1, v3
; %bb.1344:                             ;   in Loop: Header=BB2_1059 Depth=4
	s_or_b64 exec, exec, s[54:55]
	v_add_u32_e32 v3, 0xffffff81, v7
	v_cndmask_b32_e32 v3, v3, v52, vcc
	v_lshrrev_b32_e32 v4, 23, v59
	v_add3_u32 v24, v24, v3, v4
	v_add_u32_e32 v19, 6, v24
	v_and_b32_e32 v3, 0xfffff, v18
	v_add_u32_e32 v34, v3, v59
	v_cmp_ne_u32_e32 vcc, 0, v19
                                        ; implicit-def: $vgpr59_vgpr60
                                        ; implicit-def: $vgpr7
	s_and_saveexec_b64 s[40:41], vcc
	s_xor_b64 s[40:41], exec, s[40:41]
; %bb.1345:                             ;   in Loop: Header=BB2_1059 Depth=4
	v_cmp_lt_u64_e32 vcc, s[94:95], v[34:35]
	v_add_u32_e32 v3, 7, v24
	v_cndmask_b32_e32 v7, v19, v3, vcc
	v_cndmask_b32_e64 v3, 0, 1, vcc
	v_lshrrev_b64 v[59:60], v3, v[34:35]
; %bb.1346:                             ;   in Loop: Header=BB2_1059 Depth=4
	s_andn2_saveexec_b64 s[40:41], s[40:41]
; %bb.1347:                             ;   in Loop: Header=BB2_1059 Depth=4
	v_mov_b32_e32 v60, v35
	v_bfe_u32 v7, v34, 23, 1
	v_mov_b32_e32 v59, v34
; %bb.1348:                             ;   in Loop: Header=BB2_1059 Depth=4
	s_or_b64 exec, exec, s[40:41]
	v_lshrrev_b64 v[18:19], 20, v[59:60]
	v_cmp_gt_i32_e32 vcc, 16, v7
	v_cndmask_b32_e32 v19, 0, v19, vcc
	v_cndmask_b32_e32 v18, 7, v18, vcc
	v_min_i32_e32 v3, 15, v7
	v_cmp_eq_u64_e64 s[40:41], 0, v[18:19]
	v_lshlrev_b32_e32 v3, 3, v3
	v_cmp_eq_u32_e32 vcc, 0, v7
	v_and_b32_e32 v3, 0xf8, v3
	v_and_or_b32 v3, v18, 7, v3
	s_and_b64 s[40:41], vcc, s[40:41]
	v_cndmask_b32_e64 v3, v3, 0, s[40:41]
	v_or_b32_e32 v59, v3, v1
.LBB2_1349:                             ;   in Loop: Header=BB2_1059 Depth=4
	s_or_b64 exec, exec, s[46:47]
                                        ; implicit-def: $vgpr1
.LBB2_1350:                             ;   in Loop: Header=BB2_1059 Depth=4
	s_andn2_saveexec_b64 s[40:41], s[44:45]
; %bb.1351:                             ;   in Loop: Header=BB2_1059 Depth=4
	v_or_b32_e32 v59, 0x7e, v1
; %bb.1352:                             ;   in Loop: Header=BB2_1059 Depth=4
	s_or_b64 exec, exec, s[40:41]
                                        ; implicit-def: $vgpr7
.LBB2_1353:                             ;   in Loop: Header=BB2_1059 Depth=4
	s_andn2_saveexec_b64 s[40:41], s[42:43]
; %bb.1354:                             ;   in Loop: Header=BB2_1059 Depth=4
	v_or_b32_sdwa v59, v7, s97 dst_sel:DWORD dst_unused:UNUSED_PAD src0_sel:BYTE_3 src1_sel:DWORD
; %bb.1355:                             ;   in Loop: Header=BB2_1059 Depth=4
	s_or_b64 exec, exec, s[40:41]
	v_bfe_u32 v3, v13, 24, 3
	v_bfe_u32 v4, v13, 24, 7
	v_cmp_eq_u32_e64 s[44:45], s97, v4
	v_cmp_gt_u32_e32 vcc, 8, v4
	v_ffbh_u32_e32 v4, v3
	v_min_u32_e32 v4, 32, v4
	v_lshrrev_b32_e32 v1, 24, v13
	v_cmp_gt_u64_e64 s[40:41], s[60:61], v[12:13]
	v_subrev_u32_e32 v12, 28, v4
	v_lshlrev_b64 v[18:19], v12, v[1:2]
	v_bfe_u32 v7, v1, 3, 4
	v_cmp_eq_u32_e64 s[42:43], s59, v1
	v_sub_u32_e32 v1, 29, v4
	v_and_b32_e32 v4, 7, v18
	v_cndmask_b32_e32 v1, v7, v1, vcc
	v_cndmask_b32_e32 v3, v3, v4, vcc
	v_lshlrev_b32_e32 v3, 20, v3
	v_and_b32_e32 v4, 0x80000000, v13
	v_lshl_add_u32 v1, v1, 23, v48
	v_cmp_lt_u64_e64 s[46:47], s[62:63], v[8:9]
	v_lshrrev_b32_e32 v30, 24, v9
	v_or3_b32 v1, v4, v1, v3
	s_mov_b64 s[54:55], -1
	s_and_b64 vcc, exec, s[52:53]
                                        ; implicit-def: $vgpr7
	s_cbranch_vccz .LBB2_1363
; %bb.1356:                             ;   in Loop: Header=BB2_1059 Depth=4
	v_mov_b32_e32 v7, 0
	s_and_saveexec_b64 s[54:55], s[46:47]
	s_cbranch_execz .LBB2_1362
; %bb.1357:                             ;   in Loop: Header=BB2_1059 Depth=4
	v_cmp_ne_u32_e32 vcc, s59, v30
	v_bfrev_b32_e32 v7, 1
	s_and_saveexec_b64 s[64:65], vcc
	s_cbranch_execz .LBB2_1361
; %bb.1358:                             ;   in Loop: Header=BB2_1059 Depth=4
	v_bfe_u32 v8, v9, 24, 7
	v_cmp_ne_u32_e32 vcc, s97, v8
	v_mov_b32_e32 v7, 0x7f800001
	s_and_saveexec_b64 s[66:67], vcc
	s_cbranch_execz .LBB2_1360
; %bb.1359:                             ;   in Loop: Header=BB2_1059 Depth=4
	v_and_b32_e32 v3, 7, v30
	v_ffbh_u32_e32 v7, v3
	v_min_u32_e32 v12, 32, v7
	v_subrev_u32_e32 v7, 28, v12
	v_lshrrev_b32_e32 v4, 3, v8
	v_cmp_gt_u32_e32 vcc, 8, v8
	v_lshlrev_b64 v[7:8], v7, v[30:31]
	v_sub_u32_e32 v8, 29, v12
	v_and_b32_e32 v7, 7, v7
	v_cndmask_b32_e32 v4, v4, v8, vcc
	v_cndmask_b32_e32 v3, v3, v7, vcc
	v_lshlrev_b32_e32 v7, 24, v30
	v_lshlrev_b32_e32 v3, 20, v3
	v_and_b32_e32 v7, 0x80000000, v7
	v_lshl_add_u32 v4, v4, 23, v48
	v_or3_b32 v7, v7, v4, v3
.LBB2_1360:                             ;   in Loop: Header=BB2_1059 Depth=4
	s_or_b64 exec, exec, s[66:67]
.LBB2_1361:                             ;   in Loop: Header=BB2_1059 Depth=4
	s_or_b64 exec, exec, s[64:65]
.LBB2_1362:                             ;   in Loop: Header=BB2_1059 Depth=4
	s_or_b64 exec, exec, s[54:55]
	v_cndmask_b32_e64 v3, v1, v49, s[44:45]
	v_cndmask_b32_e64 v3, v3, v0, s[42:43]
	;; [unrolled: 1-line block ×3, first 2 shown]
	v_max_f32_e32 v3, v3, v3
	v_max_f32_e32 v4, v7, v7
	;; [unrolled: 1-line block ×3, first 2 shown]
	s_mov_b64 s[54:55], 0
.LBB2_1363:                             ;   in Loop: Header=BB2_1059 Depth=4
	s_and_b64 vcc, exec, s[54:55]
	s_cbranch_vccz .LBB2_1371
; %bb.1364:                             ;   in Loop: Header=BB2_1059 Depth=4
	v_mov_b32_e32 v7, 0
	s_and_saveexec_b64 s[54:55], s[46:47]
	s_cbranch_execz .LBB2_1370
; %bb.1365:                             ;   in Loop: Header=BB2_1059 Depth=4
	v_cmp_ne_u32_e32 vcc, s59, v30
	v_bfrev_b32_e32 v7, 1
	s_and_saveexec_b64 s[46:47], vcc
	s_cbranch_execz .LBB2_1369
; %bb.1366:                             ;   in Loop: Header=BB2_1059 Depth=4
	v_bfe_u32 v8, v9, 24, 7
	v_cmp_ne_u32_e32 vcc, s97, v8
	v_mov_b32_e32 v7, 0x7f800001
	s_and_saveexec_b64 s[64:65], vcc
	s_cbranch_execz .LBB2_1368
; %bb.1367:                             ;   in Loop: Header=BB2_1059 Depth=4
	v_and_b32_e32 v3, 7, v30
	v_ffbh_u32_e32 v7, v3
	v_min_u32_e32 v9, 32, v7
	v_subrev_u32_e32 v7, 28, v9
	v_lshrrev_b32_e32 v4, 3, v8
	v_cmp_gt_u32_e32 vcc, 8, v8
	v_lshlrev_b64 v[7:8], v7, v[30:31]
	v_sub_u32_e32 v8, 29, v9
	v_and_b32_e32 v7, 7, v7
	v_cndmask_b32_e32 v4, v4, v8, vcc
	v_cndmask_b32_e32 v3, v3, v7, vcc
	v_lshlrev_b32_e32 v7, 24, v30
	v_lshlrev_b32_e32 v3, 20, v3
	v_and_b32_e32 v7, 0x80000000, v7
	v_lshl_add_u32 v4, v4, 23, v48
	v_or3_b32 v7, v7, v4, v3
.LBB2_1368:                             ;   in Loop: Header=BB2_1059 Depth=4
	s_or_b64 exec, exec, s[64:65]
.LBB2_1369:                             ;   in Loop: Header=BB2_1059 Depth=4
	s_or_b64 exec, exec, s[46:47]
.LBB2_1370:                             ;   in Loop: Header=BB2_1059 Depth=4
	s_or_b64 exec, exec, s[54:55]
	v_cndmask_b32_e64 v1, v1, v49, s[44:45]
	v_cndmask_b32_e64 v1, v1, v0, s[42:43]
	;; [unrolled: 1-line block ×3, first 2 shown]
	v_max_f32_e32 v1, v1, v1
	v_max_f32_e32 v3, v7, v7
	v_min_f32_e32 v7, v3, v1
.LBB2_1371:                             ;   in Loop: Header=BB2_1059 Depth=4
	v_and_b32_e32 v34, 0x7f800000, v7
	v_cmp_ne_u64_e32 vcc, s[90:91], v[34:35]
                                        ; implicit-def: $vgpr30
	s_and_saveexec_b64 s[40:41], vcc
	s_xor_b64 s[42:43], exec, s[40:41]
	s_cbranch_execz .LBB2_1385
; %bb.1372:                             ;   in Loop: Header=BB2_1059 Depth=4
	v_and_b32_e32 v34, 0x7fffffff, v7
	v_cmp_gt_u64_e32 vcc, s[92:93], v[34:35]
	v_and_b32_sdwa v1, v7, s59 dst_sel:DWORD dst_unused:UNUSED_PAD src0_sel:BYTE_3 src1_sel:DWORD
                                        ; implicit-def: $vgpr30
	s_and_saveexec_b64 s[40:41], vcc
	s_xor_b64 s[44:45], exec, s[40:41]
	s_cbranch_execz .LBB2_1382
; %bb.1373:                             ;   in Loop: Header=BB2_1059 Depth=4
	v_mov_b32_e32 v30, 0
	v_cmp_ne_u32_e32 vcc, 0, v7
	s_and_saveexec_b64 s[46:47], vcc
	s_cbranch_execz .LBB2_1381
; %bb.1374:                             ;   in Loop: Header=BB2_1059 Depth=4
	v_and_b32_e32 v3, 0x7fffff, v7
	v_bfe_u32 v7, v7, 23, 8
	v_cmp_gt_u32_e64 s[40:41], s56, v7
	v_sub_u32_e32 v4, 0x79, v7
	v_cmp_eq_u32_e32 vcc, 0, v7
	v_cndmask_b32_e64 v4, 0, v4, s[40:41]
	v_mov_b32_e32 v9, 0x78
	v_or_b32_e32 v8, 0x800000, v3
	v_cndmask_b32_e32 v18, v4, v9, vcc
	v_cndmask_b32_e32 v34, v8, v3, vcc
	v_add_u32_e32 v3, 20, v18
	v_lshlrev_b64 v[8:9], v3, -1
	v_add_u32_e32 v3, 19, v18
	v_lshlrev_b64 v[12:13], v3, 1
	v_bfi_b32 v9, v9, 0, 0
	v_bfi_b32 v8, v8, 0, v34
	v_cmp_eq_u64_e64 s[40:41], v[8:9], v[12:13]
	v_lshrrev_b64 v[8:9], v18, v[34:35]
	v_mov_b32_e32 v13, v9
	v_mov_b32_e32 v12, v8
	s_and_saveexec_b64 s[54:55], s[40:41]
; %bb.1375:                             ;   in Loop: Header=BB2_1059 Depth=4
	v_bfe_u32 v3, v8, 20, 1
	v_add_co_u32_e64 v3, s[40:41], v8, v3
	v_add_co_u32_e64 v12, s[40:41], -1, v3
; %bb.1376:                             ;   in Loop: Header=BB2_1059 Depth=4
	s_or_b64 exec, exec, s[54:55]
	v_add_u32_e32 v3, 0xffffff81, v7
	v_cndmask_b32_e32 v3, v3, v52, vcc
	v_lshrrev_b32_e32 v4, 23, v8
	v_add3_u32 v18, v18, v3, v4
	v_add_u32_e32 v13, 6, v18
	v_and_b32_e32 v3, 0xfffff, v12
	v_add_u32_e32 v34, v3, v8
	v_cmp_ne_u32_e32 vcc, 0, v13
                                        ; implicit-def: $vgpr8_vgpr9
                                        ; implicit-def: $vgpr7
	s_and_saveexec_b64 s[40:41], vcc
	s_xor_b64 s[40:41], exec, s[40:41]
; %bb.1377:                             ;   in Loop: Header=BB2_1059 Depth=4
	v_cmp_lt_u64_e32 vcc, s[94:95], v[34:35]
	v_add_u32_e32 v3, 7, v18
	v_cndmask_b32_e32 v7, v13, v3, vcc
	v_cndmask_b32_e64 v3, 0, 1, vcc
	v_lshrrev_b64 v[8:9], v3, v[34:35]
; %bb.1378:                             ;   in Loop: Header=BB2_1059 Depth=4
	s_andn2_saveexec_b64 s[40:41], s[40:41]
; %bb.1379:                             ;   in Loop: Header=BB2_1059 Depth=4
	v_mov_b32_e32 v8, v34
	v_bfe_u32 v7, v34, 23, 1
	v_mov_b32_e32 v9, v35
; %bb.1380:                             ;   in Loop: Header=BB2_1059 Depth=4
	s_or_b64 exec, exec, s[40:41]
	v_lshrrev_b64 v[8:9], 20, v[8:9]
	v_cmp_gt_i32_e32 vcc, 16, v7
	v_cndmask_b32_e32 v9, 0, v9, vcc
	v_cndmask_b32_e32 v8, 7, v8, vcc
	v_min_i32_e32 v3, 15, v7
	v_cmp_eq_u64_e64 s[40:41], 0, v[8:9]
	v_lshlrev_b32_e32 v3, 3, v3
	v_cmp_eq_u32_e32 vcc, 0, v7
	v_and_b32_e32 v3, 0xf8, v3
	v_and_or_b32 v3, v8, 7, v3
	s_and_b64 s[40:41], vcc, s[40:41]
	v_cndmask_b32_e64 v3, v3, 0, s[40:41]
	v_or_b32_e32 v30, v3, v1
.LBB2_1381:                             ;   in Loop: Header=BB2_1059 Depth=4
	s_or_b64 exec, exec, s[46:47]
                                        ; implicit-def: $vgpr1
.LBB2_1382:                             ;   in Loop: Header=BB2_1059 Depth=4
	s_andn2_saveexec_b64 s[40:41], s[44:45]
; %bb.1383:                             ;   in Loop: Header=BB2_1059 Depth=4
	v_or_b32_e32 v30, 0x7e, v1
; %bb.1384:                             ;   in Loop: Header=BB2_1059 Depth=4
	s_or_b64 exec, exec, s[40:41]
                                        ; implicit-def: $vgpr7
.LBB2_1385:                             ;   in Loop: Header=BB2_1059 Depth=4
	s_andn2_saveexec_b64 s[40:41], s[42:43]
; %bb.1386:                             ;   in Loop: Header=BB2_1059 Depth=4
	v_or_b32_sdwa v30, v7, s97 dst_sel:DWORD dst_unused:UNUSED_PAD src0_sel:BYTE_3 src1_sel:DWORD
; %bb.1387:                             ;   in Loop: Header=BB2_1059 Depth=4
	s_or_b64 exec, exec, s[40:41]
	v_and_b32_e32 v1, 7, v14
	v_ffbh_u32_e32 v1, v1
	v_and_b32_e32 v3, 0x7f, v14
	v_min_u32_e32 v1, 32, v1
	v_cmp_eq_u32_e64 s[40:41], s97, v3
	v_cmp_gt_u32_e32 vcc, 8, v3
	v_subrev_u32_e32 v3, 28, v1
	v_cndmask_b32_e32 v3, 0, v3, vcc
	v_lshlrev_b64 v[7:8], v3, v[14:15]
	v_bfe_u32 v4, v14, 3, 4
	v_sub_u32_e32 v1, 29, v1
	v_cndmask_b32_e32 v1, v4, v1, vcc
	v_lshlrev_b32_e32 v3, 20, v7
	v_lshlrev_b32_e32 v4, 24, v14
	v_and_b32_e32 v3, 0x700000, v3
	v_and_b32_e32 v4, 0x80000000, v4
	v_lshl_add_u32 v1, v1, 23, v48
	v_or3_b32 v1, v4, v1, v3
	v_cmp_ne_u16_sdwa s[42:43], v10, v35 src0_sel:BYTE_0 src1_sel:DWORD
	s_mov_b64 s[44:45], -1
	s_and_b64 vcc, exec, s[52:53]
                                        ; implicit-def: $vgpr7
	s_cbranch_vccz .LBB2_1401
; %bb.1388:                             ;   in Loop: Header=BB2_1059 Depth=4
	v_mov_b32_e32 v7, 0
	s_and_saveexec_b64 s[44:45], s[42:43]
	s_cbranch_execz .LBB2_1394
; %bb.1389:                             ;   in Loop: Header=BB2_1059 Depth=4
	v_cmp_ne_u16_sdwa vcc, v10, s59 src0_sel:BYTE_0 src1_sel:DWORD
	v_bfrev_b32_e32 v7, 1
	s_and_saveexec_b64 s[46:47], vcc
	s_cbranch_execz .LBB2_1393
; %bb.1390:                             ;   in Loop: Header=BB2_1059 Depth=4
	v_and_b32_e32 v8, 0x7f, v10
	v_cmp_ne_u32_e32 vcc, s97, v8
	v_mov_b32_e32 v7, 0x7f800001
	s_and_saveexec_b64 s[54:55], vcc
	s_cbranch_execz .LBB2_1392
; %bb.1391:                             ;   in Loop: Header=BB2_1059 Depth=4
	v_and_b32_e32 v3, 7, v10
	v_ffbh_u32_e32 v3, v3
	v_min_u32_e32 v3, 32, v3
	v_lshrrev_b32_e32 v4, 3, v8
	v_cmp_gt_u32_e32 vcc, 8, v8
	v_subrev_u32_e32 v7, 28, v3
	v_sub_u32_e32 v3, 29, v3
	v_cndmask_b32_e32 v3, v4, v3, vcc
	v_cndmask_b32_e32 v4, 0, v7, vcc
	v_lshlrev_b64 v[7:8], v4, v[10:11]
	v_lshl_add_u32 v3, v3, 23, v48
	v_lshlrev_b32_e32 v4, 20, v7
	v_lshlrev_b32_e32 v7, 24, v10
	v_and_b32_e32 v4, 0x700000, v4
	v_and_b32_e32 v7, 0x80000000, v7
	v_or3_b32 v7, v7, v3, v4
.LBB2_1392:                             ;   in Loop: Header=BB2_1059 Depth=4
	s_or_b64 exec, exec, s[54:55]
.LBB2_1393:                             ;   in Loop: Header=BB2_1059 Depth=4
	s_or_b64 exec, exec, s[46:47]
.LBB2_1394:                             ;   in Loop: Header=BB2_1059 Depth=4
	s_or_b64 exec, exec, s[44:45]
	v_cmp_gt_i16_sdwa s[46:47], v14, s97 src0_sel:BYTE_0 src1_sel:DWORD
	s_mov_b64 s[44:45], 0
	s_and_saveexec_b64 vcc, s[46:47]
	s_xor_b64 s[46:47], exec, vcc
	s_cbranch_execz .LBB2_1739
; %bb.1395:                             ;   in Loop: Header=BB2_1059 Depth=4
	v_cmp_eq_u16_sdwa s[54:55], v14, s59 src0_sel:BYTE_0 src1_sel:DWORD
	s_mov_b64 s[44:45], -1
	s_and_saveexec_b64 vcc, s[54:55]
; %bb.1396:                             ;   in Loop: Header=BB2_1059 Depth=4
	s_xor_b64 s[44:45], exec, -1
; %bb.1397:                             ;   in Loop: Header=BB2_1059 Depth=4
	s_or_b64 exec, exec, vcc
	s_and_b64 s[44:45], s[44:45], exec
	s_or_saveexec_b64 s[46:47], s[46:47]
	v_bfrev_b32_e32 v8, 1
	s_xor_b64 exec, exec, s[46:47]
	s_cbranch_execnz .LBB2_1740
.LBB2_1398:                             ;   in Loop: Header=BB2_1059 Depth=4
	s_or_b64 exec, exec, s[46:47]
	s_and_saveexec_b64 s[46:47], s[44:45]
.LBB2_1399:                             ;   in Loop: Header=BB2_1059 Depth=4
	v_cndmask_b32_e64 v8, v1, v49, s[40:41]
.LBB2_1400:                             ;   in Loop: Header=BB2_1059 Depth=4
	s_or_b64 exec, exec, s[46:47]
	v_max_f32_e32 v3, v8, v8
	v_max_f32_e32 v4, v7, v7
	;; [unrolled: 1-line block ×3, first 2 shown]
	s_mov_b64 s[44:45], 0
.LBB2_1401:                             ;   in Loop: Header=BB2_1059 Depth=4
	s_and_b64 vcc, exec, s[44:45]
	s_cbranch_vccz .LBB2_1415
; %bb.1402:                             ;   in Loop: Header=BB2_1059 Depth=4
	v_mov_b32_e32 v7, 0
	s_and_saveexec_b64 s[44:45], s[42:43]
	s_cbranch_execz .LBB2_1408
; %bb.1403:                             ;   in Loop: Header=BB2_1059 Depth=4
	v_cmp_ne_u16_sdwa s[46:47], v10, s59 src0_sel:BYTE_0 src1_sel:DWORD
	v_bfrev_b32_e32 v7, 1
	s_and_saveexec_b64 s[42:43], s[46:47]
	s_cbranch_execz .LBB2_1407
; %bb.1404:                             ;   in Loop: Header=BB2_1059 Depth=4
	v_and_b32_e32 v8, 0x7f, v10
	v_cmp_ne_u32_e32 vcc, s97, v8
	v_mov_b32_e32 v7, 0x7f800001
	s_and_saveexec_b64 s[46:47], vcc
	s_cbranch_execz .LBB2_1406
; %bb.1405:                             ;   in Loop: Header=BB2_1059 Depth=4
	v_and_b32_e32 v3, 7, v10
	v_ffbh_u32_e32 v3, v3
	v_min_u32_e32 v3, 32, v3
	v_lshrrev_b32_e32 v4, 3, v8
	v_cmp_gt_u32_e32 vcc, 8, v8
	v_subrev_u32_e32 v7, 28, v3
	v_sub_u32_e32 v3, 29, v3
	v_cndmask_b32_e32 v3, v4, v3, vcc
	v_cndmask_b32_e32 v4, 0, v7, vcc
	v_lshlrev_b64 v[7:8], v4, v[10:11]
	v_lshl_add_u32 v3, v3, 23, v48
	v_lshlrev_b32_e32 v4, 20, v7
	v_lshlrev_b32_e32 v7, 24, v10
	v_and_b32_e32 v4, 0x700000, v4
	v_and_b32_e32 v7, 0x80000000, v7
	v_or3_b32 v7, v7, v3, v4
.LBB2_1406:                             ;   in Loop: Header=BB2_1059 Depth=4
	s_or_b64 exec, exec, s[46:47]
.LBB2_1407:                             ;   in Loop: Header=BB2_1059 Depth=4
	s_or_b64 exec, exec, s[42:43]
.LBB2_1408:                             ;   in Loop: Header=BB2_1059 Depth=4
	s_or_b64 exec, exec, s[44:45]
	v_cmp_gt_i16_sdwa s[44:45], v14, s97 src0_sel:BYTE_0 src1_sel:DWORD
	s_mov_b64 s[42:43], 0
	s_and_saveexec_b64 s[46:47], s[44:45]
	s_xor_b64 s[44:45], exec, s[46:47]
	s_cbranch_execz .LBB2_1741
; %bb.1409:                             ;   in Loop: Header=BB2_1059 Depth=4
	v_cmp_eq_u16_sdwa vcc, v14, s59 src0_sel:BYTE_0 src1_sel:DWORD
	s_mov_b64 s[42:43], -1
	s_and_saveexec_b64 s[46:47], vcc
; %bb.1410:                             ;   in Loop: Header=BB2_1059 Depth=4
	s_xor_b64 s[42:43], exec, -1
; %bb.1411:                             ;   in Loop: Header=BB2_1059 Depth=4
	s_or_b64 exec, exec, s[46:47]
	s_and_b64 s[42:43], s[42:43], exec
	s_or_saveexec_b64 s[44:45], s[44:45]
	v_bfrev_b32_e32 v8, 1
	s_xor_b64 exec, exec, s[44:45]
	s_cbranch_execnz .LBB2_1742
.LBB2_1412:                             ;   in Loop: Header=BB2_1059 Depth=4
	s_or_b64 exec, exec, s[44:45]
	s_and_saveexec_b64 s[44:45], s[42:43]
.LBB2_1413:                             ;   in Loop: Header=BB2_1059 Depth=4
	v_cndmask_b32_e64 v8, v1, v49, s[40:41]
.LBB2_1414:                             ;   in Loop: Header=BB2_1059 Depth=4
	s_or_b64 exec, exec, s[44:45]
	v_max_f32_e32 v1, v8, v8
	v_max_f32_e32 v3, v7, v7
	v_min_f32_e32 v7, v3, v1
.LBB2_1415:                             ;   in Loop: Header=BB2_1059 Depth=4
	v_and_b32_e32 v34, 0x7f800000, v7
	v_cmp_ne_u64_e32 vcc, s[90:91], v[34:35]
                                        ; implicit-def: $vgpr60
	s_and_saveexec_b64 s[40:41], vcc
	s_xor_b64 s[42:43], exec, s[40:41]
	s_cbranch_execz .LBB2_1429
; %bb.1416:                             ;   in Loop: Header=BB2_1059 Depth=4
	v_and_b32_e32 v34, 0x7fffffff, v7
	v_cmp_gt_u64_e32 vcc, s[92:93], v[34:35]
	v_and_b32_sdwa v1, v7, s59 dst_sel:DWORD dst_unused:UNUSED_PAD src0_sel:BYTE_3 src1_sel:DWORD
                                        ; implicit-def: $vgpr60
	s_and_saveexec_b64 s[40:41], vcc
	s_xor_b64 s[44:45], exec, s[40:41]
	s_cbranch_execz .LBB2_1426
; %bb.1417:                             ;   in Loop: Header=BB2_1059 Depth=4
	v_mov_b32_e32 v60, 0
	v_cmp_ne_u32_e32 vcc, 0, v7
	s_and_saveexec_b64 s[46:47], vcc
	s_cbranch_execz .LBB2_1425
; %bb.1418:                             ;   in Loop: Header=BB2_1059 Depth=4
	v_and_b32_e32 v3, 0x7fffff, v7
	v_bfe_u32 v7, v7, 23, 8
	v_cmp_gt_u32_e64 s[40:41], s56, v7
	v_sub_u32_e32 v4, 0x79, v7
	v_cmp_eq_u32_e32 vcc, 0, v7
	v_cndmask_b32_e64 v4, 0, v4, s[40:41]
	v_mov_b32_e32 v9, 0x78
	v_or_b32_e32 v8, 0x800000, v3
	v_cndmask_b32_e32 v18, v4, v9, vcc
	v_cndmask_b32_e32 v34, v8, v3, vcc
	v_add_u32_e32 v3, 20, v18
	v_lshlrev_b64 v[8:9], v3, -1
	v_add_u32_e32 v3, 19, v18
	v_lshlrev_b64 v[12:13], v3, 1
	v_bfi_b32 v9, v9, 0, 0
	v_bfi_b32 v8, v8, 0, v34
	v_cmp_eq_u64_e64 s[40:41], v[8:9], v[12:13]
	v_lshrrev_b64 v[8:9], v18, v[34:35]
	v_mov_b32_e32 v13, v9
	v_mov_b32_e32 v12, v8
	s_and_saveexec_b64 s[54:55], s[40:41]
; %bb.1419:                             ;   in Loop: Header=BB2_1059 Depth=4
	v_bfe_u32 v3, v8, 20, 1
	v_add_co_u32_e64 v3, s[40:41], v8, v3
	v_add_co_u32_e64 v12, s[40:41], -1, v3
; %bb.1420:                             ;   in Loop: Header=BB2_1059 Depth=4
	s_or_b64 exec, exec, s[54:55]
	v_add_u32_e32 v3, 0xffffff81, v7
	v_cndmask_b32_e32 v3, v3, v52, vcc
	v_lshrrev_b32_e32 v4, 23, v8
	v_add3_u32 v18, v18, v3, v4
	v_add_u32_e32 v13, 6, v18
	v_and_b32_e32 v3, 0xfffff, v12
	v_add_u32_e32 v34, v3, v8
	v_cmp_ne_u32_e32 vcc, 0, v13
                                        ; implicit-def: $vgpr8_vgpr9
                                        ; implicit-def: $vgpr7
	s_and_saveexec_b64 s[40:41], vcc
	s_xor_b64 s[40:41], exec, s[40:41]
; %bb.1421:                             ;   in Loop: Header=BB2_1059 Depth=4
	v_cmp_lt_u64_e32 vcc, s[94:95], v[34:35]
	v_add_u32_e32 v3, 7, v18
	v_cndmask_b32_e32 v7, v13, v3, vcc
	v_cndmask_b32_e64 v3, 0, 1, vcc
	v_lshrrev_b64 v[8:9], v3, v[34:35]
; %bb.1422:                             ;   in Loop: Header=BB2_1059 Depth=4
	s_andn2_saveexec_b64 s[40:41], s[40:41]
; %bb.1423:                             ;   in Loop: Header=BB2_1059 Depth=4
	v_mov_b32_e32 v8, v34
	v_bfe_u32 v7, v34, 23, 1
	v_mov_b32_e32 v9, v35
; %bb.1424:                             ;   in Loop: Header=BB2_1059 Depth=4
	s_or_b64 exec, exec, s[40:41]
	v_lshrrev_b64 v[8:9], 20, v[8:9]
	v_cmp_gt_i32_e32 vcc, 16, v7
	v_cndmask_b32_e32 v9, 0, v9, vcc
	v_cndmask_b32_e32 v8, 7, v8, vcc
	v_min_i32_e32 v3, 15, v7
	v_cmp_eq_u64_e64 s[40:41], 0, v[8:9]
	v_lshlrev_b32_e32 v3, 3, v3
	v_cmp_eq_u32_e32 vcc, 0, v7
	v_and_b32_e32 v3, 0xf8, v3
	v_and_or_b32 v3, v8, 7, v3
	s_and_b64 s[40:41], vcc, s[40:41]
	v_cndmask_b32_e64 v3, v3, 0, s[40:41]
	v_or_b32_e32 v60, v3, v1
.LBB2_1425:                             ;   in Loop: Header=BB2_1059 Depth=4
	s_or_b64 exec, exec, s[46:47]
                                        ; implicit-def: $vgpr1
.LBB2_1426:                             ;   in Loop: Header=BB2_1059 Depth=4
	s_andn2_saveexec_b64 s[40:41], s[44:45]
; %bb.1427:                             ;   in Loop: Header=BB2_1059 Depth=4
	v_or_b32_e32 v60, 0x7e, v1
; %bb.1428:                             ;   in Loop: Header=BB2_1059 Depth=4
	s_or_b64 exec, exec, s[40:41]
                                        ; implicit-def: $vgpr7
.LBB2_1429:                             ;   in Loop: Header=BB2_1059 Depth=4
	s_andn2_saveexec_b64 s[40:41], s[42:43]
; %bb.1430:                             ;   in Loop: Header=BB2_1059 Depth=4
	v_or_b32_sdwa v60, v7, s97 dst_sel:DWORD dst_unused:UNUSED_PAD src0_sel:BYTE_3 src1_sel:DWORD
; %bb.1431:                             ;   in Loop: Header=BB2_1059 Depth=4
	s_or_b64 exec, exec, s[40:41]
	v_lshrrev_b16_e32 v34, 8, v14
	v_and_b32_e32 v1, 7, v34
	v_and_b32_e32 v3, 0x7f, v34
	v_cmp_eq_u32_e64 s[40:41], s97, v3
	v_cmp_gt_u32_e32 vcc, 8, v3
	v_ffbh_u32_e32 v3, v1
	v_min_u32_e32 v3, 32, v3
	v_subrev_u32_e32 v7, 28, v3
	v_lshlrev_b64 v[12:13], v7, v[34:35]
	v_bfe_u32 v4, v34, 3, 4
	v_sub_u32_e32 v3, 29, v3
	v_and_b32_e32 v7, 7, v12
	v_cndmask_b32_e32 v3, v4, v3, vcc
	v_cndmask_b32_e32 v1, v1, v7, vcc
	v_lshlrev_b32_e32 v4, 24, v34
	v_lshrrev_b16_e32 v8, 8, v10
	v_lshlrev_b32_e32 v1, 20, v1
	v_and_b32_e32 v4, 0x80000000, v4
	v_lshl_add_u32 v3, v3, 23, v48
	v_or3_b32 v1, v4, v3, v1
	v_cmp_ne_u16_e64 s[42:43], 0, v8
	s_mov_b64 s[44:45], -1
	s_and_b64 vcc, exec, s[52:53]
                                        ; implicit-def: $vgpr9
	s_cbranch_vccz .LBB2_1445
; %bb.1432:                             ;   in Loop: Header=BB2_1059 Depth=4
	v_mov_b32_e32 v7, 0
	s_and_saveexec_b64 s[44:45], s[42:43]
	s_cbranch_execz .LBB2_1438
; %bb.1433:                             ;   in Loop: Header=BB2_1059 Depth=4
	v_cmp_ne_u16_e32 vcc, s59, v8
	v_bfrev_b32_e32 v7, 1
	s_and_saveexec_b64 s[46:47], vcc
	s_cbranch_execz .LBB2_1437
; %bb.1434:                             ;   in Loop: Header=BB2_1059 Depth=4
	v_and_b32_e32 v9, 0x7f, v8
	v_cmp_ne_u32_e32 vcc, s97, v9
	v_mov_b32_e32 v7, 0x7f800001
	s_and_saveexec_b64 s[54:55], vcc
	s_cbranch_execz .LBB2_1436
; %bb.1435:                             ;   in Loop: Header=BB2_1059 Depth=4
	v_and_b32_e32 v3, 7, v8
	v_ffbh_u32_e32 v7, v3
	v_min_u32_e32 v7, 32, v7
	v_lshrrev_b32_e32 v4, 3, v9
	v_cmp_gt_u32_e32 vcc, 8, v9
	v_subrev_u32_e32 v9, 28, v7
	v_lshlrev_b64 v[12:13], v9, v[8:9]
	v_sub_u32_e32 v7, 29, v7
	v_and_b32_e32 v9, 7, v12
	v_cndmask_b32_e32 v4, v4, v7, vcc
	v_cndmask_b32_e32 v3, v3, v9, vcc
	v_lshlrev_b32_e32 v7, 16, v10
	v_lshlrev_b32_e32 v3, 20, v3
	v_and_b32_e32 v7, 0x80000000, v7
	v_lshl_add_u32 v4, v4, 23, v48
	v_or3_b32 v7, v7, v4, v3
.LBB2_1436:                             ;   in Loop: Header=BB2_1059 Depth=4
	s_or_b64 exec, exec, s[54:55]
.LBB2_1437:                             ;   in Loop: Header=BB2_1059 Depth=4
	s_or_b64 exec, exec, s[46:47]
.LBB2_1438:                             ;   in Loop: Header=BB2_1059 Depth=4
	s_or_b64 exec, exec, s[44:45]
	v_cmp_lt_i16_e32 vcc, s97, v34
	s_mov_b64 s[44:45], 0
	s_and_saveexec_b64 s[46:47], vcc
	s_xor_b64 s[46:47], exec, s[46:47]
	s_cbranch_execz .LBB2_1743
; %bb.1439:                             ;   in Loop: Header=BB2_1059 Depth=4
	v_cmp_eq_u16_e32 vcc, s59, v34
	s_mov_b64 s[44:45], -1
	s_and_saveexec_b64 s[54:55], vcc
; %bb.1440:                             ;   in Loop: Header=BB2_1059 Depth=4
	s_xor_b64 s[44:45], exec, -1
; %bb.1441:                             ;   in Loop: Header=BB2_1059 Depth=4
	s_or_b64 exec, exec, s[54:55]
	s_and_b64 s[44:45], s[44:45], exec
	s_or_saveexec_b64 s[46:47], s[46:47]
	v_bfrev_b32_e32 v9, 1
	s_xor_b64 exec, exec, s[46:47]
	s_cbranch_execnz .LBB2_1744
.LBB2_1442:                             ;   in Loop: Header=BB2_1059 Depth=4
	s_or_b64 exec, exec, s[46:47]
	s_and_saveexec_b64 s[46:47], s[44:45]
.LBB2_1443:                             ;   in Loop: Header=BB2_1059 Depth=4
	v_cndmask_b32_e64 v9, v1, v49, s[40:41]
.LBB2_1444:                             ;   in Loop: Header=BB2_1059 Depth=4
	s_or_b64 exec, exec, s[46:47]
	v_max_f32_e32 v3, v9, v9
	v_max_f32_e32 v4, v7, v7
	;; [unrolled: 1-line block ×3, first 2 shown]
	s_mov_b64 s[44:45], 0
.LBB2_1445:                             ;   in Loop: Header=BB2_1059 Depth=4
	s_and_b64 vcc, exec, s[44:45]
	s_cbranch_vccz .LBB2_1459
; %bb.1446:                             ;   in Loop: Header=BB2_1059 Depth=4
	v_mov_b32_e32 v7, 0
	s_and_saveexec_b64 s[44:45], s[42:43]
	s_cbranch_execz .LBB2_1452
; %bb.1447:                             ;   in Loop: Header=BB2_1059 Depth=4
	v_cmp_ne_u16_e32 vcc, s59, v8
	v_bfrev_b32_e32 v7, 1
	s_and_saveexec_b64 s[42:43], vcc
	s_cbranch_execz .LBB2_1451
; %bb.1448:                             ;   in Loop: Header=BB2_1059 Depth=4
	v_and_b32_e32 v9, 0x7f, v8
	v_cmp_ne_u32_e32 vcc, s97, v9
	v_mov_b32_e32 v7, 0x7f800001
	s_and_saveexec_b64 s[46:47], vcc
	s_cbranch_execz .LBB2_1450
; %bb.1449:                             ;   in Loop: Header=BB2_1059 Depth=4
	v_and_b32_e32 v3, 7, v8
	v_ffbh_u32_e32 v7, v3
	v_lshrrev_b32_e32 v4, 3, v9
	v_cmp_gt_u32_e32 vcc, 8, v9
	v_min_u32_e32 v9, 32, v7
	v_subrev_u32_e32 v7, 28, v9
	v_lshlrev_b64 v[7:8], v7, v[8:9]
	v_sub_u32_e32 v8, 29, v9
	v_and_b32_e32 v7, 7, v7
	v_cndmask_b32_e32 v4, v4, v8, vcc
	v_cndmask_b32_e32 v3, v3, v7, vcc
	v_lshlrev_b32_e32 v7, 16, v10
	v_lshlrev_b32_e32 v3, 20, v3
	v_and_b32_e32 v7, 0x80000000, v7
	v_lshl_add_u32 v4, v4, 23, v48
	v_or3_b32 v7, v7, v4, v3
.LBB2_1450:                             ;   in Loop: Header=BB2_1059 Depth=4
	s_or_b64 exec, exec, s[46:47]
.LBB2_1451:                             ;   in Loop: Header=BB2_1059 Depth=4
	s_or_b64 exec, exec, s[42:43]
.LBB2_1452:                             ;   in Loop: Header=BB2_1059 Depth=4
	s_or_b64 exec, exec, s[44:45]
	v_cmp_lt_i16_e32 vcc, s97, v34
	s_mov_b64 s[42:43], 0
	s_and_saveexec_b64 s[44:45], vcc
	s_xor_b64 s[44:45], exec, s[44:45]
	s_cbranch_execz .LBB2_1745
; %bb.1453:                             ;   in Loop: Header=BB2_1059 Depth=4
	v_cmp_eq_u16_e32 vcc, s59, v34
	s_mov_b64 s[42:43], -1
	s_and_saveexec_b64 s[46:47], vcc
; %bb.1454:                             ;   in Loop: Header=BB2_1059 Depth=4
	s_xor_b64 s[42:43], exec, -1
; %bb.1455:                             ;   in Loop: Header=BB2_1059 Depth=4
	s_or_b64 exec, exec, s[46:47]
	s_and_b64 s[42:43], s[42:43], exec
	s_or_saveexec_b64 s[44:45], s[44:45]
	v_bfrev_b32_e32 v8, 1
	s_xor_b64 exec, exec, s[44:45]
	s_cbranch_execnz .LBB2_1746
.LBB2_1456:                             ;   in Loop: Header=BB2_1059 Depth=4
	s_or_b64 exec, exec, s[44:45]
	s_and_saveexec_b64 s[44:45], s[42:43]
.LBB2_1457:                             ;   in Loop: Header=BB2_1059 Depth=4
	v_cndmask_b32_e64 v8, v1, v49, s[40:41]
.LBB2_1458:                             ;   in Loop: Header=BB2_1059 Depth=4
	s_or_b64 exec, exec, s[44:45]
	v_max_f32_e32 v1, v8, v8
	v_max_f32_e32 v3, v7, v7
	v_min_f32_e32 v9, v3, v1
.LBB2_1459:                             ;   in Loop: Header=BB2_1059 Depth=4
	v_and_b32_e32 v34, 0x7f800000, v9
	v_cmp_ne_u64_e32 vcc, s[90:91], v[34:35]
                                        ; implicit-def: $vgpr1
	s_and_saveexec_b64 s[40:41], vcc
	s_xor_b64 s[42:43], exec, s[40:41]
	s_cbranch_execz .LBB2_1473
; %bb.1460:                             ;   in Loop: Header=BB2_1059 Depth=4
	v_and_b32_e32 v34, 0x7fffffff, v9
	v_cmp_gt_u64_e32 vcc, s[92:93], v[34:35]
	v_and_b32_sdwa v7, v9, s59 dst_sel:DWORD dst_unused:UNUSED_PAD src0_sel:BYTE_3 src1_sel:DWORD
                                        ; implicit-def: $vgpr1
	s_and_saveexec_b64 s[40:41], vcc
	s_xor_b64 s[44:45], exec, s[40:41]
	s_cbranch_execz .LBB2_1470
; %bb.1461:                             ;   in Loop: Header=BB2_1059 Depth=4
	v_mov_b32_e32 v1, 0
	v_cmp_ne_u32_e32 vcc, 0, v9
	s_and_saveexec_b64 s[46:47], vcc
	s_cbranch_execz .LBB2_1469
; %bb.1462:                             ;   in Loop: Header=BB2_1059 Depth=4
	v_bfe_u32 v1, v9, 23, 8
	v_cmp_gt_u32_e64 s[40:41], s56, v1
	v_sub_u32_e32 v4, 0x79, v1
	v_and_b32_e32 v3, 0x7fffff, v9
	v_cmp_eq_u32_e32 vcc, 0, v1
	v_cndmask_b32_e64 v4, 0, v4, s[40:41]
	v_mov_b32_e32 v9, 0x78
	v_or_b32_e32 v8, 0x800000, v3
	v_cndmask_b32_e32 v18, v4, v9, vcc
	v_cndmask_b32_e32 v34, v8, v3, vcc
	v_add_u32_e32 v3, 20, v18
	v_lshlrev_b64 v[8:9], v3, -1
	v_add_u32_e32 v3, 19, v18
	v_lshlrev_b64 v[12:13], v3, 1
	v_bfi_b32 v9, v9, 0, 0
	v_bfi_b32 v8, v8, 0, v34
	v_cmp_eq_u64_e64 s[40:41], v[8:9], v[12:13]
	v_lshrrev_b64 v[8:9], v18, v[34:35]
	v_mov_b32_e32 v13, v9
	v_mov_b32_e32 v12, v8
	s_and_saveexec_b64 s[54:55], s[40:41]
; %bb.1463:                             ;   in Loop: Header=BB2_1059 Depth=4
	v_bfe_u32 v3, v8, 20, 1
	v_add_co_u32_e64 v3, s[40:41], v8, v3
	v_add_co_u32_e64 v12, s[40:41], -1, v3
; %bb.1464:                             ;   in Loop: Header=BB2_1059 Depth=4
	s_or_b64 exec, exec, s[54:55]
	v_add_u32_e32 v1, 0xffffff81, v1
	v_cndmask_b32_e32 v1, v1, v52, vcc
	v_lshrrev_b32_e32 v3, 23, v8
	v_add3_u32 v18, v18, v1, v3
	v_add_u32_e32 v13, 6, v18
	v_and_b32_e32 v1, 0xfffff, v12
	v_add_u32_e32 v34, v1, v8
	v_cmp_ne_u32_e32 vcc, 0, v13
                                        ; implicit-def: $vgpr8_vgpr9
                                        ; implicit-def: $vgpr1
	s_and_saveexec_b64 s[40:41], vcc
	s_xor_b64 s[40:41], exec, s[40:41]
; %bb.1465:                             ;   in Loop: Header=BB2_1059 Depth=4
	v_cmp_lt_u64_e32 vcc, s[94:95], v[34:35]
	v_add_u32_e32 v1, 7, v18
	v_cndmask_b32_e64 v3, 0, 1, vcc
	v_cndmask_b32_e32 v1, v13, v1, vcc
	v_lshrrev_b64 v[8:9], v3, v[34:35]
; %bb.1466:                             ;   in Loop: Header=BB2_1059 Depth=4
	s_andn2_saveexec_b64 s[40:41], s[40:41]
; %bb.1467:                             ;   in Loop: Header=BB2_1059 Depth=4
	v_mov_b32_e32 v8, v34
	v_bfe_u32 v1, v34, 23, 1
	v_mov_b32_e32 v9, v35
; %bb.1468:                             ;   in Loop: Header=BB2_1059 Depth=4
	s_or_b64 exec, exec, s[40:41]
	v_lshrrev_b64 v[8:9], 20, v[8:9]
	v_cmp_gt_i32_e32 vcc, 16, v1
	v_cndmask_b32_e32 v9, 0, v9, vcc
	v_cndmask_b32_e32 v8, 7, v8, vcc
	v_cmp_eq_u32_e32 vcc, 0, v1
	v_min_i32_e32 v1, 15, v1
	v_cmp_eq_u64_e64 s[40:41], 0, v[8:9]
	v_lshlrev_b32_e32 v1, 3, v1
	v_and_b32_e32 v1, 0xf8, v1
	v_and_or_b32 v1, v8, 7, v1
	s_and_b64 s[40:41], vcc, s[40:41]
	v_cndmask_b32_e64 v1, v1, 0, s[40:41]
	v_or_b32_e32 v1, v1, v7
.LBB2_1469:                             ;   in Loop: Header=BB2_1059 Depth=4
	s_or_b64 exec, exec, s[46:47]
                                        ; implicit-def: $vgpr7
.LBB2_1470:                             ;   in Loop: Header=BB2_1059 Depth=4
	s_andn2_saveexec_b64 s[40:41], s[44:45]
; %bb.1471:                             ;   in Loop: Header=BB2_1059 Depth=4
	v_or_b32_e32 v1, 0x7e, v7
; %bb.1472:                             ;   in Loop: Header=BB2_1059 Depth=4
	s_or_b64 exec, exec, s[40:41]
                                        ; implicit-def: $vgpr9
.LBB2_1473:                             ;   in Loop: Header=BB2_1059 Depth=4
	s_andn2_saveexec_b64 s[40:41], s[42:43]
; %bb.1474:                             ;   in Loop: Header=BB2_1059 Depth=4
	v_or_b32_sdwa v1, v9, s97 dst_sel:DWORD dst_unused:UNUSED_PAD src0_sel:BYTE_3 src1_sel:DWORD
; %bb.1475:                             ;   in Loop: Header=BB2_1059 Depth=4
	s_or_b64 exec, exec, s[40:41]
	v_bfe_u32 v3, v14, 16, 3
	v_bfe_u32 v4, v14, 16, 7
	v_cmp_eq_u32_e64 s[40:41], s97, v4
	v_cmp_gt_u32_e32 vcc, 8, v4
	v_ffbh_u32_e32 v4, v3
	v_min_u32_e32 v4, 32, v4
	v_lshrrev_b32_e32 v8, 16, v14
	v_subrev_u32_e32 v9, 28, v4
	v_lshlrev_b64 v[12:13], v9, v[8:9]
	v_bfe_u32 v7, v8, 3, 4
	v_sub_u32_e32 v4, 29, v4
	v_and_b32_e32 v9, 7, v12
	v_cndmask_b32_e32 v4, v7, v4, vcc
	v_cndmask_b32_e32 v3, v3, v9, vcc
	v_lshlrev_b32_e32 v7, 8, v14
	v_lshlrev_b32_e32 v3, 20, v3
	v_and_b32_e32 v7, 0x80000000, v7
	v_lshl_add_u32 v4, v4, 23, v48
	v_lshrrev_b32_e32 v9, 16, v10
	v_or3_b32 v7, v7, v4, v3
	v_cmp_ne_u16_sdwa s[42:43], v9, v35 src0_sel:BYTE_0 src1_sel:DWORD
	s_mov_b64 s[44:45], -1
	s_and_b64 vcc, exec, s[52:53]
                                        ; implicit-def: $vgpr12
	s_cbranch_vccz .LBB2_1489
; %bb.1476:                             ;   in Loop: Header=BB2_1059 Depth=4
	v_mov_b32_e32 v12, 0
	s_and_saveexec_b64 s[44:45], s[42:43]
	s_cbranch_execz .LBB2_1482
; %bb.1477:                             ;   in Loop: Header=BB2_1059 Depth=4
	v_cmp_ne_u16_sdwa vcc, v9, s59 src0_sel:BYTE_0 src1_sel:DWORD
	v_bfrev_b32_e32 v12, 1
	s_and_saveexec_b64 s[46:47], vcc
	s_cbranch_execz .LBB2_1481
; %bb.1478:                             ;   in Loop: Header=BB2_1059 Depth=4
	v_bfe_u32 v13, v10, 16, 7
	v_cmp_ne_u32_e32 vcc, s97, v13
	v_mov_b32_e32 v12, 0x7f800001
	s_and_saveexec_b64 s[54:55], vcc
	s_cbranch_execz .LBB2_1480
; %bb.1479:                             ;   in Loop: Header=BB2_1059 Depth=4
	v_and_b32_e32 v3, 7, v9
	v_ffbh_u32_e32 v12, v3
	v_min_u32_e32 v18, 32, v12
	v_subrev_u32_e32 v12, 28, v18
	v_lshrrev_b32_e32 v4, 3, v13
	v_cmp_gt_u32_e32 vcc, 8, v13
	v_lshlrev_b64 v[12:13], v12, v[9:10]
	v_sub_u32_e32 v13, 29, v18
	v_and_b32_e32 v12, 7, v12
	v_cndmask_b32_e32 v4, v4, v13, vcc
	v_cndmask_b32_e32 v3, v3, v12, vcc
	v_lshlrev_b32_e32 v12, 24, v9
	v_lshlrev_b32_e32 v3, 20, v3
	v_and_b32_e32 v12, 0x80000000, v12
	v_lshl_add_u32 v4, v4, 23, v48
	v_or3_b32 v12, v12, v4, v3
.LBB2_1480:                             ;   in Loop: Header=BB2_1059 Depth=4
	s_or_b64 exec, exec, s[54:55]
.LBB2_1481:                             ;   in Loop: Header=BB2_1059 Depth=4
	s_or_b64 exec, exec, s[46:47]
.LBB2_1482:                             ;   in Loop: Header=BB2_1059 Depth=4
	s_or_b64 exec, exec, s[44:45]
	v_cmp_gt_i16_sdwa s[46:47], v8, s97 src0_sel:BYTE_0 src1_sel:DWORD
	s_mov_b64 s[44:45], 0
	s_and_saveexec_b64 vcc, s[46:47]
	s_xor_b64 s[46:47], exec, vcc
	s_cbranch_execz .LBB2_1747
; %bb.1483:                             ;   in Loop: Header=BB2_1059 Depth=4
	v_cmp_eq_u16_sdwa s[54:55], v8, s59 src0_sel:BYTE_0 src1_sel:DWORD
	s_mov_b64 s[44:45], -1
	s_and_saveexec_b64 vcc, s[54:55]
; %bb.1484:                             ;   in Loop: Header=BB2_1059 Depth=4
	s_xor_b64 s[44:45], exec, -1
; %bb.1485:                             ;   in Loop: Header=BB2_1059 Depth=4
	s_or_b64 exec, exec, vcc
	s_and_b64 s[44:45], s[44:45], exec
	s_or_saveexec_b64 s[46:47], s[46:47]
	v_bfrev_b32_e32 v13, 1
	s_xor_b64 exec, exec, s[46:47]
	s_cbranch_execnz .LBB2_1748
.LBB2_1486:                             ;   in Loop: Header=BB2_1059 Depth=4
	s_or_b64 exec, exec, s[46:47]
	s_and_saveexec_b64 s[46:47], s[44:45]
.LBB2_1487:                             ;   in Loop: Header=BB2_1059 Depth=4
	v_cndmask_b32_e64 v13, v7, v49, s[40:41]
.LBB2_1488:                             ;   in Loop: Header=BB2_1059 Depth=4
	s_or_b64 exec, exec, s[46:47]
	v_max_f32_e32 v3, v13, v13
	v_max_f32_e32 v4, v12, v12
	;; [unrolled: 1-line block ×3, first 2 shown]
	s_mov_b64 s[44:45], 0
.LBB2_1489:                             ;   in Loop: Header=BB2_1059 Depth=4
	s_and_b64 vcc, exec, s[44:45]
	s_cbranch_vccz .LBB2_1503
; %bb.1490:                             ;   in Loop: Header=BB2_1059 Depth=4
	v_mov_b32_e32 v12, 0
	s_and_saveexec_b64 s[44:45], s[42:43]
	s_cbranch_execz .LBB2_1496
; %bb.1491:                             ;   in Loop: Header=BB2_1059 Depth=4
	v_cmp_ne_u16_sdwa s[46:47], v9, s59 src0_sel:BYTE_0 src1_sel:DWORD
	v_bfrev_b32_e32 v12, 1
	s_and_saveexec_b64 s[42:43], s[46:47]
	s_cbranch_execz .LBB2_1495
; %bb.1492:                             ;   in Loop: Header=BB2_1059 Depth=4
	v_bfe_u32 v13, v10, 16, 7
	v_cmp_ne_u32_e32 vcc, s97, v13
	v_mov_b32_e32 v12, 0x7f800001
	s_and_saveexec_b64 s[46:47], vcc
	s_cbranch_execz .LBB2_1494
; %bb.1493:                             ;   in Loop: Header=BB2_1059 Depth=4
	v_and_b32_e32 v3, 7, v9
	v_ffbh_u32_e32 v12, v3
	v_min_u32_e32 v18, 32, v12
	v_subrev_u32_e32 v12, 28, v18
	v_lshrrev_b32_e32 v4, 3, v13
	v_cmp_gt_u32_e32 vcc, 8, v13
	v_lshlrev_b64 v[12:13], v12, v[9:10]
	v_sub_u32_e32 v13, 29, v18
	v_and_b32_e32 v12, 7, v12
	v_cndmask_b32_e32 v4, v4, v13, vcc
	v_cndmask_b32_e32 v3, v3, v12, vcc
	v_lshlrev_b32_e32 v9, 24, v9
	v_lshlrev_b32_e32 v3, 20, v3
	v_and_b32_e32 v9, 0x80000000, v9
	v_lshl_add_u32 v4, v4, 23, v48
	v_or3_b32 v12, v9, v4, v3
.LBB2_1494:                             ;   in Loop: Header=BB2_1059 Depth=4
	s_or_b64 exec, exec, s[46:47]
.LBB2_1495:                             ;   in Loop: Header=BB2_1059 Depth=4
	s_or_b64 exec, exec, s[42:43]
.LBB2_1496:                             ;   in Loop: Header=BB2_1059 Depth=4
	s_or_b64 exec, exec, s[44:45]
	v_cmp_gt_i16_sdwa s[44:45], v8, s97 src0_sel:BYTE_0 src1_sel:DWORD
	s_mov_b64 s[42:43], 0
	s_and_saveexec_b64 s[46:47], s[44:45]
	s_xor_b64 s[44:45], exec, s[46:47]
	s_cbranch_execz .LBB2_1749
; %bb.1497:                             ;   in Loop: Header=BB2_1059 Depth=4
	v_cmp_eq_u16_sdwa vcc, v8, s59 src0_sel:BYTE_0 src1_sel:DWORD
	s_mov_b64 s[42:43], -1
	s_and_saveexec_b64 s[46:47], vcc
; %bb.1498:                             ;   in Loop: Header=BB2_1059 Depth=4
	s_xor_b64 s[42:43], exec, -1
; %bb.1499:                             ;   in Loop: Header=BB2_1059 Depth=4
	s_or_b64 exec, exec, s[46:47]
	s_and_b64 s[42:43], s[42:43], exec
                                        ; implicit-def: $vgpr8
	s_or_saveexec_b64 s[44:45], s[44:45]
	v_bfrev_b32_e32 v9, 1
	s_xor_b64 exec, exec, s[44:45]
	s_cbranch_execnz .LBB2_1750
.LBB2_1500:                             ;   in Loop: Header=BB2_1059 Depth=4
	s_or_b64 exec, exec, s[44:45]
	s_and_saveexec_b64 s[44:45], s[42:43]
.LBB2_1501:                             ;   in Loop: Header=BB2_1059 Depth=4
	v_cndmask_b32_e64 v9, v7, v49, s[40:41]
.LBB2_1502:                             ;   in Loop: Header=BB2_1059 Depth=4
	s_or_b64 exec, exec, s[44:45]
	v_max_f32_e32 v3, v9, v9
	v_max_f32_e32 v4, v12, v12
	v_min_f32_e32 v12, v4, v3
.LBB2_1503:                             ;   in Loop: Header=BB2_1059 Depth=4
	v_and_b32_e32 v34, 0x7f800000, v12
	v_cmp_ne_u64_e32 vcc, s[90:91], v[34:35]
                                        ; implicit-def: $vgpr7
	s_and_saveexec_b64 s[40:41], vcc
	s_xor_b64 s[42:43], exec, s[40:41]
	s_cbranch_execz .LBB2_1517
; %bb.1504:                             ;   in Loop: Header=BB2_1059 Depth=4
	v_and_b32_e32 v34, 0x7fffffff, v12
	v_cmp_gt_u64_e32 vcc, s[92:93], v[34:35]
	v_and_b32_sdwa v18, v12, s59 dst_sel:DWORD dst_unused:UNUSED_PAD src0_sel:BYTE_3 src1_sel:DWORD
                                        ; implicit-def: $vgpr7
	s_and_saveexec_b64 s[40:41], vcc
	s_xor_b64 s[44:45], exec, s[40:41]
	s_cbranch_execz .LBB2_1514
; %bb.1505:                             ;   in Loop: Header=BB2_1059 Depth=4
	v_mov_b32_e32 v7, 0
	v_cmp_ne_u32_e32 vcc, 0, v12
	s_and_saveexec_b64 s[46:47], vcc
	s_cbranch_execz .LBB2_1513
; %bb.1506:                             ;   in Loop: Header=BB2_1059 Depth=4
	v_bfe_u32 v7, v12, 23, 8
	v_cmp_gt_u32_e64 s[40:41], s56, v7
	v_sub_u32_e32 v4, 0x79, v7
	v_and_b32_e32 v3, 0x7fffff, v12
	v_cmp_eq_u32_e32 vcc, 0, v7
	v_cndmask_b32_e64 v4, 0, v4, s[40:41]
	v_mov_b32_e32 v9, 0x78
	v_or_b32_e32 v8, 0x800000, v3
	v_cndmask_b32_e32 v19, v4, v9, vcc
	v_cndmask_b32_e32 v34, v8, v3, vcc
	v_add_u32_e32 v3, 20, v19
	v_lshlrev_b64 v[8:9], v3, -1
	v_add_u32_e32 v3, 19, v19
	v_lshlrev_b64 v[12:13], v3, 1
	v_bfi_b32 v9, v9, 0, 0
	v_bfi_b32 v8, v8, 0, v34
	v_cmp_eq_u64_e64 s[40:41], v[8:9], v[12:13]
	v_lshrrev_b64 v[8:9], v19, v[34:35]
	v_mov_b32_e32 v13, v9
	v_mov_b32_e32 v12, v8
	s_and_saveexec_b64 s[54:55], s[40:41]
; %bb.1507:                             ;   in Loop: Header=BB2_1059 Depth=4
	v_bfe_u32 v3, v8, 20, 1
	v_add_co_u32_e64 v3, s[40:41], v8, v3
	v_add_co_u32_e64 v12, s[40:41], -1, v3
; %bb.1508:                             ;   in Loop: Header=BB2_1059 Depth=4
	s_or_b64 exec, exec, s[54:55]
	v_add_u32_e32 v3, 0xffffff81, v7
	v_cndmask_b32_e32 v3, v3, v52, vcc
	v_lshrrev_b32_e32 v4, 23, v8
	v_add3_u32 v19, v19, v3, v4
	v_add_u32_e32 v13, 6, v19
	v_and_b32_e32 v3, 0xfffff, v12
	v_add_u32_e32 v34, v3, v8
	v_cmp_ne_u32_e32 vcc, 0, v13
                                        ; implicit-def: $vgpr8_vgpr9
                                        ; implicit-def: $vgpr7
	s_and_saveexec_b64 s[40:41], vcc
	s_xor_b64 s[40:41], exec, s[40:41]
; %bb.1509:                             ;   in Loop: Header=BB2_1059 Depth=4
	v_cmp_lt_u64_e32 vcc, s[94:95], v[34:35]
	v_add_u32_e32 v3, 7, v19
	v_cndmask_b32_e32 v7, v13, v3, vcc
	v_cndmask_b32_e64 v3, 0, 1, vcc
	v_lshrrev_b64 v[8:9], v3, v[34:35]
; %bb.1510:                             ;   in Loop: Header=BB2_1059 Depth=4
	s_andn2_saveexec_b64 s[40:41], s[40:41]
; %bb.1511:                             ;   in Loop: Header=BB2_1059 Depth=4
	v_mov_b32_e32 v8, v34
	v_bfe_u32 v7, v34, 23, 1
	v_mov_b32_e32 v9, v35
; %bb.1512:                             ;   in Loop: Header=BB2_1059 Depth=4
	s_or_b64 exec, exec, s[40:41]
	v_lshrrev_b64 v[8:9], 20, v[8:9]
	v_cmp_gt_i32_e32 vcc, 16, v7
	v_cndmask_b32_e32 v9, 0, v9, vcc
	v_cndmask_b32_e32 v8, 7, v8, vcc
	v_min_i32_e32 v3, 15, v7
	v_cmp_eq_u64_e64 s[40:41], 0, v[8:9]
	v_lshlrev_b32_e32 v3, 3, v3
	v_cmp_eq_u32_e32 vcc, 0, v7
	v_and_b32_e32 v3, 0xf8, v3
	v_and_or_b32 v3, v8, 7, v3
	s_and_b64 s[40:41], vcc, s[40:41]
	v_cndmask_b32_e64 v3, v3, 0, s[40:41]
	v_or_b32_e32 v7, v3, v18
.LBB2_1513:                             ;   in Loop: Header=BB2_1059 Depth=4
	s_or_b64 exec, exec, s[46:47]
                                        ; implicit-def: $vgpr18
.LBB2_1514:                             ;   in Loop: Header=BB2_1059 Depth=4
	s_andn2_saveexec_b64 s[40:41], s[44:45]
; %bb.1515:                             ;   in Loop: Header=BB2_1059 Depth=4
	v_or_b32_e32 v7, 0x7e, v18
; %bb.1516:                             ;   in Loop: Header=BB2_1059 Depth=4
	s_or_b64 exec, exec, s[40:41]
                                        ; implicit-def: $vgpr12
.LBB2_1517:                             ;   in Loop: Header=BB2_1059 Depth=4
	s_andn2_saveexec_b64 s[40:41], s[42:43]
; %bb.1518:                             ;   in Loop: Header=BB2_1059 Depth=4
	v_or_b32_sdwa v7, v12, s97 dst_sel:DWORD dst_unused:UNUSED_PAD src0_sel:BYTE_3 src1_sel:DWORD
; %bb.1519:                             ;   in Loop: Header=BB2_1059 Depth=4
	s_or_b64 exec, exec, s[40:41]
	v_bfe_u32 v3, v14, 24, 3
	v_bfe_u32 v4, v14, 24, 7
	v_cmp_eq_u32_e64 s[44:45], s97, v4
	v_cmp_gt_u32_e32 vcc, 8, v4
	v_ffbh_u32_e32 v4, v3
	v_min_u32_e32 v4, 32, v4
	v_lshrrev_b32_e32 v9, 24, v14
	v_subrev_u32_e32 v12, 28, v4
	v_lshlrev_b64 v[12:13], v12, v[9:10]
	v_bfe_u32 v18, v9, 3, 4
	v_cmp_eq_u32_e64 s[42:43], s59, v9
	v_sub_u32_e32 v4, 29, v4
	v_and_b32_e32 v9, 7, v12
	v_cndmask_b32_e32 v4, v18, v4, vcc
	v_cndmask_b32_e32 v3, v3, v9, vcc
	v_lshlrev_b32_e32 v3, 20, v3
	v_and_b32_e32 v9, 0x80000000, v14
	v_lshl_add_u32 v4, v4, 23, v48
	v_lshrrev_b32_e32 v8, 24, v10
	v_cmp_gt_u32_e64 s[40:41], s61, v14
	v_or3_b32 v9, v9, v4, v3
	v_cmp_lt_u32_e64 s[46:47], s63, v10
	s_mov_b64 s[54:55], -1
	s_and_b64 vcc, exec, s[52:53]
                                        ; implicit-def: $vgpr12
	s_cbranch_vccz .LBB2_1527
; %bb.1520:                             ;   in Loop: Header=BB2_1059 Depth=4
	v_mov_b32_e32 v12, 0
	s_and_saveexec_b64 s[54:55], s[46:47]
	s_cbranch_execz .LBB2_1526
; %bb.1521:                             ;   in Loop: Header=BB2_1059 Depth=4
	v_cmp_ne_u32_e32 vcc, s59, v8
	v_bfrev_b32_e32 v12, 1
	s_and_saveexec_b64 s[64:65], vcc
	s_cbranch_execz .LBB2_1525
; %bb.1522:                             ;   in Loop: Header=BB2_1059 Depth=4
	v_bfe_u32 v13, v10, 24, 7
	v_cmp_ne_u32_e32 vcc, s97, v13
	v_mov_b32_e32 v12, 0x7f800001
	s_and_saveexec_b64 s[66:67], vcc
	s_cbranch_execz .LBB2_1524
; %bb.1523:                             ;   in Loop: Header=BB2_1059 Depth=4
	v_and_b32_e32 v3, 7, v8
	v_ffbh_u32_e32 v12, v3
	v_min_u32_e32 v18, 32, v12
	v_subrev_u32_e32 v12, 28, v18
	v_lshrrev_b32_e32 v4, 3, v13
	v_cmp_gt_u32_e32 vcc, 8, v13
	v_lshlrev_b64 v[12:13], v12, v[8:9]
	v_sub_u32_e32 v13, 29, v18
	v_and_b32_e32 v12, 7, v12
	v_cndmask_b32_e32 v4, v4, v13, vcc
	v_cndmask_b32_e32 v3, v3, v12, vcc
	v_lshlrev_b32_e32 v12, 24, v8
	v_lshlrev_b32_e32 v3, 20, v3
	v_and_b32_e32 v12, 0x80000000, v12
	v_lshl_add_u32 v4, v4, 23, v48
	v_or3_b32 v12, v12, v4, v3
.LBB2_1524:                             ;   in Loop: Header=BB2_1059 Depth=4
	s_or_b64 exec, exec, s[66:67]
.LBB2_1525:                             ;   in Loop: Header=BB2_1059 Depth=4
	s_or_b64 exec, exec, s[64:65]
.LBB2_1526:                             ;   in Loop: Header=BB2_1059 Depth=4
	s_or_b64 exec, exec, s[54:55]
	v_cndmask_b32_e64 v3, v9, v49, s[44:45]
	v_cndmask_b32_e64 v3, v3, v0, s[42:43]
	v_cndmask_b32_e64 v3, v3, 0, s[40:41]
	v_max_f32_e32 v3, v3, v3
	v_max_f32_e32 v4, v12, v12
	;; [unrolled: 1-line block ×3, first 2 shown]
	s_mov_b64 s[54:55], 0
.LBB2_1527:                             ;   in Loop: Header=BB2_1059 Depth=4
	s_and_b64 vcc, exec, s[54:55]
	s_cbranch_vccz .LBB2_1535
; %bb.1528:                             ;   in Loop: Header=BB2_1059 Depth=4
	v_mov_b32_e32 v12, 0
	s_and_saveexec_b64 s[54:55], s[46:47]
	s_cbranch_execz .LBB2_1534
; %bb.1529:                             ;   in Loop: Header=BB2_1059 Depth=4
	v_cmp_ne_u32_e32 vcc, s59, v8
	v_bfrev_b32_e32 v12, 1
	s_and_saveexec_b64 s[46:47], vcc
	s_cbranch_execz .LBB2_1533
; %bb.1530:                             ;   in Loop: Header=BB2_1059 Depth=4
	v_bfe_u32 v13, v10, 24, 7
	v_cmp_ne_u32_e32 vcc, s97, v13
	v_mov_b32_e32 v12, 0x7f800001
	s_and_saveexec_b64 s[64:65], vcc
	s_cbranch_execz .LBB2_1532
; %bb.1531:                             ;   in Loop: Header=BB2_1059 Depth=4
	v_and_b32_e32 v3, 7, v8
	v_ffbh_u32_e32 v12, v3
	v_min_u32_e32 v18, 32, v12
	v_subrev_u32_e32 v12, 28, v18
	v_lshrrev_b32_e32 v4, 3, v13
	v_cmp_gt_u32_e32 vcc, 8, v13
	v_lshlrev_b64 v[12:13], v12, v[8:9]
	v_sub_u32_e32 v13, 29, v18
	v_and_b32_e32 v12, 7, v12
	v_cndmask_b32_e32 v4, v4, v13, vcc
	v_cndmask_b32_e32 v3, v3, v12, vcc
	v_lshlrev_b32_e32 v8, 24, v8
	v_lshlrev_b32_e32 v3, 20, v3
	v_and_b32_e32 v8, 0x80000000, v8
	v_lshl_add_u32 v4, v4, 23, v48
	v_or3_b32 v12, v8, v4, v3
.LBB2_1532:                             ;   in Loop: Header=BB2_1059 Depth=4
	s_or_b64 exec, exec, s[64:65]
.LBB2_1533:                             ;   in Loop: Header=BB2_1059 Depth=4
	s_or_b64 exec, exec, s[46:47]
.LBB2_1534:                             ;   in Loop: Header=BB2_1059 Depth=4
	s_or_b64 exec, exec, s[54:55]
	v_cndmask_b32_e64 v3, v9, v49, s[44:45]
	v_cndmask_b32_e64 v3, v3, v0, s[42:43]
	;; [unrolled: 1-line block ×3, first 2 shown]
	v_max_f32_e32 v3, v3, v3
	v_max_f32_e32 v4, v12, v12
	v_min_f32_e32 v12, v4, v3
.LBB2_1535:                             ;   in Loop: Header=BB2_1059 Depth=4
	v_and_b32_e32 v34, 0x7f800000, v12
	v_cmp_ne_u64_e32 vcc, s[90:91], v[34:35]
                                        ; implicit-def: $vgpr24
	s_and_saveexec_b64 s[40:41], vcc
	s_xor_b64 s[42:43], exec, s[40:41]
	s_cbranch_execz .LBB2_1549
; %bb.1536:                             ;   in Loop: Header=BB2_1059 Depth=4
	v_and_b32_e32 v34, 0x7fffffff, v12
	v_cmp_gt_u64_e32 vcc, s[92:93], v[34:35]
	v_and_b32_sdwa v18, v12, s59 dst_sel:DWORD dst_unused:UNUSED_PAD src0_sel:BYTE_3 src1_sel:DWORD
                                        ; implicit-def: $vgpr24
	s_and_saveexec_b64 s[40:41], vcc
	s_xor_b64 s[44:45], exec, s[40:41]
	s_cbranch_execz .LBB2_1546
; %bb.1537:                             ;   in Loop: Header=BB2_1059 Depth=4
	v_mov_b32_e32 v24, 0
	v_cmp_ne_u32_e32 vcc, 0, v12
	s_and_saveexec_b64 s[46:47], vcc
	s_cbranch_execz .LBB2_1545
; %bb.1538:                             ;   in Loop: Header=BB2_1059 Depth=4
	v_bfe_u32 v19, v12, 23, 8
	v_cmp_gt_u32_e64 s[40:41], s56, v19
	v_sub_u32_e32 v4, 0x79, v19
	v_and_b32_e32 v3, 0x7fffff, v12
	v_cmp_eq_u32_e32 vcc, 0, v19
	v_cndmask_b32_e64 v4, 0, v4, s[40:41]
	v_mov_b32_e32 v9, 0x78
	v_or_b32_e32 v8, 0x800000, v3
	v_cndmask_b32_e32 v24, v4, v9, vcc
	v_cndmask_b32_e32 v34, v8, v3, vcc
	v_add_u32_e32 v3, 20, v24
	v_lshlrev_b64 v[8:9], v3, -1
	v_add_u32_e32 v3, 19, v24
	v_lshlrev_b64 v[12:13], v3, 1
	v_bfi_b32 v9, v9, 0, 0
	v_bfi_b32 v8, v8, 0, v34
	v_cmp_eq_u64_e64 s[40:41], v[8:9], v[12:13]
	v_lshrrev_b64 v[8:9], v24, v[34:35]
	v_mov_b32_e32 v13, v9
	v_mov_b32_e32 v12, v8
	s_and_saveexec_b64 s[54:55], s[40:41]
; %bb.1539:                             ;   in Loop: Header=BB2_1059 Depth=4
	v_bfe_u32 v3, v8, 20, 1
	v_add_co_u32_e64 v3, s[40:41], v8, v3
	v_add_co_u32_e64 v12, s[40:41], -1, v3
; %bb.1540:                             ;   in Loop: Header=BB2_1059 Depth=4
	s_or_b64 exec, exec, s[54:55]
	v_add_u32_e32 v3, 0xffffff81, v19
	v_cndmask_b32_e32 v3, v3, v52, vcc
	v_lshrrev_b32_e32 v4, 23, v8
	v_add3_u32 v19, v24, v3, v4
	v_add_u32_e32 v13, 6, v19
	v_and_b32_e32 v3, 0xfffff, v12
	v_add_u32_e32 v34, v3, v8
	v_cmp_ne_u32_e32 vcc, 0, v13
                                        ; implicit-def: $vgpr8_vgpr9
                                        ; implicit-def: $vgpr12
	s_and_saveexec_b64 s[40:41], vcc
	s_xor_b64 s[40:41], exec, s[40:41]
; %bb.1541:                             ;   in Loop: Header=BB2_1059 Depth=4
	v_cmp_lt_u64_e32 vcc, s[94:95], v[34:35]
	v_add_u32_e32 v3, 7, v19
	v_cndmask_b32_e32 v12, v13, v3, vcc
	v_cndmask_b32_e64 v3, 0, 1, vcc
	v_lshrrev_b64 v[8:9], v3, v[34:35]
; %bb.1542:                             ;   in Loop: Header=BB2_1059 Depth=4
	s_andn2_saveexec_b64 s[40:41], s[40:41]
; %bb.1543:                             ;   in Loop: Header=BB2_1059 Depth=4
	v_mov_b32_e32 v8, v34
	v_bfe_u32 v12, v34, 23, 1
	v_mov_b32_e32 v9, v35
; %bb.1544:                             ;   in Loop: Header=BB2_1059 Depth=4
	s_or_b64 exec, exec, s[40:41]
	v_lshrrev_b64 v[8:9], 20, v[8:9]
	v_cmp_gt_i32_e32 vcc, 16, v12
	v_cndmask_b32_e32 v9, 0, v9, vcc
	v_cndmask_b32_e32 v8, 7, v8, vcc
	v_min_i32_e32 v3, 15, v12
	v_cmp_eq_u64_e64 s[40:41], 0, v[8:9]
	v_lshlrev_b32_e32 v3, 3, v3
	v_cmp_eq_u32_e32 vcc, 0, v12
	v_and_b32_e32 v3, 0xf8, v3
	v_and_or_b32 v3, v8, 7, v3
	s_and_b64 s[40:41], vcc, s[40:41]
	v_cndmask_b32_e64 v3, v3, 0, s[40:41]
	v_or_b32_e32 v24, v3, v18
.LBB2_1545:                             ;   in Loop: Header=BB2_1059 Depth=4
	s_or_b64 exec, exec, s[46:47]
                                        ; implicit-def: $vgpr18
.LBB2_1546:                             ;   in Loop: Header=BB2_1059 Depth=4
	s_andn2_saveexec_b64 s[40:41], s[44:45]
; %bb.1547:                             ;   in Loop: Header=BB2_1059 Depth=4
	v_or_b32_e32 v24, 0x7e, v18
; %bb.1548:                             ;   in Loop: Header=BB2_1059 Depth=4
	s_or_b64 exec, exec, s[40:41]
                                        ; implicit-def: $vgpr12
.LBB2_1549:                             ;   in Loop: Header=BB2_1059 Depth=4
	s_andn2_saveexec_b64 s[40:41], s[42:43]
; %bb.1550:                             ;   in Loop: Header=BB2_1059 Depth=4
	v_or_b32_sdwa v24, v12, s97 dst_sel:DWORD dst_unused:UNUSED_PAD src0_sel:BYTE_3 src1_sel:DWORD
; %bb.1551:                             ;   in Loop: Header=BB2_1059 Depth=4
	s_or_b64 exec, exec, s[40:41]
	v_and_b32_e32 v3, 7, v15
	v_ffbh_u32_e32 v3, v3
	v_and_b32_e32 v4, 0x7f, v15
	v_min_u32_e32 v3, 32, v3
	v_cmp_eq_u32_e64 s[40:41], s97, v4
	v_cmp_gt_u32_e32 vcc, 8, v4
	v_subrev_u32_e32 v4, 28, v3
	v_mov_b32_e32 v8, v15
	v_mov_b32_e32 v9, v35
	v_bfe_u32 v12, v15, 3, 4
	v_sub_u32_e32 v3, 29, v3
	v_cndmask_b32_e32 v4, 0, v4, vcc
	v_cndmask_b32_e32 v3, v12, v3, vcc
	v_lshlrev_b64 v[12:13], v4, v[8:9]
	v_lshlrev_b32_e32 v9, 24, v15
	v_lshlrev_b32_e32 v4, 20, v12
	v_and_b32_e32 v4, 0x700000, v4
	v_and_b32_e32 v9, 0x80000000, v9
	v_lshl_add_u32 v3, v3, 23, v48
	v_mov_b32_e32 v34, v11
	v_or3_b32 v9, v9, v3, v4
	v_cmp_ne_u16_sdwa s[42:43], v11, v35 src0_sel:BYTE_0 src1_sel:DWORD
	s_mov_b64 s[44:45], -1
	s_and_b64 vcc, exec, s[52:53]
                                        ; implicit-def: $vgpr12
	s_cbranch_vccz .LBB2_1565
; %bb.1552:                             ;   in Loop: Header=BB2_1059 Depth=4
	v_mov_b32_e32 v12, 0
	s_and_saveexec_b64 s[44:45], s[42:43]
	s_cbranch_execz .LBB2_1558
; %bb.1553:                             ;   in Loop: Header=BB2_1059 Depth=4
	v_cmp_ne_u16_sdwa vcc, v11, s59 src0_sel:BYTE_0 src1_sel:DWORD
	v_bfrev_b32_e32 v12, 1
	s_and_saveexec_b64 s[46:47], vcc
	s_cbranch_execz .LBB2_1557
; %bb.1554:                             ;   in Loop: Header=BB2_1059 Depth=4
	v_and_b32_e32 v13, 0x7f, v11
	v_cmp_ne_u32_e32 vcc, s97, v13
	v_mov_b32_e32 v12, 0x7f800001
	s_and_saveexec_b64 s[54:55], vcc
	s_cbranch_execz .LBB2_1556
; %bb.1555:                             ;   in Loop: Header=BB2_1059 Depth=4
	v_and_b32_e32 v3, 7, v11
	v_ffbh_u32_e32 v3, v3
	v_min_u32_e32 v3, 32, v3
	v_lshrrev_b32_e32 v4, 3, v13
	v_cmp_gt_u32_e32 vcc, 8, v13
	v_subrev_u32_e32 v12, 28, v3
	v_sub_u32_e32 v3, 29, v3
	v_cndmask_b32_e32 v3, v4, v3, vcc
	v_cndmask_b32_e32 v4, 0, v12, vcc
	v_lshlrev_b64 v[12:13], v4, v[34:35]
	v_lshl_add_u32 v3, v3, 23, v48
	v_lshlrev_b32_e32 v4, 20, v12
	v_lshlrev_b32_e32 v12, 24, v34
	v_and_b32_e32 v4, 0x700000, v4
	v_and_b32_e32 v12, 0x80000000, v12
	v_or3_b32 v12, v12, v3, v4
.LBB2_1556:                             ;   in Loop: Header=BB2_1059 Depth=4
	s_or_b64 exec, exec, s[54:55]
.LBB2_1557:                             ;   in Loop: Header=BB2_1059 Depth=4
	s_or_b64 exec, exec, s[46:47]
.LBB2_1558:                             ;   in Loop: Header=BB2_1059 Depth=4
	s_or_b64 exec, exec, s[44:45]
	v_cmp_gt_i16_sdwa s[46:47], v15, s97 src0_sel:BYTE_0 src1_sel:DWORD
	s_mov_b64 s[44:45], 0
	s_and_saveexec_b64 vcc, s[46:47]
	s_xor_b64 s[46:47], exec, vcc
	s_cbranch_execz .LBB2_1751
; %bb.1559:                             ;   in Loop: Header=BB2_1059 Depth=4
	v_cmp_eq_u16_sdwa s[54:55], v15, s59 src0_sel:BYTE_0 src1_sel:DWORD
	s_mov_b64 s[44:45], -1
	s_and_saveexec_b64 vcc, s[54:55]
; %bb.1560:                             ;   in Loop: Header=BB2_1059 Depth=4
	s_xor_b64 s[44:45], exec, -1
; %bb.1561:                             ;   in Loop: Header=BB2_1059 Depth=4
	s_or_b64 exec, exec, vcc
	s_and_b64 s[44:45], s[44:45], exec
	s_or_saveexec_b64 s[46:47], s[46:47]
	v_bfrev_b32_e32 v13, 1
	s_xor_b64 exec, exec, s[46:47]
	s_cbranch_execnz .LBB2_1752
.LBB2_1562:                             ;   in Loop: Header=BB2_1059 Depth=4
	s_or_b64 exec, exec, s[46:47]
	s_and_saveexec_b64 s[46:47], s[44:45]
.LBB2_1563:                             ;   in Loop: Header=BB2_1059 Depth=4
	v_cndmask_b32_e64 v13, v9, v49, s[40:41]
.LBB2_1564:                             ;   in Loop: Header=BB2_1059 Depth=4
	s_or_b64 exec, exec, s[46:47]
	v_max_f32_e32 v3, v13, v13
	v_max_f32_e32 v4, v12, v12
	;; [unrolled: 1-line block ×3, first 2 shown]
	s_mov_b64 s[44:45], 0
.LBB2_1565:                             ;   in Loop: Header=BB2_1059 Depth=4
	s_and_b64 vcc, exec, s[44:45]
	s_cbranch_vccz .LBB2_1579
; %bb.1566:                             ;   in Loop: Header=BB2_1059 Depth=4
	v_mov_b32_e32 v12, 0
	s_and_saveexec_b64 s[44:45], s[42:43]
	s_cbranch_execz .LBB2_1572
; %bb.1567:                             ;   in Loop: Header=BB2_1059 Depth=4
	v_cmp_ne_u16_sdwa s[46:47], v11, s59 src0_sel:BYTE_0 src1_sel:DWORD
	v_bfrev_b32_e32 v12, 1
	s_and_saveexec_b64 s[42:43], s[46:47]
	s_cbranch_execz .LBB2_1571
; %bb.1568:                             ;   in Loop: Header=BB2_1059 Depth=4
	v_and_b32_e32 v13, 0x7f, v11
	v_cmp_ne_u32_e32 vcc, s97, v13
	v_mov_b32_e32 v12, 0x7f800001
	s_and_saveexec_b64 s[46:47], vcc
	s_cbranch_execz .LBB2_1570
; %bb.1569:                             ;   in Loop: Header=BB2_1059 Depth=4
	v_and_b32_e32 v3, 7, v11
	v_ffbh_u32_e32 v3, v3
	v_min_u32_e32 v3, 32, v3
	v_lshrrev_b32_e32 v4, 3, v13
	v_cmp_gt_u32_e32 vcc, 8, v13
	v_subrev_u32_e32 v12, 28, v3
	v_sub_u32_e32 v3, 29, v3
	v_cndmask_b32_e32 v3, v4, v3, vcc
	v_cndmask_b32_e32 v4, 0, v12, vcc
	v_lshlrev_b64 v[12:13], v4, v[34:35]
	v_lshl_add_u32 v3, v3, 23, v48
	v_lshlrev_b32_e32 v4, 20, v12
	v_lshlrev_b32_e32 v12, 24, v34
	v_and_b32_e32 v4, 0x700000, v4
	v_and_b32_e32 v12, 0x80000000, v12
	v_or3_b32 v12, v12, v3, v4
.LBB2_1570:                             ;   in Loop: Header=BB2_1059 Depth=4
	s_or_b64 exec, exec, s[46:47]
.LBB2_1571:                             ;   in Loop: Header=BB2_1059 Depth=4
	s_or_b64 exec, exec, s[42:43]
.LBB2_1572:                             ;   in Loop: Header=BB2_1059 Depth=4
	s_or_b64 exec, exec, s[44:45]
	v_cmp_gt_i16_sdwa s[44:45], v15, s97 src0_sel:BYTE_0 src1_sel:DWORD
	s_mov_b64 s[42:43], 0
	s_and_saveexec_b64 s[46:47], s[44:45]
	s_xor_b64 s[44:45], exec, s[46:47]
	s_cbranch_execz .LBB2_1753
; %bb.1573:                             ;   in Loop: Header=BB2_1059 Depth=4
	v_cmp_eq_u16_sdwa vcc, v15, s59 src0_sel:BYTE_0 src1_sel:DWORD
	s_mov_b64 s[42:43], -1
	s_and_saveexec_b64 s[46:47], vcc
; %bb.1574:                             ;   in Loop: Header=BB2_1059 Depth=4
	s_xor_b64 s[42:43], exec, -1
; %bb.1575:                             ;   in Loop: Header=BB2_1059 Depth=4
	s_or_b64 exec, exec, s[46:47]
	s_and_b64 s[42:43], s[42:43], exec
	s_or_saveexec_b64 s[44:45], s[44:45]
	v_bfrev_b32_e32 v13, 1
	s_xor_b64 exec, exec, s[44:45]
	s_cbranch_execnz .LBB2_1754
.LBB2_1576:                             ;   in Loop: Header=BB2_1059 Depth=4
	s_or_b64 exec, exec, s[44:45]
	s_and_saveexec_b64 s[44:45], s[42:43]
.LBB2_1577:                             ;   in Loop: Header=BB2_1059 Depth=4
	v_cndmask_b32_e64 v13, v9, v49, s[40:41]
.LBB2_1578:                             ;   in Loop: Header=BB2_1059 Depth=4
	s_or_b64 exec, exec, s[44:45]
	v_max_f32_e32 v3, v13, v13
	v_max_f32_e32 v4, v12, v12
	v_min_f32_e32 v12, v4, v3
.LBB2_1579:                             ;   in Loop: Header=BB2_1059 Depth=4
	v_and_b32_e32 v18, 0x7f800000, v12
	v_mov_b32_e32 v19, v35
	v_cmp_ne_u64_e32 vcc, s[90:91], v[18:19]
                                        ; implicit-def: $vgpr18
	s_and_saveexec_b64 s[40:41], vcc
	s_xor_b64 s[42:43], exec, s[40:41]
	s_cbranch_execz .LBB2_1593
; %bb.1580:                             ;   in Loop: Header=BB2_1059 Depth=4
	v_and_b32_e32 v18, 0x7fffffff, v12
	v_mov_b32_e32 v19, v35
	v_cmp_gt_u64_e32 vcc, s[92:93], v[18:19]
	v_and_b32_sdwa v9, v12, s59 dst_sel:DWORD dst_unused:UNUSED_PAD src0_sel:BYTE_3 src1_sel:DWORD
                                        ; implicit-def: $vgpr18
	s_and_saveexec_b64 s[40:41], vcc
	s_xor_b64 s[44:45], exec, s[40:41]
	s_cbranch_execz .LBB2_1590
; %bb.1581:                             ;   in Loop: Header=BB2_1059 Depth=4
	v_mov_b32_e32 v18, 0
	v_cmp_ne_u32_e32 vcc, 0, v12
	s_and_saveexec_b64 s[46:47], vcc
	s_cbranch_execz .LBB2_1589
; %bb.1582:                             ;   in Loop: Header=BB2_1059 Depth=4
	v_bfe_u32 v25, v12, 23, 8
	v_cmp_gt_u32_e64 s[40:41], s56, v25
	v_sub_u32_e32 v4, 0x79, v25
	v_and_b32_e32 v3, 0x7fffff, v12
	v_cmp_eq_u32_e32 vcc, 0, v25
	v_cndmask_b32_e64 v4, 0, v4, s[40:41]
	v_mov_b32_e32 v13, 0x78
	v_or_b32_e32 v12, 0x800000, v3
	v_cndmask_b32_e32 v40, v4, v13, vcc
	v_cndmask_b32_e32 v12, v12, v3, vcc
	v_add_u32_e32 v3, 20, v40
	v_lshlrev_b64 v[18:19], v3, -1
	v_mov_b32_e32 v13, v35
	v_add_u32_e32 v3, 19, v40
	v_bfi_b32 v18, v18, 0, v12
	v_lshlrev_b64 v[3:4], v3, 1
	v_lshrrev_b64 v[12:13], v40, v[12:13]
	v_bfi_b32 v19, v19, 0, 0
	v_cmp_eq_u64_e64 s[40:41], v[18:19], v[3:4]
	v_mov_b32_e32 v19, v13
	v_mov_b32_e32 v18, v12
	s_and_saveexec_b64 s[54:55], s[40:41]
; %bb.1583:                             ;   in Loop: Header=BB2_1059 Depth=4
	v_bfe_u32 v3, v12, 20, 1
	v_add_co_u32_e64 v3, s[40:41], v12, v3
	v_add_co_u32_e64 v18, s[40:41], -1, v3
; %bb.1584:                             ;   in Loop: Header=BB2_1059 Depth=4
	s_or_b64 exec, exec, s[54:55]
	v_add_u32_e32 v3, 0xffffff81, v25
	v_cndmask_b32_e32 v3, v3, v52, vcc
	v_lshrrev_b32_e32 v4, 23, v12
	v_add3_u32 v25, v40, v3, v4
	v_add_u32_e32 v19, 6, v25
	v_and_b32_e32 v3, 0xfffff, v18
	v_add_u32_e32 v12, v3, v12
	v_mov_b32_e32 v13, v35
	v_cmp_ne_u32_e32 vcc, 0, v19
                                        ; implicit-def: $vgpr18
	s_and_saveexec_b64 s[40:41], vcc
	s_xor_b64 s[40:41], exec, s[40:41]
; %bb.1585:                             ;   in Loop: Header=BB2_1059 Depth=4
	v_cmp_lt_u64_e32 vcc, s[94:95], v[12:13]
	v_add_u32_e32 v3, 7, v25
	v_cndmask_b32_e32 v18, v19, v3, vcc
	v_cndmask_b32_e64 v3, 0, 1, vcc
	v_lshrrev_b64 v[12:13], v3, v[12:13]
; %bb.1586:                             ;   in Loop: Header=BB2_1059 Depth=4
	s_andn2_saveexec_b64 s[40:41], s[40:41]
; %bb.1587:                             ;   in Loop: Header=BB2_1059 Depth=4
	v_bfe_u32 v18, v12, 23, 1
; %bb.1588:                             ;   in Loop: Header=BB2_1059 Depth=4
	s_or_b64 exec, exec, s[40:41]
	v_lshrrev_b64 v[3:4], 20, v[12:13]
	v_cmp_gt_i32_e32 vcc, 16, v18
	v_cndmask_b32_e32 v4, 0, v4, vcc
	v_cndmask_b32_e32 v3, 7, v3, vcc
	v_cmp_eq_u64_e64 s[40:41], 0, v[3:4]
	v_min_i32_e32 v4, 15, v18
	v_lshlrev_b32_e32 v4, 3, v4
	v_cmp_eq_u32_e32 vcc, 0, v18
	v_and_b32_e32 v4, 0xf8, v4
	v_and_or_b32 v3, v3, 7, v4
	s_and_b64 s[40:41], vcc, s[40:41]
	v_cndmask_b32_e64 v3, v3, 0, s[40:41]
	v_or_b32_e32 v18, v3, v9
.LBB2_1589:                             ;   in Loop: Header=BB2_1059 Depth=4
	s_or_b64 exec, exec, s[46:47]
                                        ; implicit-def: $vgpr9
.LBB2_1590:                             ;   in Loop: Header=BB2_1059 Depth=4
	s_andn2_saveexec_b64 s[40:41], s[44:45]
; %bb.1591:                             ;   in Loop: Header=BB2_1059 Depth=4
	v_or_b32_e32 v18, 0x7e, v9
; %bb.1592:                             ;   in Loop: Header=BB2_1059 Depth=4
	s_or_b64 exec, exec, s[40:41]
                                        ; implicit-def: $vgpr12
.LBB2_1593:                             ;   in Loop: Header=BB2_1059 Depth=4
	s_andn2_saveexec_b64 s[40:41], s[42:43]
; %bb.1594:                             ;   in Loop: Header=BB2_1059 Depth=4
	v_or_b32_sdwa v18, v12, s97 dst_sel:DWORD dst_unused:UNUSED_PAD src0_sel:BYTE_3 src1_sel:DWORD
; %bb.1595:                             ;   in Loop: Header=BB2_1059 Depth=4
	s_or_b64 exec, exec, s[40:41]
	v_lshrrev_b16_e32 v8, 8, v8
	v_and_b32_e32 v13, 7, v8
	v_and_b32_e32 v3, 0x7f, v8
	v_cmp_eq_u32_e64 s[40:41], s97, v3
	v_cmp_gt_u32_e32 vcc, 8, v3
	v_ffbh_u32_e32 v3, v13
	v_min_u32_e32 v25, 32, v3
	v_mov_b32_e32 v9, v35
	v_subrev_u32_e32 v3, 28, v25
	v_lshlrev_b64 v[3:4], v3, v[8:9]
	v_bfe_u32 v19, v8, 3, 4
	v_sub_u32_e32 v4, 29, v25
	v_and_b32_e32 v3, 7, v3
	v_cndmask_b32_e32 v4, v19, v4, vcc
	v_cndmask_b32_e32 v3, v13, v3, vcc
	v_lshlrev_b32_e32 v9, 24, v8
	v_lshrrev_b16_e32 v12, 8, v34
	v_lshlrev_b32_e32 v3, 20, v3
	v_and_b32_e32 v9, 0x80000000, v9
	v_lshl_add_u32 v4, v4, 23, v48
	v_or3_b32 v9, v9, v4, v3
	v_cmp_ne_u16_e64 s[42:43], 0, v12
	s_mov_b64 s[44:45], -1
	s_and_b64 vcc, exec, s[52:53]
                                        ; implicit-def: $vgpr13
	s_cbranch_vccz .LBB2_1609
; %bb.1596:                             ;   in Loop: Header=BB2_1059 Depth=4
	v_mov_b32_e32 v13, 0
	s_and_saveexec_b64 s[44:45], s[42:43]
	s_cbranch_execz .LBB2_1602
; %bb.1597:                             ;   in Loop: Header=BB2_1059 Depth=4
	v_cmp_ne_u16_e32 vcc, s59, v12
	v_bfrev_b32_e32 v13, 1
	s_and_saveexec_b64 s[46:47], vcc
	s_cbranch_execz .LBB2_1601
; %bb.1598:                             ;   in Loop: Header=BB2_1059 Depth=4
	v_and_b32_e32 v19, 0x7f, v12
	v_cmp_ne_u32_e32 vcc, s97, v19
	v_mov_b32_e32 v13, 0x7f800001
	s_and_saveexec_b64 s[54:55], vcc
	s_cbranch_execz .LBB2_1600
; %bb.1599:                             ;   in Loop: Header=BB2_1059 Depth=4
	v_and_b32_e32 v13, 7, v12
	v_ffbh_u32_e32 v3, v13
	v_lshrrev_b32_e32 v25, 3, v19
	v_cmp_gt_u32_e32 vcc, 8, v19
	v_min_u32_e32 v19, 32, v3
	v_subrev_u32_e32 v3, 28, v19
	v_lshlrev_b64 v[3:4], v3, v[12:13]
	v_sub_u32_e32 v4, 29, v19
	v_and_b32_e32 v3, 7, v3
	v_cndmask_b32_e32 v4, v25, v4, vcc
	v_cndmask_b32_e32 v3, v13, v3, vcc
	v_lshlrev_b32_e32 v13, 16, v34
	v_lshlrev_b32_e32 v3, 20, v3
	v_and_b32_e32 v13, 0x80000000, v13
	v_lshl_add_u32 v4, v4, 23, v48
	v_or3_b32 v13, v13, v4, v3
.LBB2_1600:                             ;   in Loop: Header=BB2_1059 Depth=4
	s_or_b64 exec, exec, s[54:55]
.LBB2_1601:                             ;   in Loop: Header=BB2_1059 Depth=4
	s_or_b64 exec, exec, s[46:47]
.LBB2_1602:                             ;   in Loop: Header=BB2_1059 Depth=4
	s_or_b64 exec, exec, s[44:45]
	v_cmp_lt_i16_e32 vcc, s97, v8
	s_mov_b64 s[44:45], 0
	s_and_saveexec_b64 s[46:47], vcc
	s_xor_b64 s[46:47], exec, s[46:47]
	s_cbranch_execz .LBB2_1755
; %bb.1603:                             ;   in Loop: Header=BB2_1059 Depth=4
	v_cmp_eq_u16_e32 vcc, s59, v8
	s_mov_b64 s[44:45], -1
	s_and_saveexec_b64 s[54:55], vcc
; %bb.1604:                             ;   in Loop: Header=BB2_1059 Depth=4
	s_xor_b64 s[44:45], exec, -1
; %bb.1605:                             ;   in Loop: Header=BB2_1059 Depth=4
	s_or_b64 exec, exec, s[54:55]
	s_and_b64 s[44:45], s[44:45], exec
	s_or_saveexec_b64 s[46:47], s[46:47]
	v_bfrev_b32_e32 v19, 1
	s_xor_b64 exec, exec, s[46:47]
	s_cbranch_execnz .LBB2_1756
.LBB2_1606:                             ;   in Loop: Header=BB2_1059 Depth=4
	s_or_b64 exec, exec, s[46:47]
	s_and_saveexec_b64 s[46:47], s[44:45]
.LBB2_1607:                             ;   in Loop: Header=BB2_1059 Depth=4
	v_cndmask_b32_e64 v19, v9, v49, s[40:41]
.LBB2_1608:                             ;   in Loop: Header=BB2_1059 Depth=4
	s_or_b64 exec, exec, s[46:47]
	v_max_f32_e32 v3, v19, v19
	v_max_f32_e32 v4, v13, v13
	v_max_f32_e32 v13, v4, v3
	s_mov_b64 s[44:45], 0
.LBB2_1609:                             ;   in Loop: Header=BB2_1059 Depth=4
	s_and_b64 vcc, exec, s[44:45]
	s_cbranch_vccz .LBB2_1623
; %bb.1610:                             ;   in Loop: Header=BB2_1059 Depth=4
	v_mov_b32_e32 v13, 0
	s_and_saveexec_b64 s[44:45], s[42:43]
	s_cbranch_execz .LBB2_1616
; %bb.1611:                             ;   in Loop: Header=BB2_1059 Depth=4
	v_cmp_ne_u16_e32 vcc, s59, v12
	v_bfrev_b32_e32 v13, 1
	s_and_saveexec_b64 s[42:43], vcc
	s_cbranch_execz .LBB2_1615
; %bb.1612:                             ;   in Loop: Header=BB2_1059 Depth=4
	v_and_b32_e32 v19, 0x7f, v12
	v_cmp_ne_u32_e32 vcc, s97, v19
	v_mov_b32_e32 v13, 0x7f800001
	s_and_saveexec_b64 s[46:47], vcc
	s_cbranch_execz .LBB2_1614
; %bb.1613:                             ;   in Loop: Header=BB2_1059 Depth=4
	v_and_b32_e32 v13, 7, v12
	v_ffbh_u32_e32 v3, v13
	v_lshrrev_b32_e32 v25, 3, v19
	v_cmp_gt_u32_e32 vcc, 8, v19
	v_min_u32_e32 v19, 32, v3
	v_subrev_u32_e32 v3, 28, v19
	v_lshlrev_b64 v[3:4], v3, v[12:13]
	v_sub_u32_e32 v4, 29, v19
	v_and_b32_e32 v3, 7, v3
	v_cndmask_b32_e32 v4, v25, v4, vcc
	v_cndmask_b32_e32 v3, v13, v3, vcc
	v_lshlrev_b32_e32 v12, 16, v34
	v_lshlrev_b32_e32 v3, 20, v3
	v_and_b32_e32 v12, 0x80000000, v12
	v_lshl_add_u32 v4, v4, 23, v48
	v_or3_b32 v13, v12, v4, v3
.LBB2_1614:                             ;   in Loop: Header=BB2_1059 Depth=4
	s_or_b64 exec, exec, s[46:47]
.LBB2_1615:                             ;   in Loop: Header=BB2_1059 Depth=4
	s_or_b64 exec, exec, s[42:43]
.LBB2_1616:                             ;   in Loop: Header=BB2_1059 Depth=4
	s_or_b64 exec, exec, s[44:45]
	v_cmp_lt_i16_e32 vcc, s97, v8
	s_mov_b64 s[42:43], 0
	s_and_saveexec_b64 s[44:45], vcc
	s_xor_b64 s[44:45], exec, s[44:45]
	s_cbranch_execz .LBB2_1757
; %bb.1617:                             ;   in Loop: Header=BB2_1059 Depth=4
	v_cmp_eq_u16_e32 vcc, s59, v8
	s_mov_b64 s[42:43], -1
	s_and_saveexec_b64 s[46:47], vcc
; %bb.1618:                             ;   in Loop: Header=BB2_1059 Depth=4
	s_xor_b64 s[42:43], exec, -1
; %bb.1619:                             ;   in Loop: Header=BB2_1059 Depth=4
	s_or_b64 exec, exec, s[46:47]
	s_and_b64 s[42:43], s[42:43], exec
                                        ; implicit-def: $vgpr8
	s_or_saveexec_b64 s[44:45], s[44:45]
	v_bfrev_b32_e32 v12, 1
	s_xor_b64 exec, exec, s[44:45]
	s_cbranch_execnz .LBB2_1758
.LBB2_1620:                             ;   in Loop: Header=BB2_1059 Depth=4
	s_or_b64 exec, exec, s[44:45]
	s_and_saveexec_b64 s[44:45], s[42:43]
.LBB2_1621:                             ;   in Loop: Header=BB2_1059 Depth=4
	v_cndmask_b32_e64 v12, v9, v49, s[40:41]
.LBB2_1622:                             ;   in Loop: Header=BB2_1059 Depth=4
	s_or_b64 exec, exec, s[44:45]
	v_max_f32_e32 v3, v12, v12
	v_max_f32_e32 v4, v13, v13
	v_min_f32_e32 v13, v4, v3
.LBB2_1623:                             ;   in Loop: Header=BB2_1059 Depth=4
	v_and_b32_e32 v34, 0x7f800000, v13
	v_cmp_ne_u64_e32 vcc, s[90:91], v[34:35]
                                        ; implicit-def: $vgpr19
	s_and_saveexec_b64 s[40:41], vcc
	s_xor_b64 s[42:43], exec, s[40:41]
	s_cbranch_execz .LBB2_1637
; %bb.1624:                             ;   in Loop: Header=BB2_1059 Depth=4
	v_and_b32_e32 v34, 0x7fffffff, v13
	v_cmp_gt_u64_e32 vcc, s[92:93], v[34:35]
	v_and_b32_sdwa v25, v13, s59 dst_sel:DWORD dst_unused:UNUSED_PAD src0_sel:BYTE_3 src1_sel:DWORD
                                        ; implicit-def: $vgpr19
	s_and_saveexec_b64 s[40:41], vcc
	s_xor_b64 s[44:45], exec, s[40:41]
	s_cbranch_execz .LBB2_1634
; %bb.1625:                             ;   in Loop: Header=BB2_1059 Depth=4
	v_mov_b32_e32 v19, 0
	v_cmp_ne_u32_e32 vcc, 0, v13
	s_and_saveexec_b64 s[46:47], vcc
	s_cbranch_execz .LBB2_1633
; %bb.1626:                             ;   in Loop: Header=BB2_1059 Depth=4
	v_bfe_u32 v19, v13, 23, 8
	v_cmp_gt_u32_e64 s[40:41], s56, v19
	v_sub_u32_e32 v4, 0x79, v19
	v_and_b32_e32 v3, 0x7fffff, v13
	v_cmp_eq_u32_e32 vcc, 0, v19
	v_cndmask_b32_e64 v4, 0, v4, s[40:41]
	v_mov_b32_e32 v9, 0x78
	v_or_b32_e32 v8, 0x800000, v3
	v_cndmask_b32_e32 v40, v4, v9, vcc
	v_cndmask_b32_e32 v34, v8, v3, vcc
	v_add_u32_e32 v3, 20, v40
	v_lshlrev_b64 v[3:4], v3, -1
	v_add_u32_e32 v8, 19, v40
	v_lshlrev_b64 v[8:9], v8, 1
	v_bfi_b32 v4, v4, 0, 0
	v_bfi_b32 v3, v3, 0, v34
	v_cmp_eq_u64_e64 s[40:41], v[3:4], v[8:9]
	v_lshrrev_b64 v[8:9], v40, v[34:35]
	v_mov_b32_e32 v13, v9
	v_mov_b32_e32 v12, v8
	s_and_saveexec_b64 s[54:55], s[40:41]
; %bb.1627:                             ;   in Loop: Header=BB2_1059 Depth=4
	v_bfe_u32 v3, v8, 20, 1
	v_add_co_u32_e64 v3, s[40:41], v8, v3
	v_add_co_u32_e64 v12, s[40:41], -1, v3
; %bb.1628:                             ;   in Loop: Header=BB2_1059 Depth=4
	s_or_b64 exec, exec, s[54:55]
	v_add_u32_e32 v3, 0xffffff81, v19
	v_cndmask_b32_e32 v3, v3, v52, vcc
	v_lshrrev_b32_e32 v4, 23, v8
	v_add3_u32 v19, v40, v3, v4
	v_add_u32_e32 v13, 6, v19
	v_and_b32_e32 v3, 0xfffff, v12
	v_add_u32_e32 v34, v3, v8
	v_cmp_ne_u32_e32 vcc, 0, v13
                                        ; implicit-def: $vgpr8_vgpr9
                                        ; implicit-def: $vgpr12
	s_and_saveexec_b64 s[40:41], vcc
	s_xor_b64 s[40:41], exec, s[40:41]
; %bb.1629:                             ;   in Loop: Header=BB2_1059 Depth=4
	v_cmp_lt_u64_e32 vcc, s[94:95], v[34:35]
	v_add_u32_e32 v3, 7, v19
	v_cndmask_b32_e32 v12, v13, v3, vcc
	v_cndmask_b32_e64 v3, 0, 1, vcc
	v_lshrrev_b64 v[8:9], v3, v[34:35]
; %bb.1630:                             ;   in Loop: Header=BB2_1059 Depth=4
	s_andn2_saveexec_b64 s[40:41], s[40:41]
; %bb.1631:                             ;   in Loop: Header=BB2_1059 Depth=4
	v_mov_b32_e32 v8, v34
	v_bfe_u32 v12, v34, 23, 1
	v_mov_b32_e32 v9, v35
; %bb.1632:                             ;   in Loop: Header=BB2_1059 Depth=4
	s_or_b64 exec, exec, s[40:41]
	v_lshrrev_b64 v[3:4], 20, v[8:9]
	v_cmp_gt_i32_e32 vcc, 16, v12
	v_cndmask_b32_e32 v4, 0, v4, vcc
	v_cndmask_b32_e32 v3, 7, v3, vcc
	v_cmp_eq_u64_e64 s[40:41], 0, v[3:4]
	v_min_i32_e32 v4, 15, v12
	v_lshlrev_b32_e32 v4, 3, v4
	v_cmp_eq_u32_e32 vcc, 0, v12
	v_and_b32_e32 v4, 0xf8, v4
	v_and_or_b32 v3, v3, 7, v4
	s_and_b64 s[40:41], vcc, s[40:41]
	v_cndmask_b32_e64 v3, v3, 0, s[40:41]
	v_or_b32_e32 v19, v3, v25
.LBB2_1633:                             ;   in Loop: Header=BB2_1059 Depth=4
	s_or_b64 exec, exec, s[46:47]
                                        ; implicit-def: $vgpr25
.LBB2_1634:                             ;   in Loop: Header=BB2_1059 Depth=4
	s_andn2_saveexec_b64 s[40:41], s[44:45]
; %bb.1635:                             ;   in Loop: Header=BB2_1059 Depth=4
	v_or_b32_e32 v19, 0x7e, v25
; %bb.1636:                             ;   in Loop: Header=BB2_1059 Depth=4
	s_or_b64 exec, exec, s[40:41]
                                        ; implicit-def: $vgpr13
.LBB2_1637:                             ;   in Loop: Header=BB2_1059 Depth=4
	s_andn2_saveexec_b64 s[40:41], s[42:43]
; %bb.1638:                             ;   in Loop: Header=BB2_1059 Depth=4
	v_or_b32_sdwa v19, v13, s97 dst_sel:DWORD dst_unused:UNUSED_PAD src0_sel:BYTE_3 src1_sel:DWORD
; %bb.1639:                             ;   in Loop: Header=BB2_1059 Depth=4
	s_or_b64 exec, exec, s[40:41]
	v_bfe_u32 v9, v15, 16, 3
	v_bfe_u32 v3, v15, 16, 7
	v_cmp_eq_u32_e64 s[40:41], s97, v3
	v_cmp_gt_u32_e32 vcc, 8, v3
	v_ffbh_u32_e32 v3, v9
	v_min_u32_e32 v13, 32, v3
	v_lshrrev_b32_e32 v8, 16, v15
	v_subrev_u32_e32 v3, 28, v13
	v_lshlrev_b64 v[3:4], v3, v[8:9]
	v_bfe_u32 v12, v8, 3, 4
	v_sub_u32_e32 v4, 29, v13
	v_and_b32_e32 v3, 7, v3
	v_cndmask_b32_e32 v4, v12, v4, vcc
	v_cndmask_b32_e32 v3, v9, v3, vcc
	v_lshlrev_b32_e32 v9, 8, v15
	v_lshlrev_b32_e32 v3, 20, v3
	v_and_b32_e32 v9, 0x80000000, v9
	v_lshl_add_u32 v4, v4, 23, v48
	v_or3_b32 v12, v9, v4, v3
	v_lshrrev_b32_e32 v9, 16, v11
	v_cmp_ne_u16_sdwa s[42:43], v9, v35 src0_sel:BYTE_0 src1_sel:DWORD
	s_mov_b64 s[44:45], -1
	s_and_b64 vcc, exec, s[52:53]
                                        ; implicit-def: $vgpr13
	s_cbranch_vccz .LBB2_1653
; %bb.1640:                             ;   in Loop: Header=BB2_1059 Depth=4
	v_mov_b32_e32 v13, 0
	s_and_saveexec_b64 s[44:45], s[42:43]
	s_cbranch_execz .LBB2_1646
; %bb.1641:                             ;   in Loop: Header=BB2_1059 Depth=4
	v_cmp_ne_u16_sdwa vcc, v9, s59 src0_sel:BYTE_0 src1_sel:DWORD
	v_bfrev_b32_e32 v13, 1
	s_and_saveexec_b64 s[46:47], vcc
	s_cbranch_execz .LBB2_1645
; %bb.1642:                             ;   in Loop: Header=BB2_1059 Depth=4
	v_bfe_u32 v25, v11, 16, 7
	v_cmp_ne_u32_e32 vcc, s97, v25
	v_mov_b32_e32 v13, 0x7f800001
	s_and_saveexec_b64 s[54:55], vcc
	s_cbranch_execz .LBB2_1644
; %bb.1643:                             ;   in Loop: Header=BB2_1059 Depth=4
	v_and_b32_e32 v13, 7, v9
	v_ffbh_u32_e32 v3, v13
	v_lshrrev_b32_e32 v34, 3, v25
	v_cmp_gt_u32_e32 vcc, 8, v25
	v_min_u32_e32 v25, 32, v3
	v_subrev_u32_e32 v3, 28, v25
	v_lshlrev_b64 v[3:4], v3, v[9:10]
	v_sub_u32_e32 v4, 29, v25
	v_and_b32_e32 v3, 7, v3
	v_cndmask_b32_e32 v4, v34, v4, vcc
	v_cndmask_b32_e32 v3, v13, v3, vcc
	v_lshlrev_b32_e32 v13, 24, v9
	v_lshlrev_b32_e32 v3, 20, v3
	v_and_b32_e32 v13, 0x80000000, v13
	v_lshl_add_u32 v4, v4, 23, v48
	v_or3_b32 v13, v13, v4, v3
.LBB2_1644:                             ;   in Loop: Header=BB2_1059 Depth=4
	s_or_b64 exec, exec, s[54:55]
.LBB2_1645:                             ;   in Loop: Header=BB2_1059 Depth=4
	s_or_b64 exec, exec, s[46:47]
.LBB2_1646:                             ;   in Loop: Header=BB2_1059 Depth=4
	s_or_b64 exec, exec, s[44:45]
	v_cmp_gt_i16_sdwa s[46:47], v8, s97 src0_sel:BYTE_0 src1_sel:DWORD
	s_mov_b64 s[44:45], 0
	s_and_saveexec_b64 vcc, s[46:47]
	s_xor_b64 s[46:47], exec, vcc
	s_cbranch_execz .LBB2_1759
; %bb.1647:                             ;   in Loop: Header=BB2_1059 Depth=4
	v_cmp_eq_u16_sdwa s[54:55], v8, s59 src0_sel:BYTE_0 src1_sel:DWORD
	s_mov_b64 s[44:45], -1
	s_and_saveexec_b64 vcc, s[54:55]
; %bb.1648:                             ;   in Loop: Header=BB2_1059 Depth=4
	s_xor_b64 s[44:45], exec, -1
; %bb.1649:                             ;   in Loop: Header=BB2_1059 Depth=4
	s_or_b64 exec, exec, vcc
	s_and_b64 s[44:45], s[44:45], exec
	s_or_saveexec_b64 s[46:47], s[46:47]
	v_bfrev_b32_e32 v25, 1
	s_xor_b64 exec, exec, s[46:47]
	s_cbranch_execnz .LBB2_1760
.LBB2_1650:                             ;   in Loop: Header=BB2_1059 Depth=4
	s_or_b64 exec, exec, s[46:47]
	s_and_saveexec_b64 s[46:47], s[44:45]
.LBB2_1651:                             ;   in Loop: Header=BB2_1059 Depth=4
	v_cndmask_b32_e64 v25, v12, v49, s[40:41]
.LBB2_1652:                             ;   in Loop: Header=BB2_1059 Depth=4
	s_or_b64 exec, exec, s[46:47]
	v_max_f32_e32 v3, v25, v25
	v_max_f32_e32 v4, v13, v13
	;; [unrolled: 1-line block ×3, first 2 shown]
	s_mov_b64 s[44:45], 0
.LBB2_1653:                             ;   in Loop: Header=BB2_1059 Depth=4
	s_and_b64 vcc, exec, s[44:45]
	s_cbranch_vccz .LBB2_1667
; %bb.1654:                             ;   in Loop: Header=BB2_1059 Depth=4
	v_mov_b32_e32 v13, 0
	s_and_saveexec_b64 s[44:45], s[42:43]
	s_cbranch_execz .LBB2_1660
; %bb.1655:                             ;   in Loop: Header=BB2_1059 Depth=4
	v_cmp_ne_u16_sdwa s[46:47], v9, s59 src0_sel:BYTE_0 src1_sel:DWORD
	v_bfrev_b32_e32 v13, 1
	s_and_saveexec_b64 s[42:43], s[46:47]
	s_cbranch_execz .LBB2_1659
; %bb.1656:                             ;   in Loop: Header=BB2_1059 Depth=4
	v_bfe_u32 v25, v11, 16, 7
	v_cmp_ne_u32_e32 vcc, s97, v25
	v_mov_b32_e32 v13, 0x7f800001
	s_and_saveexec_b64 s[46:47], vcc
	s_cbranch_execz .LBB2_1658
; %bb.1657:                             ;   in Loop: Header=BB2_1059 Depth=4
	v_and_b32_e32 v13, 7, v9
	v_ffbh_u32_e32 v3, v13
	v_lshrrev_b32_e32 v34, 3, v25
	v_cmp_gt_u32_e32 vcc, 8, v25
	v_min_u32_e32 v25, 32, v3
	v_subrev_u32_e32 v3, 28, v25
	v_lshlrev_b64 v[3:4], v3, v[9:10]
	v_sub_u32_e32 v4, 29, v25
	v_and_b32_e32 v3, 7, v3
	v_cndmask_b32_e32 v4, v34, v4, vcc
	v_cndmask_b32_e32 v3, v13, v3, vcc
	v_lshlrev_b32_e32 v9, 24, v9
	v_lshlrev_b32_e32 v3, 20, v3
	v_and_b32_e32 v9, 0x80000000, v9
	v_lshl_add_u32 v4, v4, 23, v48
	v_or3_b32 v13, v9, v4, v3
.LBB2_1658:                             ;   in Loop: Header=BB2_1059 Depth=4
	s_or_b64 exec, exec, s[46:47]
.LBB2_1659:                             ;   in Loop: Header=BB2_1059 Depth=4
	s_or_b64 exec, exec, s[42:43]
.LBB2_1660:                             ;   in Loop: Header=BB2_1059 Depth=4
	s_or_b64 exec, exec, s[44:45]
	v_cmp_gt_i16_sdwa s[44:45], v8, s97 src0_sel:BYTE_0 src1_sel:DWORD
	s_mov_b64 s[42:43], 0
	s_and_saveexec_b64 s[46:47], s[44:45]
	s_xor_b64 s[44:45], exec, s[46:47]
	s_cbranch_execz .LBB2_1761
; %bb.1661:                             ;   in Loop: Header=BB2_1059 Depth=4
	v_cmp_eq_u16_sdwa vcc, v8, s59 src0_sel:BYTE_0 src1_sel:DWORD
	s_mov_b64 s[42:43], -1
	s_and_saveexec_b64 s[46:47], vcc
; %bb.1662:                             ;   in Loop: Header=BB2_1059 Depth=4
	s_xor_b64 s[42:43], exec, -1
; %bb.1663:                             ;   in Loop: Header=BB2_1059 Depth=4
	s_or_b64 exec, exec, s[46:47]
	s_and_b64 s[42:43], s[42:43], exec
                                        ; implicit-def: $vgpr8
	s_or_saveexec_b64 s[44:45], s[44:45]
	v_bfrev_b32_e32 v9, 1
	s_xor_b64 exec, exec, s[44:45]
	s_cbranch_execnz .LBB2_1762
.LBB2_1664:                             ;   in Loop: Header=BB2_1059 Depth=4
	s_or_b64 exec, exec, s[44:45]
	s_and_saveexec_b64 s[44:45], s[42:43]
.LBB2_1665:                             ;   in Loop: Header=BB2_1059 Depth=4
	v_cndmask_b32_e64 v9, v12, v49, s[40:41]
.LBB2_1666:                             ;   in Loop: Header=BB2_1059 Depth=4
	s_or_b64 exec, exec, s[44:45]
	v_max_f32_e32 v3, v9, v9
	v_max_f32_e32 v4, v13, v13
	v_min_f32_e32 v13, v4, v3
.LBB2_1667:                             ;   in Loop: Header=BB2_1059 Depth=4
	v_and_b32_e32 v34, 0x7f800000, v13
	v_cmp_ne_u64_e32 vcc, s[90:91], v[34:35]
                                        ; implicit-def: $vgpr12
	s_and_saveexec_b64 s[40:41], vcc
	s_xor_b64 s[42:43], exec, s[40:41]
	s_cbranch_execz .LBB2_1681
; %bb.1668:                             ;   in Loop: Header=BB2_1059 Depth=4
	v_and_b32_e32 v34, 0x7fffffff, v13
	v_cmp_gt_u64_e32 vcc, s[92:93], v[34:35]
	v_and_b32_sdwa v25, v13, s59 dst_sel:DWORD dst_unused:UNUSED_PAD src0_sel:BYTE_3 src1_sel:DWORD
                                        ; implicit-def: $vgpr12
	s_and_saveexec_b64 s[40:41], vcc
	s_xor_b64 s[44:45], exec, s[40:41]
	s_cbranch_execz .LBB2_1678
; %bb.1669:                             ;   in Loop: Header=BB2_1059 Depth=4
	v_mov_b32_e32 v12, 0
	v_cmp_ne_u32_e32 vcc, 0, v13
	s_and_saveexec_b64 s[46:47], vcc
	s_cbranch_execz .LBB2_1677
; %bb.1670:                             ;   in Loop: Header=BB2_1059 Depth=4
	v_bfe_u32 v40, v13, 23, 8
	v_cmp_gt_u32_e64 s[40:41], s56, v40
	v_sub_u32_e32 v4, 0x79, v40
	v_and_b32_e32 v3, 0x7fffff, v13
	v_cmp_eq_u32_e32 vcc, 0, v40
	v_cndmask_b32_e64 v4, 0, v4, s[40:41]
	v_mov_b32_e32 v9, 0x78
	v_or_b32_e32 v8, 0x800000, v3
	v_cndmask_b32_e32 v41, v4, v9, vcc
	v_cndmask_b32_e32 v34, v8, v3, vcc
	v_add_u32_e32 v3, 20, v41
	v_lshlrev_b64 v[3:4], v3, -1
	v_add_u32_e32 v8, 19, v41
	v_lshlrev_b64 v[8:9], v8, 1
	v_bfi_b32 v4, v4, 0, 0
	v_bfi_b32 v3, v3, 0, v34
	v_cmp_eq_u64_e64 s[40:41], v[3:4], v[8:9]
	v_lshrrev_b64 v[8:9], v41, v[34:35]
	v_mov_b32_e32 v13, v9
	v_mov_b32_e32 v12, v8
	s_and_saveexec_b64 s[54:55], s[40:41]
; %bb.1671:                             ;   in Loop: Header=BB2_1059 Depth=4
	v_bfe_u32 v3, v8, 20, 1
	v_add_co_u32_e64 v3, s[40:41], v8, v3
	v_add_co_u32_e64 v12, s[40:41], -1, v3
; %bb.1672:                             ;   in Loop: Header=BB2_1059 Depth=4
	s_or_b64 exec, exec, s[54:55]
	v_add_u32_e32 v3, 0xffffff81, v40
	v_cndmask_b32_e32 v3, v3, v52, vcc
	v_lshrrev_b32_e32 v4, 23, v8
	v_add3_u32 v40, v41, v3, v4
	v_add_u32_e32 v13, 6, v40
	v_and_b32_e32 v3, 0xfffff, v12
	v_add_u32_e32 v34, v3, v8
	v_cmp_ne_u32_e32 vcc, 0, v13
                                        ; implicit-def: $vgpr8_vgpr9
                                        ; implicit-def: $vgpr12
	s_and_saveexec_b64 s[40:41], vcc
	s_xor_b64 s[40:41], exec, s[40:41]
; %bb.1673:                             ;   in Loop: Header=BB2_1059 Depth=4
	v_cmp_lt_u64_e32 vcc, s[94:95], v[34:35]
	v_add_u32_e32 v3, 7, v40
	v_cndmask_b32_e32 v12, v13, v3, vcc
	v_cndmask_b32_e64 v3, 0, 1, vcc
	v_lshrrev_b64 v[8:9], v3, v[34:35]
; %bb.1674:                             ;   in Loop: Header=BB2_1059 Depth=4
	s_andn2_saveexec_b64 s[40:41], s[40:41]
; %bb.1675:                             ;   in Loop: Header=BB2_1059 Depth=4
	v_mov_b32_e32 v8, v34
	v_bfe_u32 v12, v34, 23, 1
	v_mov_b32_e32 v9, v35
; %bb.1676:                             ;   in Loop: Header=BB2_1059 Depth=4
	s_or_b64 exec, exec, s[40:41]
	v_lshrrev_b64 v[3:4], 20, v[8:9]
	v_cmp_gt_i32_e32 vcc, 16, v12
	v_cndmask_b32_e32 v4, 0, v4, vcc
	v_cndmask_b32_e32 v3, 7, v3, vcc
	v_cmp_eq_u64_e64 s[40:41], 0, v[3:4]
	v_min_i32_e32 v4, 15, v12
	v_lshlrev_b32_e32 v4, 3, v4
	v_cmp_eq_u32_e32 vcc, 0, v12
	v_and_b32_e32 v4, 0xf8, v4
	v_and_or_b32 v3, v3, 7, v4
	s_and_b64 s[40:41], vcc, s[40:41]
	v_cndmask_b32_e64 v3, v3, 0, s[40:41]
	v_or_b32_e32 v12, v3, v25
.LBB2_1677:                             ;   in Loop: Header=BB2_1059 Depth=4
	s_or_b64 exec, exec, s[46:47]
                                        ; implicit-def: $vgpr25
.LBB2_1678:                             ;   in Loop: Header=BB2_1059 Depth=4
	s_andn2_saveexec_b64 s[40:41], s[44:45]
; %bb.1679:                             ;   in Loop: Header=BB2_1059 Depth=4
	v_or_b32_e32 v12, 0x7e, v25
; %bb.1680:                             ;   in Loop: Header=BB2_1059 Depth=4
	s_or_b64 exec, exec, s[40:41]
                                        ; implicit-def: $vgpr13
.LBB2_1681:                             ;   in Loop: Header=BB2_1059 Depth=4
	s_andn2_saveexec_b64 s[40:41], s[42:43]
; %bb.1682:                             ;   in Loop: Header=BB2_1059 Depth=4
	v_or_b32_sdwa v12, v13, s97 dst_sel:DWORD dst_unused:UNUSED_PAD src0_sel:BYTE_3 src1_sel:DWORD
; %bb.1683:                             ;   in Loop: Header=BB2_1059 Depth=4
	s_or_b64 exec, exec, s[40:41]
	v_bfe_u32 v9, v15, 24, 3
	v_bfe_u32 v4, v15, 24, 7
	v_cmp_eq_u32_e64 s[44:45], s97, v4
	v_cmp_gt_u32_e32 vcc, 8, v4
	v_ffbh_u32_e32 v4, v9
	v_cmp_gt_u64_e64 s[40:41], s[60:61], v[14:15]
	v_min_u32_e32 v14, 32, v4
	v_lshrrev_b32_e32 v3, 24, v15
	v_subrev_u32_e32 v4, 28, v14
	v_bfe_u32 v13, v3, 3, 4
	v_cmp_eq_u32_e64 s[42:43], s59, v3
	v_lshlrev_b64 v[3:4], v4, v[3:4]
	v_sub_u32_e32 v4, 29, v14
	v_and_b32_e32 v3, 7, v3
	v_cndmask_b32_e32 v4, v13, v4, vcc
	v_cndmask_b32_e32 v3, v9, v3, vcc
	v_lshlrev_b32_e32 v3, 20, v3
	v_and_b32_e32 v9, 0x80000000, v15
	v_lshl_add_u32 v4, v4, 23, v48
	v_cmp_lt_u64_e64 s[46:47], s[62:63], v[10:11]
	v_lshrrev_b32_e32 v8, 24, v11
	v_or3_b32 v9, v9, v4, v3
	s_mov_b64 s[54:55], -1
	s_and_b64 vcc, exec, s[52:53]
                                        ; implicit-def: $vgpr10
	s_cbranch_vccz .LBB2_1691
; %bb.1684:                             ;   in Loop: Header=BB2_1059 Depth=4
	v_mov_b32_e32 v10, 0
	s_and_saveexec_b64 s[54:55], s[46:47]
	s_cbranch_execz .LBB2_1690
; %bb.1685:                             ;   in Loop: Header=BB2_1059 Depth=4
	v_cmp_ne_u32_e32 vcc, s59, v8
	v_bfrev_b32_e32 v10, 1
	s_and_saveexec_b64 s[64:65], vcc
	s_cbranch_execz .LBB2_1689
; %bb.1686:                             ;   in Loop: Header=BB2_1059 Depth=4
	v_bfe_u32 v13, v11, 24, 7
	v_cmp_ne_u32_e32 vcc, s97, v13
	v_mov_b32_e32 v10, 0x7f800001
	s_and_saveexec_b64 s[66:67], vcc
	s_cbranch_execz .LBB2_1688
; %bb.1687:                             ;   in Loop: Header=BB2_1059 Depth=4
	v_and_b32_e32 v10, 7, v8
	v_ffbh_u32_e32 v3, v10
	v_lshrrev_b32_e32 v14, 3, v13
	v_cmp_gt_u32_e32 vcc, 8, v13
	v_min_u32_e32 v13, 32, v3
	v_subrev_u32_e32 v3, 28, v13
	v_lshlrev_b64 v[3:4], v3, v[8:9]
	v_sub_u32_e32 v4, 29, v13
	v_and_b32_e32 v3, 7, v3
	v_cndmask_b32_e32 v4, v14, v4, vcc
	v_cndmask_b32_e32 v3, v10, v3, vcc
	v_lshlrev_b32_e32 v10, 24, v8
	v_lshlrev_b32_e32 v3, 20, v3
	v_and_b32_e32 v10, 0x80000000, v10
	v_lshl_add_u32 v4, v4, 23, v48
	v_or3_b32 v10, v10, v4, v3
.LBB2_1688:                             ;   in Loop: Header=BB2_1059 Depth=4
	s_or_b64 exec, exec, s[66:67]
.LBB2_1689:                             ;   in Loop: Header=BB2_1059 Depth=4
	s_or_b64 exec, exec, s[64:65]
.LBB2_1690:                             ;   in Loop: Header=BB2_1059 Depth=4
	s_or_b64 exec, exec, s[54:55]
	v_cndmask_b32_e64 v3, v9, v49, s[44:45]
	v_cndmask_b32_e64 v3, v3, v0, s[42:43]
	;; [unrolled: 1-line block ×3, first 2 shown]
	v_max_f32_e32 v3, v3, v3
	v_max_f32_e32 v4, v10, v10
	;; [unrolled: 1-line block ×3, first 2 shown]
	s_mov_b64 s[54:55], 0
.LBB2_1691:                             ;   in Loop: Header=BB2_1059 Depth=4
	s_and_b64 vcc, exec, s[54:55]
	s_cbranch_vccz .LBB2_1699
; %bb.1692:                             ;   in Loop: Header=BB2_1059 Depth=4
	v_mov_b32_e32 v10, 0
	s_and_saveexec_b64 s[54:55], s[46:47]
	s_cbranch_execz .LBB2_1698
; %bb.1693:                             ;   in Loop: Header=BB2_1059 Depth=4
	v_cmp_ne_u32_e32 vcc, s59, v8
	v_bfrev_b32_e32 v10, 1
	s_and_saveexec_b64 s[46:47], vcc
	s_cbranch_execz .LBB2_1697
; %bb.1694:                             ;   in Loop: Header=BB2_1059 Depth=4
	v_bfe_u32 v11, v11, 24, 7
	v_cmp_ne_u32_e32 vcc, s97, v11
	v_mov_b32_e32 v10, 0x7f800001
	s_and_saveexec_b64 s[64:65], vcc
	s_cbranch_execz .LBB2_1696
; %bb.1695:                             ;   in Loop: Header=BB2_1059 Depth=4
	v_and_b32_e32 v10, 7, v8
	v_ffbh_u32_e32 v3, v10
	v_lshrrev_b32_e32 v13, 3, v11
	v_cmp_gt_u32_e32 vcc, 8, v11
	v_min_u32_e32 v11, 32, v3
	v_subrev_u32_e32 v3, 28, v11
	v_lshlrev_b64 v[3:4], v3, v[8:9]
	v_sub_u32_e32 v4, 29, v11
	v_and_b32_e32 v3, 7, v3
	v_cndmask_b32_e32 v4, v13, v4, vcc
	v_cndmask_b32_e32 v3, v10, v3, vcc
	v_lshlrev_b32_e32 v8, 24, v8
	v_lshlrev_b32_e32 v3, 20, v3
	v_and_b32_e32 v8, 0x80000000, v8
	v_lshl_add_u32 v4, v4, 23, v48
	v_or3_b32 v10, v8, v4, v3
.LBB2_1696:                             ;   in Loop: Header=BB2_1059 Depth=4
	s_or_b64 exec, exec, s[64:65]
.LBB2_1697:                             ;   in Loop: Header=BB2_1059 Depth=4
	s_or_b64 exec, exec, s[46:47]
.LBB2_1698:                             ;   in Loop: Header=BB2_1059 Depth=4
	s_or_b64 exec, exec, s[54:55]
	v_cndmask_b32_e64 v3, v9, v49, s[44:45]
	v_cndmask_b32_e64 v3, v3, v0, s[42:43]
	;; [unrolled: 1-line block ×3, first 2 shown]
	v_max_f32_e32 v3, v3, v3
	v_max_f32_e32 v4, v10, v10
	v_min_f32_e32 v10, v4, v3
.LBB2_1699:                             ;   in Loop: Header=BB2_1059 Depth=4
	v_and_b32_e32 v34, 0x7f800000, v10
	v_cmp_ne_u64_e32 vcc, s[90:91], v[34:35]
                                        ; implicit-def: $vgpr8
	s_and_saveexec_b64 s[40:41], vcc
	s_xor_b64 s[42:43], exec, s[40:41]
	s_cbranch_execz .LBB2_1713
; %bb.1700:                             ;   in Loop: Header=BB2_1059 Depth=4
	v_and_b32_e32 v34, 0x7fffffff, v10
	v_cmp_gt_u64_e32 vcc, s[92:93], v[34:35]
	v_and_b32_sdwa v11, v10, s59 dst_sel:DWORD dst_unused:UNUSED_PAD src0_sel:BYTE_3 src1_sel:DWORD
                                        ; implicit-def: $vgpr8
	s_and_saveexec_b64 s[40:41], vcc
	s_xor_b64 s[44:45], exec, s[40:41]
	s_cbranch_execz .LBB2_1710
; %bb.1701:                             ;   in Loop: Header=BB2_1059 Depth=4
	v_mov_b32_e32 v8, 0
	v_cmp_ne_u32_e32 vcc, 0, v10
	s_and_saveexec_b64 s[46:47], vcc
	s_cbranch_execz .LBB2_1709
; %bb.1702:                             ;   in Loop: Header=BB2_1059 Depth=4
	v_bfe_u32 v13, v10, 23, 8
	v_cmp_gt_u32_e64 s[40:41], s56, v13
	v_sub_u32_e32 v4, 0x79, v13
	v_and_b32_e32 v3, 0x7fffff, v10
	v_cmp_eq_u32_e32 vcc, 0, v13
	v_cndmask_b32_e64 v4, 0, v4, s[40:41]
	v_mov_b32_e32 v9, 0x78
	v_or_b32_e32 v8, 0x800000, v3
	v_cndmask_b32_e32 v14, v4, v9, vcc
	v_cndmask_b32_e32 v34, v8, v3, vcc
	v_add_u32_e32 v3, 20, v14
	v_lshlrev_b64 v[3:4], v3, -1
	v_add_u32_e32 v8, 19, v14
	v_lshlrev_b64 v[8:9], v8, 1
	v_bfi_b32 v4, v4, 0, 0
	v_bfi_b32 v3, v3, 0, v34
	v_cmp_eq_u64_e64 s[40:41], v[3:4], v[8:9]
	v_lshrrev_b64 v[8:9], v14, v[34:35]
	v_mov_b32_e32 v10, v9
	v_mov_b32_e32 v9, v8
	s_and_saveexec_b64 s[54:55], s[40:41]
; %bb.1703:                             ;   in Loop: Header=BB2_1059 Depth=4
	v_bfe_u32 v3, v8, 20, 1
	v_add_co_u32_e64 v3, s[40:41], v8, v3
	v_add_co_u32_e64 v9, s[40:41], -1, v3
; %bb.1704:                             ;   in Loop: Header=BB2_1059 Depth=4
	s_or_b64 exec, exec, s[54:55]
	v_add_u32_e32 v3, 0xffffff81, v13
	v_cndmask_b32_e32 v3, v3, v52, vcc
	v_lshrrev_b32_e32 v4, 23, v8
	v_add3_u32 v14, v14, v3, v4
	v_add_u32_e32 v13, 6, v14
	v_and_b32_e32 v3, 0xfffff, v9
	v_add_u32_e32 v34, v3, v8
	v_cmp_ne_u32_e32 vcc, 0, v13
                                        ; implicit-def: $vgpr8_vgpr9
                                        ; implicit-def: $vgpr10
	s_and_saveexec_b64 s[40:41], vcc
	s_xor_b64 s[40:41], exec, s[40:41]
; %bb.1705:                             ;   in Loop: Header=BB2_1059 Depth=4
	v_cmp_lt_u64_e32 vcc, s[94:95], v[34:35]
	v_add_u32_e32 v3, 7, v14
	v_cndmask_b32_e32 v10, v13, v3, vcc
	v_cndmask_b32_e64 v3, 0, 1, vcc
	v_lshrrev_b64 v[8:9], v3, v[34:35]
; %bb.1706:                             ;   in Loop: Header=BB2_1059 Depth=4
	s_andn2_saveexec_b64 s[40:41], s[40:41]
; %bb.1707:                             ;   in Loop: Header=BB2_1059 Depth=4
	v_mov_b32_e32 v8, v34
	v_bfe_u32 v10, v34, 23, 1
	v_mov_b32_e32 v9, v35
; %bb.1708:                             ;   in Loop: Header=BB2_1059 Depth=4
	s_or_b64 exec, exec, s[40:41]
	v_lshrrev_b64 v[3:4], 20, v[8:9]
	v_cmp_gt_i32_e32 vcc, 16, v10
	v_cndmask_b32_e32 v4, 0, v4, vcc
	v_cndmask_b32_e32 v3, 7, v3, vcc
	v_cmp_eq_u64_e64 s[40:41], 0, v[3:4]
	v_min_i32_e32 v4, 15, v10
	v_lshlrev_b32_e32 v4, 3, v4
	v_cmp_eq_u32_e32 vcc, 0, v10
	v_and_b32_e32 v4, 0xf8, v4
	v_and_or_b32 v3, v3, 7, v4
	s_and_b64 s[40:41], vcc, s[40:41]
	v_cndmask_b32_e64 v3, v3, 0, s[40:41]
	v_or_b32_e32 v8, v3, v11
.LBB2_1709:                             ;   in Loop: Header=BB2_1059 Depth=4
	s_or_b64 exec, exec, s[46:47]
                                        ; implicit-def: $vgpr11
.LBB2_1710:                             ;   in Loop: Header=BB2_1059 Depth=4
	s_andn2_saveexec_b64 s[40:41], s[44:45]
; %bb.1711:                             ;   in Loop: Header=BB2_1059 Depth=4
	v_or_b32_e32 v8, 0x7e, v11
; %bb.1712:                             ;   in Loop: Header=BB2_1059 Depth=4
	s_or_b64 exec, exec, s[40:41]
                                        ; implicit-def: $vgpr10
.LBB2_1713:                             ;   in Loop: Header=BB2_1059 Depth=4
	s_andn2_saveexec_b64 s[40:41], s[42:43]
	s_cbranch_execz .LBB2_1058
; %bb.1714:                             ;   in Loop: Header=BB2_1059 Depth=4
	v_or_b32_sdwa v8, v10, s97 dst_sel:DWORD dst_unused:UNUSED_PAD src0_sel:BYTE_3 src1_sel:DWORD
	s_branch .LBB2_1058
.LBB2_1715:                             ;   in Loop: Header=BB2_1059 Depth=4
	s_or_saveexec_b64 s[46:47], s[46:47]
	v_bfrev_b32_e32 v7, 1
	s_xor_b64 exec, exec, s[46:47]
	s_cbranch_execz .LBB2_1070
.LBB2_1716:                             ;   in Loop: Header=BB2_1059 Depth=4
	v_cmp_ne_u16_sdwa vcc, v12, v35 src0_sel:BYTE_0 src1_sel:DWORD
	s_andn2_b64 s[44:45], s[44:45], exec
	s_and_b64 vcc, vcc, exec
	v_mov_b32_e32 v7, 0
	s_or_b64 s[44:45], s[44:45], vcc
	s_or_b64 exec, exec, s[46:47]
	s_and_saveexec_b64 s[46:47], s[44:45]
	s_cbranch_execnz .LBB2_1071
	s_branch .LBB2_1072
.LBB2_1717:                             ;   in Loop: Header=BB2_1059 Depth=4
	s_or_saveexec_b64 s[44:45], s[44:45]
	v_bfrev_b32_e32 v7, 1
	s_xor_b64 exec, exec, s[44:45]
	s_cbranch_execz .LBB2_1084
.LBB2_1718:                             ;   in Loop: Header=BB2_1059 Depth=4
	v_cmp_ne_u16_sdwa s[46:47], v12, v35 src0_sel:BYTE_0 src1_sel:DWORD
	s_andn2_b64 s[42:43], s[42:43], exec
	s_and_b64 s[46:47], s[46:47], exec
	v_mov_b32_e32 v7, 0
	s_or_b64 s[42:43], s[42:43], s[46:47]
	s_or_b64 exec, exec, s[44:45]
	s_and_saveexec_b64 s[44:45], s[42:43]
	s_cbranch_execnz .LBB2_1085
	s_branch .LBB2_1086
.LBB2_1719:                             ;   in Loop: Header=BB2_1059 Depth=4
	s_or_saveexec_b64 s[46:47], s[46:47]
	v_bfrev_b32_e32 v18, 1
	s_xor_b64 exec, exec, s[46:47]
	s_cbranch_execz .LBB2_1114
.LBB2_1720:                             ;   in Loop: Header=BB2_1059 Depth=4
	v_cmp_ne_u16_e32 vcc, 0, v34
	s_andn2_b64 s[44:45], s[44:45], exec
	s_and_b64 vcc, vcc, exec
	v_mov_b32_e32 v18, 0
	s_or_b64 s[44:45], s[44:45], vcc
	s_or_b64 exec, exec, s[46:47]
	s_and_saveexec_b64 s[46:47], s[44:45]
	s_cbranch_execnz .LBB2_1115
	s_branch .LBB2_1116
.LBB2_1721:                             ;   in Loop: Header=BB2_1059 Depth=4
	s_or_saveexec_b64 s[44:45], s[44:45]
	v_bfrev_b32_e32 v18, 1
	s_xor_b64 exec, exec, s[44:45]
	s_cbranch_execz .LBB2_1128
.LBB2_1722:                             ;   in Loop: Header=BB2_1059 Depth=4
	v_cmp_ne_u16_e32 vcc, 0, v34
	s_andn2_b64 s[42:43], s[42:43], exec
	s_and_b64 s[46:47], vcc, exec
	v_mov_b32_e32 v18, 0
	s_or_b64 s[42:43], s[42:43], s[46:47]
	s_or_b64 exec, exec, s[44:45]
	s_and_saveexec_b64 s[44:45], s[42:43]
	s_cbranch_execnz .LBB2_1129
	s_branch .LBB2_1130
.LBB2_1723:                             ;   in Loop: Header=BB2_1059 Depth=4
	s_or_saveexec_b64 s[46:47], s[46:47]
	v_bfrev_b32_e32 v18, 1
	s_xor_b64 exec, exec, s[46:47]
	s_cbranch_execz .LBB2_1158
.LBB2_1724:                             ;   in Loop: Header=BB2_1059 Depth=4
	v_cmp_ne_u16_sdwa vcc, v30, v35 src0_sel:BYTE_0 src1_sel:DWORD
	s_andn2_b64 s[44:45], s[44:45], exec
	s_and_b64 vcc, vcc, exec
	v_mov_b32_e32 v18, 0
	s_or_b64 s[44:45], s[44:45], vcc
	s_or_b64 exec, exec, s[46:47]
	s_and_saveexec_b64 s[46:47], s[44:45]
	s_cbranch_execnz .LBB2_1159
	s_branch .LBB2_1160
.LBB2_1725:                             ;   in Loop: Header=BB2_1059 Depth=4
	s_or_saveexec_b64 s[44:45], s[44:45]
	v_bfrev_b32_e32 v18, 1
	s_xor_b64 exec, exec, s[44:45]
	s_cbranch_execz .LBB2_1172
.LBB2_1726:                             ;   in Loop: Header=BB2_1059 Depth=4
	v_cmp_ne_u16_sdwa s[46:47], v30, v35 src0_sel:BYTE_0 src1_sel:DWORD
	s_andn2_b64 s[42:43], s[42:43], exec
	s_and_b64 s[46:47], s[46:47], exec
	v_mov_b32_e32 v18, 0
	s_or_b64 s[42:43], s[42:43], s[46:47]
	s_or_b64 exec, exec, s[44:45]
	s_and_saveexec_b64 s[44:45], s[42:43]
	s_cbranch_execnz .LBB2_1173
	s_branch .LBB2_1174
.LBB2_1727:                             ;   in Loop: Header=BB2_1059 Depth=4
	s_or_saveexec_b64 s[46:47], s[46:47]
	v_bfrev_b32_e32 v18, 1
	s_xor_b64 exec, exec, s[46:47]
	s_cbranch_execz .LBB2_1234
.LBB2_1728:                             ;   in Loop: Header=BB2_1059 Depth=4
	v_cmp_ne_u16_sdwa vcc, v13, v35 src0_sel:BYTE_0 src1_sel:DWORD
	s_andn2_b64 s[44:45], s[44:45], exec
	s_and_b64 vcc, vcc, exec
	v_mov_b32_e32 v18, 0
	s_or_b64 s[44:45], s[44:45], vcc
	s_or_b64 exec, exec, s[46:47]
	s_and_saveexec_b64 s[46:47], s[44:45]
	s_cbranch_execnz .LBB2_1235
	s_branch .LBB2_1236
.LBB2_1729:                             ;   in Loop: Header=BB2_1059 Depth=4
	s_or_saveexec_b64 s[44:45], s[44:45]
	v_bfrev_b32_e32 v18, 1
	s_xor_b64 exec, exec, s[44:45]
	s_cbranch_execz .LBB2_1248
.LBB2_1730:                             ;   in Loop: Header=BB2_1059 Depth=4
	v_cmp_ne_u16_sdwa s[46:47], v13, v35 src0_sel:BYTE_0 src1_sel:DWORD
	s_andn2_b64 s[42:43], s[42:43], exec
	s_and_b64 s[46:47], s[46:47], exec
	v_mov_b32_e32 v18, 0
	s_or_b64 s[42:43], s[42:43], s[46:47]
	s_or_b64 exec, exec, s[44:45]
	s_and_saveexec_b64 s[44:45], s[42:43]
	s_cbranch_execnz .LBB2_1249
	s_branch .LBB2_1250
.LBB2_1731:                             ;   in Loop: Header=BB2_1059 Depth=4
	s_or_saveexec_b64 s[46:47], s[46:47]
	v_bfrev_b32_e32 v18, 1
	s_xor_b64 exec, exec, s[46:47]
	s_cbranch_execz .LBB2_1278
.LBB2_1732:                             ;   in Loop: Header=BB2_1059 Depth=4
	v_cmp_ne_u16_e32 vcc, 0, v34
	s_andn2_b64 s[44:45], s[44:45], exec
	s_and_b64 vcc, vcc, exec
	v_mov_b32_e32 v18, 0
	s_or_b64 s[44:45], s[44:45], vcc
	s_or_b64 exec, exec, s[46:47]
	s_and_saveexec_b64 s[46:47], s[44:45]
	s_cbranch_execnz .LBB2_1279
	s_branch .LBB2_1280
.LBB2_1733:                             ;   in Loop: Header=BB2_1059 Depth=4
	s_or_saveexec_b64 s[44:45], s[44:45]
	v_bfrev_b32_e32 v18, 1
	s_xor_b64 exec, exec, s[44:45]
	s_cbranch_execz .LBB2_1292
.LBB2_1734:                             ;   in Loop: Header=BB2_1059 Depth=4
	v_cmp_ne_u16_e32 vcc, 0, v34
	s_andn2_b64 s[42:43], s[42:43], exec
	s_and_b64 s[46:47], vcc, exec
	v_mov_b32_e32 v18, 0
	s_or_b64 s[42:43], s[42:43], s[46:47]
	s_or_b64 exec, exec, s[44:45]
	s_and_saveexec_b64 s[44:45], s[42:43]
	s_cbranch_execnz .LBB2_1293
	s_branch .LBB2_1294
.LBB2_1735:                             ;   in Loop: Header=BB2_1059 Depth=4
	s_or_saveexec_b64 s[46:47], s[46:47]
	v_bfrev_b32_e32 v18, 1
	s_xor_b64 exec, exec, s[46:47]
	s_cbranch_execz .LBB2_1322
.LBB2_1736:                             ;   in Loop: Header=BB2_1059 Depth=4
	v_cmp_ne_u16_sdwa vcc, v30, v35 src0_sel:BYTE_0 src1_sel:DWORD
	s_andn2_b64 s[44:45], s[44:45], exec
	s_and_b64 vcc, vcc, exec
	v_mov_b32_e32 v18, 0
	s_or_b64 s[44:45], s[44:45], vcc
	s_or_b64 exec, exec, s[46:47]
	s_and_saveexec_b64 s[46:47], s[44:45]
	s_cbranch_execnz .LBB2_1323
	s_branch .LBB2_1324
.LBB2_1737:                             ;   in Loop: Header=BB2_1059 Depth=4
	s_or_saveexec_b64 s[44:45], s[44:45]
	v_bfrev_b32_e32 v18, 1
	s_xor_b64 exec, exec, s[44:45]
	s_cbranch_execz .LBB2_1336
.LBB2_1738:                             ;   in Loop: Header=BB2_1059 Depth=4
	v_cmp_ne_u16_sdwa s[46:47], v30, v35 src0_sel:BYTE_0 src1_sel:DWORD
	s_andn2_b64 s[42:43], s[42:43], exec
	s_and_b64 s[46:47], s[46:47], exec
	v_mov_b32_e32 v18, 0
	s_or_b64 s[42:43], s[42:43], s[46:47]
	s_or_b64 exec, exec, s[44:45]
	s_and_saveexec_b64 s[44:45], s[42:43]
	s_cbranch_execnz .LBB2_1337
	s_branch .LBB2_1338
.LBB2_1739:                             ;   in Loop: Header=BB2_1059 Depth=4
	s_or_saveexec_b64 s[46:47], s[46:47]
	v_bfrev_b32_e32 v8, 1
	s_xor_b64 exec, exec, s[46:47]
	s_cbranch_execz .LBB2_1398
.LBB2_1740:                             ;   in Loop: Header=BB2_1059 Depth=4
	v_cmp_ne_u16_sdwa vcc, v14, v35 src0_sel:BYTE_0 src1_sel:DWORD
	s_andn2_b64 s[44:45], s[44:45], exec
	s_and_b64 vcc, vcc, exec
	v_mov_b32_e32 v8, 0
	s_or_b64 s[44:45], s[44:45], vcc
	s_or_b64 exec, exec, s[46:47]
	s_and_saveexec_b64 s[46:47], s[44:45]
	s_cbranch_execnz .LBB2_1399
	s_branch .LBB2_1400
.LBB2_1741:                             ;   in Loop: Header=BB2_1059 Depth=4
	s_or_saveexec_b64 s[44:45], s[44:45]
	v_bfrev_b32_e32 v8, 1
	s_xor_b64 exec, exec, s[44:45]
	s_cbranch_execz .LBB2_1412
.LBB2_1742:                             ;   in Loop: Header=BB2_1059 Depth=4
	v_cmp_ne_u16_sdwa s[46:47], v14, v35 src0_sel:BYTE_0 src1_sel:DWORD
	s_andn2_b64 s[42:43], s[42:43], exec
	s_and_b64 s[46:47], s[46:47], exec
	v_mov_b32_e32 v8, 0
	s_or_b64 s[42:43], s[42:43], s[46:47]
	s_or_b64 exec, exec, s[44:45]
	s_and_saveexec_b64 s[44:45], s[42:43]
	s_cbranch_execnz .LBB2_1413
	s_branch .LBB2_1414
.LBB2_1743:                             ;   in Loop: Header=BB2_1059 Depth=4
	s_or_saveexec_b64 s[46:47], s[46:47]
	v_bfrev_b32_e32 v9, 1
	s_xor_b64 exec, exec, s[46:47]
	s_cbranch_execz .LBB2_1442
.LBB2_1744:                             ;   in Loop: Header=BB2_1059 Depth=4
	v_cmp_ne_u16_e32 vcc, 0, v34
	s_andn2_b64 s[44:45], s[44:45], exec
	s_and_b64 vcc, vcc, exec
	v_mov_b32_e32 v9, 0
	s_or_b64 s[44:45], s[44:45], vcc
	s_or_b64 exec, exec, s[46:47]
	s_and_saveexec_b64 s[46:47], s[44:45]
	s_cbranch_execnz .LBB2_1443
	s_branch .LBB2_1444
.LBB2_1745:                             ;   in Loop: Header=BB2_1059 Depth=4
	s_or_saveexec_b64 s[44:45], s[44:45]
	v_bfrev_b32_e32 v8, 1
	s_xor_b64 exec, exec, s[44:45]
	s_cbranch_execz .LBB2_1456
.LBB2_1746:                             ;   in Loop: Header=BB2_1059 Depth=4
	v_cmp_ne_u16_e32 vcc, 0, v34
	s_andn2_b64 s[42:43], s[42:43], exec
	s_and_b64 s[46:47], vcc, exec
	v_mov_b32_e32 v8, 0
	s_or_b64 s[42:43], s[42:43], s[46:47]
	s_or_b64 exec, exec, s[44:45]
	s_and_saveexec_b64 s[44:45], s[42:43]
	s_cbranch_execnz .LBB2_1457
	s_branch .LBB2_1458
.LBB2_1747:                             ;   in Loop: Header=BB2_1059 Depth=4
	s_or_saveexec_b64 s[46:47], s[46:47]
	v_bfrev_b32_e32 v13, 1
	s_xor_b64 exec, exec, s[46:47]
	s_cbranch_execz .LBB2_1486
.LBB2_1748:                             ;   in Loop: Header=BB2_1059 Depth=4
	v_cmp_ne_u16_sdwa vcc, v8, v35 src0_sel:BYTE_0 src1_sel:DWORD
	s_andn2_b64 s[44:45], s[44:45], exec
	s_and_b64 vcc, vcc, exec
	v_mov_b32_e32 v13, 0
	s_or_b64 s[44:45], s[44:45], vcc
	s_or_b64 exec, exec, s[46:47]
	s_and_saveexec_b64 s[46:47], s[44:45]
	s_cbranch_execnz .LBB2_1487
	s_branch .LBB2_1488
.LBB2_1749:                             ;   in Loop: Header=BB2_1059 Depth=4
	s_or_saveexec_b64 s[44:45], s[44:45]
	v_bfrev_b32_e32 v9, 1
	s_xor_b64 exec, exec, s[44:45]
	s_cbranch_execz .LBB2_1500
.LBB2_1750:                             ;   in Loop: Header=BB2_1059 Depth=4
	v_cmp_ne_u16_sdwa s[46:47], v8, v35 src0_sel:BYTE_0 src1_sel:DWORD
	s_andn2_b64 s[42:43], s[42:43], exec
	s_and_b64 s[46:47], s[46:47], exec
	v_mov_b32_e32 v9, 0
	s_or_b64 s[42:43], s[42:43], s[46:47]
	s_or_b64 exec, exec, s[44:45]
	s_and_saveexec_b64 s[44:45], s[42:43]
	s_cbranch_execnz .LBB2_1501
	s_branch .LBB2_1502
.LBB2_1751:                             ;   in Loop: Header=BB2_1059 Depth=4
	s_or_saveexec_b64 s[46:47], s[46:47]
	v_bfrev_b32_e32 v13, 1
	s_xor_b64 exec, exec, s[46:47]
	s_cbranch_execz .LBB2_1562
.LBB2_1752:                             ;   in Loop: Header=BB2_1059 Depth=4
	v_cmp_ne_u16_sdwa vcc, v15, v35 src0_sel:BYTE_0 src1_sel:DWORD
	s_andn2_b64 s[44:45], s[44:45], exec
	s_and_b64 vcc, vcc, exec
	v_mov_b32_e32 v13, 0
	s_or_b64 s[44:45], s[44:45], vcc
	s_or_b64 exec, exec, s[46:47]
	s_and_saveexec_b64 s[46:47], s[44:45]
	s_cbranch_execnz .LBB2_1563
	s_branch .LBB2_1564
.LBB2_1753:                             ;   in Loop: Header=BB2_1059 Depth=4
	s_or_saveexec_b64 s[44:45], s[44:45]
	v_bfrev_b32_e32 v13, 1
	s_xor_b64 exec, exec, s[44:45]
	s_cbranch_execz .LBB2_1576
.LBB2_1754:                             ;   in Loop: Header=BB2_1059 Depth=4
	v_cmp_ne_u16_sdwa s[46:47], v15, v35 src0_sel:BYTE_0 src1_sel:DWORD
	s_andn2_b64 s[42:43], s[42:43], exec
	s_and_b64 s[46:47], s[46:47], exec
	v_mov_b32_e32 v13, 0
	s_or_b64 s[42:43], s[42:43], s[46:47]
	s_or_b64 exec, exec, s[44:45]
	s_and_saveexec_b64 s[44:45], s[42:43]
	s_cbranch_execnz .LBB2_1577
	s_branch .LBB2_1578
.LBB2_1755:                             ;   in Loop: Header=BB2_1059 Depth=4
	s_or_saveexec_b64 s[46:47], s[46:47]
	v_bfrev_b32_e32 v19, 1
	s_xor_b64 exec, exec, s[46:47]
	s_cbranch_execz .LBB2_1606
.LBB2_1756:                             ;   in Loop: Header=BB2_1059 Depth=4
	v_cmp_ne_u16_e32 vcc, 0, v8
	s_andn2_b64 s[44:45], s[44:45], exec
	s_and_b64 vcc, vcc, exec
	v_mov_b32_e32 v19, 0
	s_or_b64 s[44:45], s[44:45], vcc
	s_or_b64 exec, exec, s[46:47]
	s_and_saveexec_b64 s[46:47], s[44:45]
	s_cbranch_execnz .LBB2_1607
	s_branch .LBB2_1608
.LBB2_1757:                             ;   in Loop: Header=BB2_1059 Depth=4
	s_or_saveexec_b64 s[44:45], s[44:45]
	v_bfrev_b32_e32 v12, 1
	s_xor_b64 exec, exec, s[44:45]
	s_cbranch_execz .LBB2_1620
.LBB2_1758:                             ;   in Loop: Header=BB2_1059 Depth=4
	v_cmp_ne_u16_e32 vcc, 0, v8
	s_andn2_b64 s[42:43], s[42:43], exec
	s_and_b64 s[46:47], vcc, exec
	v_mov_b32_e32 v12, 0
	s_or_b64 s[42:43], s[42:43], s[46:47]
	s_or_b64 exec, exec, s[44:45]
	s_and_saveexec_b64 s[44:45], s[42:43]
	s_cbranch_execnz .LBB2_1621
	s_branch .LBB2_1622
.LBB2_1759:                             ;   in Loop: Header=BB2_1059 Depth=4
	s_or_saveexec_b64 s[46:47], s[46:47]
	v_bfrev_b32_e32 v25, 1
	s_xor_b64 exec, exec, s[46:47]
	s_cbranch_execz .LBB2_1650
.LBB2_1760:                             ;   in Loop: Header=BB2_1059 Depth=4
	v_cmp_ne_u16_sdwa vcc, v8, v35 src0_sel:BYTE_0 src1_sel:DWORD
	s_andn2_b64 s[44:45], s[44:45], exec
	s_and_b64 vcc, vcc, exec
	v_mov_b32_e32 v25, 0
	s_or_b64 s[44:45], s[44:45], vcc
	s_or_b64 exec, exec, s[46:47]
	s_and_saveexec_b64 s[46:47], s[44:45]
	s_cbranch_execnz .LBB2_1651
	s_branch .LBB2_1652
.LBB2_1761:                             ;   in Loop: Header=BB2_1059 Depth=4
	s_or_saveexec_b64 s[44:45], s[44:45]
	v_bfrev_b32_e32 v9, 1
	s_xor_b64 exec, exec, s[44:45]
	s_cbranch_execz .LBB2_1664
.LBB2_1762:                             ;   in Loop: Header=BB2_1059 Depth=4
	v_cmp_ne_u16_sdwa s[46:47], v8, v35 src0_sel:BYTE_0 src1_sel:DWORD
	s_andn2_b64 s[42:43], s[42:43], exec
	s_and_b64 s[46:47], s[46:47], exec
	v_mov_b32_e32 v9, 0
	s_or_b64 s[42:43], s[42:43], s[46:47]
	s_or_b64 exec, exec, s[44:45]
	s_and_saveexec_b64 s[44:45], s[42:43]
	s_cbranch_execnz .LBB2_1665
	s_branch .LBB2_1666
.LBB2_1763:                             ;   in Loop: Header=BB2_272 Depth=3
	s_or_b64 exec, exec, s[50:51]
	buffer_load_dword v58, off, s[0:3], s33 offset:172 ; 4-byte Folded Reload
	buffer_load_dword v59, off, s[0:3], s33 offset:176 ; 4-byte Folded Reload
	;; [unrolled: 1-line block ×6, first 2 shown]
.LBB2_1764:                             ;   in Loop: Header=BB2_272 Depth=3
	s_or_b64 exec, exec, s[48:49]
	v_and_b32_e32 v1, 15, v16
	s_waitcnt vmcnt(0)
	v_sub_u32_e32 v3, v10, v1
	v_cndmask_b32_e64 v3, 0, v3, s[28:29]
	v_cmp_lt_i32_e32 vcc, 0, v27
	v_add3_u32 v6, v9, v7, v3
	v_cndmask_b32_e64 v7, v10, v1, s[28:29]
	v_cndmask_b32_e32 v1, 0, v17, vcc
	v_sub_u32_e32 v1, v1, v27
	v_cmp_ne_u32_e32 vcc, 0, v7
	v_lshl_add_u32 v21, v1, 6, v8
	s_and_b64 s[40:41], vcc, exec
.LBB2_1765:                             ;   in Loop: Header=BB2_272 Depth=3
	s_or_b64 exec, exec, s[38:39]
	s_and_saveexec_b64 s[44:45], s[40:41]
	s_cbranch_execz .LBB2_2206
.LBB2_1766:                             ;   in Loop: Header=BB2_272 Depth=3
	s_waitcnt vmcnt(0)
	v_ashrrev_i32_e32 v1, 31, v21
	v_ashrrev_i32_e32 v3, 31, v7
	v_lshrrev_b32_e32 v1, 26, v1
	v_lshrrev_b32_e32 v3, 23, v3
	v_add_u32_e32 v1, v21, v1
	v_add_u32_e32 v3, v7, v3
	v_ashrrev_i32_e32 v16, 6, v1
	v_ashrrev_i32_e32 v27, 9, v3
	v_sub_u32_e32 v26, v27, v16
	v_cmp_lt_i32_e32 vcc, 0, v26
	s_and_saveexec_b64 s[42:43], vcc
	s_cbranch_execz .LBB2_2154
; %bb.1767:                             ;   in Loop: Header=BB2_272 Depth=3
	v_and_b32_e32 v1, 0xffffffc0, v1
	v_sub_u32_e32 v1, v21, v1
	v_lshlrev_b32_e32 v3, 9, v16
	v_add3_u32 v1, v6, v1, v3
	s_trap 2
	ds_read_b64 v[3:4], v0
	v_ashrrev_i32_e32 v13, 31, v1
	v_add_co_u32_e32 v8, vcc, v1, v44
	v_addc_co_u32_e32 v9, vcc, v13, v45, vcc
	s_waitcnt lgkmcnt(0)
	v_add_co_u32_e32 v10, vcc, v3, v1
	v_addc_co_u32_e32 v11, vcc, v4, v13, vcc
	v_add_co_u32_e32 v3, vcc, 0x1c0, v42
	v_addc_co_u32_e32 v4, vcc, 0, v43, vcc
	s_bitcmp1_b32 s70, 0
	v_add_co_u32_e32 v12, vcc, v3, v1
	s_cselect_b64 s[46:47], -1, 0
	v_addc_co_u32_e32 v13, vcc, v4, v13, vcc
	s_mov_b64 s[38:39], 0
	s_branch .LBB2_1769
.LBB2_1768:                             ;   in Loop: Header=BB2_1769 Depth=4
	s_or_b64 exec, exec, s[28:29]
	v_add_co_u32_e32 v3, vcc, 0xfffffe40, v12
	v_addc_co_u32_e32 v4, vcc, -1, v13, vcc
	flat_store_byte v[3:4], v36 glc slc
	v_add_co_u32_e32 v3, vcc, 0xfffffe80, v12
	v_addc_co_u32_e32 v4, vcc, -1, v13, vcc
	flat_store_byte v[3:4], v42 glc slc
	;; [unrolled: 3-line block ×6, first 2 shown]
	v_add_co_u32_e32 v3, vcc, s87, v12
	v_addc_co_u32_e32 v4, vcc, -1, v13, vcc
	v_add_co_u32_e32 v8, vcc, v8, v2
	v_addc_co_u32_e32 v9, vcc, 0, v9, vcc
	v_add_co_u32_e32 v10, vcc, v10, v2
	v_addc_co_u32_e32 v11, vcc, 0, v11, vcc
	v_sub_u32_e32 v26, v26, v17
	v_cmp_gt_i32_e32 vcc, 1, v26
	flat_store_byte v[3:4], v25 glc slc
	flat_store_byte v[12:13], v15 glc slc
	s_or_b64 s[38:39], vcc, s[38:39]
	v_add_co_u32_e32 v12, vcc, v12, v2
	v_addc_co_u32_e32 v13, vcc, 0, v13, vcc
	s_andn2_b64 exec, exec, s[38:39]
	s_cbranch_execz .LBB2_2153
.LBB2_1769:                             ;   Parent Loop BB2_47 Depth=1
                                        ;     Parent Loop BB2_269 Depth=2
                                        ;       Parent Loop BB2_272 Depth=3
                                        ; =>      This Inner Loop Header: Depth=4
	flat_load_ubyte v18, v[8:9] glc slc
	flat_load_ubyte v56, v[8:9] offset:64 glc slc
	flat_load_ubyte v47, v[8:9] offset:128 glc slc
	;; [unrolled: 1-line block ×7, first 2 shown]
	flat_load_ubyte v15, v[10:11] glc slc
	flat_load_ubyte v42, v[10:11] offset:64 glc slc
	flat_load_ubyte v44, v[10:11] offset:128 glc slc
	;; [unrolled: 1-line block ×7, first 2 shown]
	s_mov_b64 s[40:41], -1
	s_and_b64 vcc, exec, s[46:47]
                                        ; implicit-def: $vgpr14
	s_waitcnt vmcnt(0) lgkmcnt(0)
	v_cmp_ne_u16_e64 s[28:29], 0, v18
	s_cbranch_vccz .LBB2_1783
; %bb.1770:                             ;   in Loop: Header=BB2_1769 Depth=4
	v_mov_b32_e32 v19, 0
	v_mov_b32_e32 v34, 0
	s_and_saveexec_b64 s[40:41], s[28:29]
	s_cbranch_execz .LBB2_1776
; %bb.1771:                             ;   in Loop: Header=BB2_1769 Depth=4
	v_cmp_ne_u16_e32 vcc, s59, v18
	v_bfrev_b32_e32 v34, 1
	s_and_saveexec_b64 s[48:49], vcc
	s_cbranch_execz .LBB2_1775
; %bb.1772:                             ;   in Loop: Header=BB2_1769 Depth=4
	v_and_b32_e32 v14, 0xffff, v18
	v_and_b32_e32 v36, 0x7f, v14
	v_cmp_ne_u32_e32 vcc, s97, v36
	v_mov_b32_e32 v34, 0x7f800001
	s_and_saveexec_b64 s[50:51], vcc
	s_cbranch_execz .LBB2_1774
; %bb.1773:                             ;   in Loop: Header=BB2_1769 Depth=4
	v_and_b32_e32 v34, 7, v14
	v_ffbh_u32_e32 v3, v34
	v_lshrrev_b32_e32 v40, 3, v36
	v_cmp_gt_u32_e32 vcc, 8, v36
	v_min_u32_e32 v36, 32, v3
	v_subrev_u32_e32 v3, 28, v36
	v_lshlrev_b64 v[3:4], v3, v[14:15]
	v_sub_u32_e32 v4, 29, v36
	v_and_b32_e32 v3, 7, v3
	v_cndmask_b32_e32 v4, v40, v4, vcc
	v_cndmask_b32_e32 v3, v34, v3, vcc
	v_lshlrev_b32_e32 v14, 24, v18
	v_lshlrev_b32_e32 v3, 20, v3
	v_and_b32_e32 v14, 0x80000000, v14
	v_lshl_add_u32 v4, v4, 23, v48
	v_or3_b32 v34, v14, v4, v3
.LBB2_1774:                             ;   in Loop: Header=BB2_1769 Depth=4
	s_or_b64 exec, exec, s[50:51]
.LBB2_1775:                             ;   in Loop: Header=BB2_1769 Depth=4
	s_or_b64 exec, exec, s[48:49]
.LBB2_1776:                             ;   in Loop: Header=BB2_1769 Depth=4
	s_or_b64 exec, exec, s[40:41]
	v_and_b32_e32 v14, 0xff, v15
	v_cmp_ne_u16_e32 vcc, 0, v14
	s_and_saveexec_b64 s[40:41], vcc
	s_cbranch_execz .LBB2_1782
; %bb.1777:                             ;   in Loop: Header=BB2_1769 Depth=4
	v_cmp_ne_u16_e32 vcc, s59, v14
	v_bfrev_b32_e32 v19, 1
	s_and_saveexec_b64 s[48:49], vcc
	s_cbranch_execz .LBB2_1781
; %bb.1778:                             ;   in Loop: Header=BB2_1769 Depth=4
	v_and_b32_e32 v36, 0x7f, v15
	v_cmp_ne_u32_e32 vcc, s97, v36
	v_mov_b32_e32 v19, 0x7f800001
	s_and_saveexec_b64 s[50:51], vcc
	s_cbranch_execz .LBB2_1780
; %bb.1779:                             ;   in Loop: Header=BB2_1769 Depth=4
	v_and_b32_e32 v19, 7, v14
	v_ffbh_u32_e32 v3, v19
	v_lshrrev_b32_e32 v40, 3, v36
	v_cmp_gt_u32_e32 vcc, 8, v36
	v_min_u32_e32 v36, 32, v3
	v_subrev_u32_e32 v3, 28, v36
	v_lshlrev_b64 v[3:4], v3, v[14:15]
	v_sub_u32_e32 v4, 29, v36
	v_and_b32_e32 v3, 7, v3
	v_cndmask_b32_e32 v4, v40, v4, vcc
	v_cndmask_b32_e32 v3, v19, v3, vcc
	v_lshlrev_b32_e32 v14, 24, v15
	v_lshlrev_b32_e32 v3, 20, v3
	v_and_b32_e32 v14, 0x80000000, v14
	v_lshl_add_u32 v4, v4, 23, v48
	v_or3_b32 v19, v14, v4, v3
.LBB2_1780:                             ;   in Loop: Header=BB2_1769 Depth=4
	s_or_b64 exec, exec, s[50:51]
.LBB2_1781:                             ;   in Loop: Header=BB2_1769 Depth=4
	s_or_b64 exec, exec, s[48:49]
.LBB2_1782:                             ;   in Loop: Header=BB2_1769 Depth=4
	s_or_b64 exec, exec, s[40:41]
	v_max_f32_e32 v3, v19, v19
	v_max_f32_e32 v4, v34, v34
	;; [unrolled: 1-line block ×3, first 2 shown]
	s_mov_b64 s[40:41], 0
.LBB2_1783:                             ;   in Loop: Header=BB2_1769 Depth=4
	s_and_b64 vcc, exec, s[40:41]
	s_cbranch_vccz .LBB2_1797
; %bb.1784:                             ;   in Loop: Header=BB2_1769 Depth=4
	v_mov_b32_e32 v19, 0
	v_mov_b32_e32 v34, 0
	s_and_saveexec_b64 s[40:41], s[28:29]
	s_cbranch_execz .LBB2_1790
; %bb.1785:                             ;   in Loop: Header=BB2_1769 Depth=4
	v_cmp_ne_u16_e32 vcc, s59, v18
	v_bfrev_b32_e32 v34, 1
	s_and_saveexec_b64 s[28:29], vcc
	s_cbranch_execz .LBB2_1789
; %bb.1786:                             ;   in Loop: Header=BB2_1769 Depth=4
	v_and_b32_e32 v14, 0xffff, v18
	v_and_b32_e32 v36, 0x7f, v14
	v_cmp_ne_u32_e32 vcc, s97, v36
	v_mov_b32_e32 v34, 0x7f800001
	s_and_saveexec_b64 s[48:49], vcc
	s_cbranch_execz .LBB2_1788
; %bb.1787:                             ;   in Loop: Header=BB2_1769 Depth=4
	v_and_b32_e32 v34, 7, v14
	v_ffbh_u32_e32 v3, v34
	v_lshrrev_b32_e32 v40, 3, v36
	v_cmp_gt_u32_e32 vcc, 8, v36
	v_min_u32_e32 v36, 32, v3
	v_subrev_u32_e32 v3, 28, v36
	v_lshlrev_b64 v[3:4], v3, v[14:15]
	v_sub_u32_e32 v4, 29, v36
	v_and_b32_e32 v3, 7, v3
	v_cndmask_b32_e32 v4, v40, v4, vcc
	v_cndmask_b32_e32 v3, v34, v3, vcc
	v_lshlrev_b32_e32 v14, 24, v18
	v_lshlrev_b32_e32 v3, 20, v3
	v_and_b32_e32 v14, 0x80000000, v14
	v_lshl_add_u32 v4, v4, 23, v48
	v_or3_b32 v34, v14, v4, v3
.LBB2_1788:                             ;   in Loop: Header=BB2_1769 Depth=4
	s_or_b64 exec, exec, s[48:49]
.LBB2_1789:                             ;   in Loop: Header=BB2_1769 Depth=4
	s_or_b64 exec, exec, s[28:29]
.LBB2_1790:                             ;   in Loop: Header=BB2_1769 Depth=4
	s_or_b64 exec, exec, s[40:41]
	v_and_b32_e32 v14, 0xff, v15
	v_cmp_ne_u16_e32 vcc, 0, v14
	s_and_saveexec_b64 s[28:29], vcc
	s_cbranch_execz .LBB2_1796
; %bb.1791:                             ;   in Loop: Header=BB2_1769 Depth=4
	v_cmp_ne_u16_e32 vcc, s59, v14
	v_bfrev_b32_e32 v19, 1
	s_and_saveexec_b64 s[40:41], vcc
	s_cbranch_execz .LBB2_1795
; %bb.1792:                             ;   in Loop: Header=BB2_1769 Depth=4
	v_and_b32_e32 v18, 0x7f, v15
	v_cmp_ne_u32_e32 vcc, s97, v18
	v_mov_b32_e32 v19, 0x7f800001
	s_and_saveexec_b64 s[48:49], vcc
	s_cbranch_execz .LBB2_1794
; %bb.1793:                             ;   in Loop: Header=BB2_1769 Depth=4
	v_and_b32_e32 v19, 7, v14
	v_ffbh_u32_e32 v3, v19
	v_lshrrev_b32_e32 v36, 3, v18
	v_cmp_gt_u32_e32 vcc, 8, v18
	v_min_u32_e32 v18, 32, v3
	v_subrev_u32_e32 v3, 28, v18
	v_lshlrev_b64 v[3:4], v3, v[14:15]
	v_sub_u32_e32 v4, 29, v18
	v_and_b32_e32 v3, 7, v3
	v_cndmask_b32_e32 v4, v36, v4, vcc
	v_cndmask_b32_e32 v3, v19, v3, vcc
	v_lshlrev_b32_e32 v14, 24, v15
	v_lshlrev_b32_e32 v3, 20, v3
	v_and_b32_e32 v14, 0x80000000, v14
	v_lshl_add_u32 v4, v4, 23, v48
	v_or3_b32 v19, v14, v4, v3
.LBB2_1794:                             ;   in Loop: Header=BB2_1769 Depth=4
	s_or_b64 exec, exec, s[48:49]
.LBB2_1795:                             ;   in Loop: Header=BB2_1769 Depth=4
	s_or_b64 exec, exec, s[40:41]
.LBB2_1796:                             ;   in Loop: Header=BB2_1769 Depth=4
	s_or_b64 exec, exec, s[28:29]
	v_max_f32_e32 v3, v19, v19
	v_max_f32_e32 v4, v34, v34
	v_min_f32_e32 v14, v4, v3
.LBB2_1797:                             ;   in Loop: Header=BB2_1769 Depth=4
	v_and_b32_e32 v34, 0x7f800000, v14
	v_cmp_ne_u64_e32 vcc, s[90:91], v[34:35]
                                        ; implicit-def: $vgpr36
	s_and_saveexec_b64 s[28:29], vcc
	s_xor_b64 s[40:41], exec, s[28:29]
	s_cbranch_execz .LBB2_1815
; %bb.1798:                             ;   in Loop: Header=BB2_1769 Depth=4
	v_and_b32_e32 v34, 0x7fffffff, v14
	v_cmp_gt_u64_e32 vcc, s[92:93], v[34:35]
	v_and_b32_sdwa v57, v14, s59 dst_sel:DWORD dst_unused:UNUSED_PAD src0_sel:BYTE_3 src1_sel:DWORD
                                        ; implicit-def: $vgpr36
	s_and_saveexec_b64 s[28:29], vcc
	s_xor_b64 s[48:49], exec, s[28:29]
	s_cbranch_execz .LBB2_1812
; %bb.1799:                             ;   in Loop: Header=BB2_1769 Depth=4
	v_cmp_ne_u32_e32 vcc, 0, v14
	v_mov_b32_e32 v36, 0
	s_and_saveexec_b64 s[50:51], vcc
	s_cbranch_execz .LBB2_1811
; %bb.1800:                             ;   in Loop: Header=BB2_1769 Depth=4
	v_bfe_u32 v36, v14, 23, 8
	v_cmp_gt_u32_e64 s[28:29], s56, v36
	v_sub_u32_e32 v4, 0x79, v36
	v_and_b32_e32 v3, 0x7fffff, v14
	v_cmp_eq_u32_e32 vcc, 0, v36
	v_cndmask_b32_e64 v4, 0, v4, s[28:29]
	v_mov_b32_e32 v15, 0x78
	v_or_b32_e32 v14, 0x800000, v3
	v_cndmask_b32_e32 v40, v4, v15, vcc
	v_cndmask_b32_e32 v34, v14, v3, vcc
	v_add_u32_e32 v3, 20, v40
	v_lshlrev_b64 v[3:4], v3, -1
	v_add_u32_e32 v14, 19, v40
	v_lshlrev_b64 v[14:15], v14, 1
	v_bfi_b32 v4, v4, 0, 0
	v_bfi_b32 v3, v3, 0, v34
	v_cmp_eq_u64_e64 s[28:29], v[3:4], v[14:15]
	v_lshrrev_b64 v[14:15], v40, v[34:35]
	v_mov_b32_e32 v19, v15
	v_mov_b32_e32 v18, v14
	s_and_saveexec_b64 s[52:53], s[28:29]
; %bb.1801:                             ;   in Loop: Header=BB2_1769 Depth=4
	v_bfe_u32 v3, v14, 20, 1
	v_add_co_u32_e64 v3, s[28:29], v14, v3
	v_add_co_u32_e64 v18, s[28:29], -1, v3
; %bb.1802:                             ;   in Loop: Header=BB2_1769 Depth=4
	s_or_b64 exec, exec, s[52:53]
	v_add_u32_e32 v3, 0xffffff81, v36
	v_cndmask_b32_e32 v3, v3, v52, vcc
	v_lshrrev_b32_e32 v4, 23, v14
	v_add3_u32 v36, v40, v3, v4
	v_add_u32_e32 v19, 6, v36
	v_and_b32_e32 v3, 0xfffff, v18
	v_add_u32_e32 v34, v3, v14
	v_cmp_ne_u32_e32 vcc, 0, v19
                                        ; implicit-def: $vgpr14_vgpr15
                                        ; implicit-def: $vgpr18
	s_and_saveexec_b64 s[28:29], vcc
	s_xor_b64 s[28:29], exec, s[28:29]
; %bb.1803:                             ;   in Loop: Header=BB2_1769 Depth=4
	v_cmp_lt_u64_e32 vcc, s[94:95], v[34:35]
	v_add_u32_e32 v3, 7, v36
	v_cndmask_b32_e32 v18, v19, v3, vcc
	v_cndmask_b32_e64 v3, 0, 1, vcc
	v_lshrrev_b64 v[14:15], v3, v[34:35]
; %bb.1804:                             ;   in Loop: Header=BB2_1769 Depth=4
	s_andn2_saveexec_b64 s[28:29], s[28:29]
; %bb.1805:                             ;   in Loop: Header=BB2_1769 Depth=4
	v_mov_b32_e32 v14, v34
	v_bfe_u32 v18, v34, 23, 1
	v_mov_b32_e32 v15, v35
; %bb.1806:                             ;   in Loop: Header=BB2_1769 Depth=4
	s_or_b64 exec, exec, s[28:29]
	v_lshrrev_b64 v[3:4], 20, v[14:15]
	v_cmp_gt_i32_e32 vcc, 16, v18
	v_cndmask_b32_e32 v15, 0, v4, vcc
	v_cndmask_b32_e32 v14, 7, v3, vcc
	v_cmp_ne_u64_e32 vcc, 0, v[14:15]
	v_cmp_ne_u32_e64 s[28:29], 0, v18
	s_or_b64 s[28:29], s[28:29], vcc
                                        ; implicit-def: $vgpr36
	s_and_saveexec_b64 vcc, s[28:29]
	s_xor_b64 s[28:29], exec, vcc
; %bb.1807:                             ;   in Loop: Header=BB2_1769 Depth=4
	v_min_i32_e32 v3, 15, v18
	v_lshl_or_b32 v3, v3, 3, v57
	v_and_or_b32 v36, v14, 7, v3
                                        ; implicit-def: $vgpr57
; %bb.1808:                             ;   in Loop: Header=BB2_1769 Depth=4
	s_andn2_saveexec_b64 s[28:29], s[28:29]
; %bb.1809:                             ;   in Loop: Header=BB2_1769 Depth=4
	v_mov_b32_e32 v36, v57
; %bb.1810:                             ;   in Loop: Header=BB2_1769 Depth=4
	s_or_b64 exec, exec, s[28:29]
.LBB2_1811:                             ;   in Loop: Header=BB2_1769 Depth=4
	s_or_b64 exec, exec, s[50:51]
                                        ; implicit-def: $vgpr57
.LBB2_1812:                             ;   in Loop: Header=BB2_1769 Depth=4
	s_andn2_saveexec_b64 s[28:29], s[48:49]
; %bb.1813:                             ;   in Loop: Header=BB2_1769 Depth=4
	v_or_b32_e32 v36, 0x7e, v57
; %bb.1814:                             ;   in Loop: Header=BB2_1769 Depth=4
	s_or_b64 exec, exec, s[28:29]
                                        ; implicit-def: $vgpr14
.LBB2_1815:                             ;   in Loop: Header=BB2_1769 Depth=4
	s_andn2_saveexec_b64 s[28:29], s[40:41]
; %bb.1816:                             ;   in Loop: Header=BB2_1769 Depth=4
	v_or_b32_sdwa v36, v14, s97 dst_sel:DWORD dst_unused:UNUSED_PAD src0_sel:BYTE_3 src1_sel:DWORD
; %bb.1817:                             ;   in Loop: Header=BB2_1769 Depth=4
	s_or_b64 exec, exec, s[28:29]
	v_and_b32_e32 v14, 0xff, v56
	v_cndmask_b32_e64 v3, 0, 1, s[46:47]
	v_cmp_ne_u16_e64 s[40:41], 0, v14
	v_cmp_ne_u32_e64 s[28:29], 1, v3
	s_andn2_b64 vcc, exec, s[46:47]
	s_mov_b64 s[48:49], -1
                                        ; implicit-def: $vgpr15
	s_cbranch_vccnz .LBB2_1831
; %bb.1818:                             ;   in Loop: Header=BB2_1769 Depth=4
	v_mov_b32_e32 v19, 0
	v_mov_b32_e32 v18, 0
	s_and_saveexec_b64 s[48:49], s[40:41]
	s_cbranch_execz .LBB2_1824
; %bb.1819:                             ;   in Loop: Header=BB2_1769 Depth=4
	v_cmp_ne_u16_e32 vcc, s59, v14
	v_bfrev_b32_e32 v18, 1
	s_and_saveexec_b64 s[50:51], vcc
	s_cbranch_execz .LBB2_1823
; %bb.1820:                             ;   in Loop: Header=BB2_1769 Depth=4
	v_and_b32_e32 v15, 0x7f, v56
	v_cmp_ne_u32_e32 vcc, s97, v15
	v_mov_b32_e32 v18, 0x7f800001
	s_and_saveexec_b64 s[52:53], vcc
	s_cbranch_execz .LBB2_1822
; %bb.1821:                             ;   in Loop: Header=BB2_1769 Depth=4
	v_and_b32_e32 v18, 7, v14
	v_ffbh_u32_e32 v3, v18
	v_lshrrev_b32_e32 v34, 3, v15
	v_cmp_gt_u32_e32 vcc, 8, v15
	v_min_u32_e32 v15, 32, v3
	v_subrev_u32_e32 v3, 28, v15
	v_lshlrev_b64 v[3:4], v3, v[14:15]
	v_sub_u32_e32 v4, 29, v15
	v_and_b32_e32 v3, 7, v3
	v_cndmask_b32_e32 v4, v34, v4, vcc
	v_cndmask_b32_e32 v3, v18, v3, vcc
	v_lshlrev_b32_e32 v15, 24, v56
	v_lshlrev_b32_e32 v3, 20, v3
	v_and_b32_e32 v15, 0x80000000, v15
	v_lshl_add_u32 v4, v4, 23, v48
	v_or3_b32 v18, v15, v4, v3
.LBB2_1822:                             ;   in Loop: Header=BB2_1769 Depth=4
	s_or_b64 exec, exec, s[52:53]
.LBB2_1823:                             ;   in Loop: Header=BB2_1769 Depth=4
	s_or_b64 exec, exec, s[50:51]
.LBB2_1824:                             ;   in Loop: Header=BB2_1769 Depth=4
	s_or_b64 exec, exec, s[48:49]
	v_and_b32_e32 v15, 0xff, v42
	v_cmp_ne_u16_e32 vcc, 0, v15
	s_and_saveexec_b64 s[48:49], vcc
	s_cbranch_execz .LBB2_1830
; %bb.1825:                             ;   in Loop: Header=BB2_1769 Depth=4
	v_cmp_ne_u16_e32 vcc, s59, v15
	v_bfrev_b32_e32 v19, 1
	s_and_saveexec_b64 s[50:51], vcc
	s_cbranch_execz .LBB2_1829
; %bb.1826:                             ;   in Loop: Header=BB2_1769 Depth=4
	v_and_b32_e32 v34, 0x7f, v42
	v_cmp_ne_u32_e32 vcc, s97, v34
	v_mov_b32_e32 v19, 0x7f800001
	s_and_saveexec_b64 s[52:53], vcc
	s_cbranch_execz .LBB2_1828
; %bb.1827:                             ;   in Loop: Header=BB2_1769 Depth=4
	v_and_b32_e32 v19, 7, v15
	v_ffbh_u32_e32 v3, v19
	v_lshrrev_b32_e32 v40, 3, v34
	v_cmp_gt_u32_e32 vcc, 8, v34
	v_min_u32_e32 v34, 32, v3
	v_subrev_u32_e32 v3, 28, v34
	v_lshlrev_b64 v[3:4], v3, v[15:16]
	v_sub_u32_e32 v4, 29, v34
	v_and_b32_e32 v3, 7, v3
	v_cndmask_b32_e32 v4, v40, v4, vcc
	v_cndmask_b32_e32 v3, v19, v3, vcc
	v_lshlrev_b32_e32 v15, 24, v42
	v_lshlrev_b32_e32 v3, 20, v3
	v_and_b32_e32 v15, 0x80000000, v15
	v_lshl_add_u32 v4, v4, 23, v48
	v_or3_b32 v19, v15, v4, v3
.LBB2_1828:                             ;   in Loop: Header=BB2_1769 Depth=4
	s_or_b64 exec, exec, s[52:53]
.LBB2_1829:                             ;   in Loop: Header=BB2_1769 Depth=4
	s_or_b64 exec, exec, s[50:51]
.LBB2_1830:                             ;   in Loop: Header=BB2_1769 Depth=4
	s_or_b64 exec, exec, s[48:49]
	v_max_f32_e32 v3, v19, v19
	v_max_f32_e32 v4, v18, v18
	v_max_f32_e32 v15, v4, v3
	s_mov_b64 s[48:49], 0
.LBB2_1831:                             ;   in Loop: Header=BB2_1769 Depth=4
	s_and_b64 vcc, exec, s[48:49]
	s_cbranch_vccz .LBB2_1845
; %bb.1832:                             ;   in Loop: Header=BB2_1769 Depth=4
	v_mov_b32_e32 v18, 0
	v_mov_b32_e32 v15, 0
	s_and_saveexec_b64 s[48:49], s[40:41]
	s_cbranch_execz .LBB2_1838
; %bb.1833:                             ;   in Loop: Header=BB2_1769 Depth=4
	v_cmp_ne_u16_e32 vcc, s59, v14
	v_bfrev_b32_e32 v15, 1
	s_and_saveexec_b64 s[40:41], vcc
	s_cbranch_execz .LBB2_1837
; %bb.1834:                             ;   in Loop: Header=BB2_1769 Depth=4
	v_and_b32_e32 v19, 0x7f, v56
	v_cmp_ne_u32_e32 vcc, s97, v19
	v_mov_b32_e32 v15, 0x7f800001
	s_and_saveexec_b64 s[50:51], vcc
	s_cbranch_execz .LBB2_1836
; %bb.1835:                             ;   in Loop: Header=BB2_1769 Depth=4
	v_and_b32_e32 v15, 7, v14
	v_ffbh_u32_e32 v3, v15
	v_lshrrev_b32_e32 v34, 3, v19
	v_cmp_gt_u32_e32 vcc, 8, v19
	v_min_u32_e32 v19, 32, v3
	v_subrev_u32_e32 v3, 28, v19
	v_lshlrev_b64 v[3:4], v3, v[14:15]
	v_sub_u32_e32 v4, 29, v19
	v_and_b32_e32 v3, 7, v3
	v_cndmask_b32_e32 v4, v34, v4, vcc
	v_cndmask_b32_e32 v3, v15, v3, vcc
	v_lshlrev_b32_e32 v14, 24, v56
	v_lshlrev_b32_e32 v3, 20, v3
	v_and_b32_e32 v14, 0x80000000, v14
	v_lshl_add_u32 v4, v4, 23, v48
	v_or3_b32 v15, v14, v4, v3
.LBB2_1836:                             ;   in Loop: Header=BB2_1769 Depth=4
	s_or_b64 exec, exec, s[50:51]
.LBB2_1837:                             ;   in Loop: Header=BB2_1769 Depth=4
	s_or_b64 exec, exec, s[40:41]
.LBB2_1838:                             ;   in Loop: Header=BB2_1769 Depth=4
	s_or_b64 exec, exec, s[48:49]
	v_and_b32_e32 v14, 0xff, v42
	v_cmp_ne_u16_e32 vcc, 0, v14
	s_and_saveexec_b64 s[40:41], vcc
	s_cbranch_execz .LBB2_1844
; %bb.1839:                             ;   in Loop: Header=BB2_1769 Depth=4
	v_cmp_ne_u16_e32 vcc, s59, v14
	v_bfrev_b32_e32 v18, 1
	s_and_saveexec_b64 s[48:49], vcc
	s_cbranch_execz .LBB2_1843
; %bb.1840:                             ;   in Loop: Header=BB2_1769 Depth=4
	v_and_b32_e32 v19, 0x7f, v42
	v_cmp_ne_u32_e32 vcc, s97, v19
	v_mov_b32_e32 v18, 0x7f800001
	s_and_saveexec_b64 s[50:51], vcc
	s_cbranch_execz .LBB2_1842
; %bb.1841:                             ;   in Loop: Header=BB2_1769 Depth=4
	v_and_b32_e32 v18, 7, v14
	v_ffbh_u32_e32 v3, v18
	v_lshrrev_b32_e32 v34, 3, v19
	v_cmp_gt_u32_e32 vcc, 8, v19
	v_min_u32_e32 v19, 32, v3
	v_subrev_u32_e32 v3, 28, v19
	v_lshlrev_b64 v[3:4], v3, v[14:15]
	v_sub_u32_e32 v4, 29, v19
	v_and_b32_e32 v3, 7, v3
	v_cndmask_b32_e32 v4, v34, v4, vcc
	v_cndmask_b32_e32 v3, v18, v3, vcc
	v_lshlrev_b32_e32 v14, 24, v42
	v_lshlrev_b32_e32 v3, 20, v3
	v_and_b32_e32 v14, 0x80000000, v14
	v_lshl_add_u32 v4, v4, 23, v48
	v_or3_b32 v18, v14, v4, v3
.LBB2_1842:                             ;   in Loop: Header=BB2_1769 Depth=4
	s_or_b64 exec, exec, s[50:51]
.LBB2_1843:                             ;   in Loop: Header=BB2_1769 Depth=4
	s_or_b64 exec, exec, s[48:49]
.LBB2_1844:                             ;   in Loop: Header=BB2_1769 Depth=4
	s_or_b64 exec, exec, s[40:41]
	v_max_f32_e32 v3, v18, v18
	v_max_f32_e32 v4, v15, v15
	v_min_f32_e32 v15, v4, v3
.LBB2_1845:                             ;   in Loop: Header=BB2_1769 Depth=4
	v_and_b32_e32 v34, 0x7f800000, v15
	v_cmp_ne_u64_e32 vcc, s[90:91], v[34:35]
                                        ; implicit-def: $vgpr42
	s_and_saveexec_b64 s[40:41], vcc
	s_xor_b64 s[48:49], exec, s[40:41]
	s_cbranch_execz .LBB2_1863
; %bb.1846:                             ;   in Loop: Header=BB2_1769 Depth=4
	v_and_b32_e32 v34, 0x7fffffff, v15
	v_cmp_gt_u64_e32 vcc, s[92:93], v[34:35]
	v_and_b32_sdwa v56, v15, s59 dst_sel:DWORD dst_unused:UNUSED_PAD src0_sel:BYTE_3 src1_sel:DWORD
                                        ; implicit-def: $vgpr42
	s_and_saveexec_b64 s[40:41], vcc
	s_xor_b64 s[50:51], exec, s[40:41]
	s_cbranch_execz .LBB2_1860
; %bb.1847:                             ;   in Loop: Header=BB2_1769 Depth=4
	v_cmp_ne_u32_e32 vcc, 0, v15
	v_mov_b32_e32 v42, 0
	s_and_saveexec_b64 s[52:53], vcc
	s_cbranch_execz .LBB2_1859
; %bb.1848:                             ;   in Loop: Header=BB2_1769 Depth=4
	v_bfe_u32 v40, v15, 23, 8
	v_cmp_gt_u32_e64 s[40:41], s56, v40
	v_sub_u32_e32 v4, 0x79, v40
	v_and_b32_e32 v3, 0x7fffff, v15
	v_cmp_eq_u32_e32 vcc, 0, v40
	v_cndmask_b32_e64 v4, 0, v4, s[40:41]
	v_mov_b32_e32 v15, 0x78
	v_or_b32_e32 v14, 0x800000, v3
	v_cndmask_b32_e32 v41, v4, v15, vcc
	v_cndmask_b32_e32 v34, v14, v3, vcc
	v_add_u32_e32 v3, 20, v41
	v_lshlrev_b64 v[3:4], v3, -1
	v_add_u32_e32 v14, 19, v41
	v_lshlrev_b64 v[14:15], v14, 1
	v_bfi_b32 v4, v4, 0, 0
	v_bfi_b32 v3, v3, 0, v34
	v_cmp_eq_u64_e64 s[40:41], v[3:4], v[14:15]
	v_lshrrev_b64 v[14:15], v41, v[34:35]
	v_mov_b32_e32 v19, v15
	v_mov_b32_e32 v18, v14
	s_and_saveexec_b64 s[54:55], s[40:41]
; %bb.1849:                             ;   in Loop: Header=BB2_1769 Depth=4
	v_bfe_u32 v3, v14, 20, 1
	v_add_co_u32_e64 v3, s[40:41], v14, v3
	v_add_co_u32_e64 v18, s[40:41], -1, v3
; %bb.1850:                             ;   in Loop: Header=BB2_1769 Depth=4
	s_or_b64 exec, exec, s[54:55]
	v_add_u32_e32 v3, 0xffffff81, v40
	v_cndmask_b32_e32 v3, v3, v52, vcc
	v_lshrrev_b32_e32 v4, 23, v14
	v_add3_u32 v40, v41, v3, v4
	v_add_u32_e32 v19, 6, v40
	v_and_b32_e32 v3, 0xfffff, v18
	v_add_u32_e32 v34, v3, v14
	v_cmp_ne_u32_e32 vcc, 0, v19
                                        ; implicit-def: $vgpr14_vgpr15
                                        ; implicit-def: $vgpr18
	s_and_saveexec_b64 s[40:41], vcc
	s_xor_b64 s[40:41], exec, s[40:41]
; %bb.1851:                             ;   in Loop: Header=BB2_1769 Depth=4
	v_cmp_lt_u64_e32 vcc, s[94:95], v[34:35]
	v_add_u32_e32 v3, 7, v40
	v_cndmask_b32_e32 v18, v19, v3, vcc
	v_cndmask_b32_e64 v3, 0, 1, vcc
	v_lshrrev_b64 v[14:15], v3, v[34:35]
; %bb.1852:                             ;   in Loop: Header=BB2_1769 Depth=4
	s_andn2_saveexec_b64 s[40:41], s[40:41]
; %bb.1853:                             ;   in Loop: Header=BB2_1769 Depth=4
	v_mov_b32_e32 v14, v34
	v_bfe_u32 v18, v34, 23, 1
	v_mov_b32_e32 v15, v35
; %bb.1854:                             ;   in Loop: Header=BB2_1769 Depth=4
	s_or_b64 exec, exec, s[40:41]
	v_lshrrev_b64 v[3:4], 20, v[14:15]
	v_cmp_gt_i32_e32 vcc, 16, v18
	v_cndmask_b32_e32 v15, 0, v4, vcc
	v_cndmask_b32_e32 v14, 7, v3, vcc
	v_cmp_ne_u64_e32 vcc, 0, v[14:15]
	v_cmp_ne_u32_e64 s[40:41], 0, v18
	s_or_b64 s[40:41], s[40:41], vcc
                                        ; implicit-def: $vgpr42
	s_and_saveexec_b64 vcc, s[40:41]
	s_xor_b64 s[40:41], exec, vcc
; %bb.1855:                             ;   in Loop: Header=BB2_1769 Depth=4
	v_min_i32_e32 v3, 15, v18
	v_lshl_or_b32 v3, v3, 3, v56
	v_and_or_b32 v42, v14, 7, v3
                                        ; implicit-def: $vgpr56
; %bb.1856:                             ;   in Loop: Header=BB2_1769 Depth=4
	s_andn2_saveexec_b64 s[40:41], s[40:41]
; %bb.1857:                             ;   in Loop: Header=BB2_1769 Depth=4
	v_mov_b32_e32 v42, v56
; %bb.1858:                             ;   in Loop: Header=BB2_1769 Depth=4
	s_or_b64 exec, exec, s[40:41]
.LBB2_1859:                             ;   in Loop: Header=BB2_1769 Depth=4
	s_or_b64 exec, exec, s[52:53]
                                        ; implicit-def: $vgpr56
.LBB2_1860:                             ;   in Loop: Header=BB2_1769 Depth=4
	s_andn2_saveexec_b64 s[40:41], s[50:51]
; %bb.1861:                             ;   in Loop: Header=BB2_1769 Depth=4
	v_or_b32_e32 v42, 0x7e, v56
; %bb.1862:                             ;   in Loop: Header=BB2_1769 Depth=4
	s_or_b64 exec, exec, s[40:41]
                                        ; implicit-def: $vgpr15
.LBB2_1863:                             ;   in Loop: Header=BB2_1769 Depth=4
	s_andn2_saveexec_b64 s[40:41], s[48:49]
; %bb.1864:                             ;   in Loop: Header=BB2_1769 Depth=4
	v_or_b32_sdwa v42, v15, s97 dst_sel:DWORD dst_unused:UNUSED_PAD src0_sel:BYTE_3 src1_sel:DWORD
; %bb.1865:                             ;   in Loop: Header=BB2_1769 Depth=4
	s_or_b64 exec, exec, s[40:41]
	v_and_b32_e32 v14, 0xff, v47
	v_cmp_ne_u16_e64 s[40:41], 0, v14
	s_and_b64 vcc, exec, s[28:29]
	s_mov_b64 s[48:49], -1
                                        ; implicit-def: $vgpr15
	s_cbranch_vccnz .LBB2_1879
; %bb.1866:                             ;   in Loop: Header=BB2_1769 Depth=4
	v_mov_b32_e32 v19, 0
	v_mov_b32_e32 v18, 0
	s_and_saveexec_b64 s[48:49], s[40:41]
	s_cbranch_execz .LBB2_1872
; %bb.1867:                             ;   in Loop: Header=BB2_1769 Depth=4
	v_cmp_ne_u16_e32 vcc, s59, v14
	v_bfrev_b32_e32 v18, 1
	s_and_saveexec_b64 s[50:51], vcc
	s_cbranch_execz .LBB2_1871
; %bb.1868:                             ;   in Loop: Header=BB2_1769 Depth=4
	v_and_b32_e32 v15, 0x7f, v47
	v_cmp_ne_u32_e32 vcc, s97, v15
	v_mov_b32_e32 v18, 0x7f800001
	s_and_saveexec_b64 s[52:53], vcc
	s_cbranch_execz .LBB2_1870
; %bb.1869:                             ;   in Loop: Header=BB2_1769 Depth=4
	v_and_b32_e32 v18, 7, v14
	v_ffbh_u32_e32 v3, v18
	v_lshrrev_b32_e32 v34, 3, v15
	v_cmp_gt_u32_e32 vcc, 8, v15
	v_min_u32_e32 v15, 32, v3
	v_subrev_u32_e32 v3, 28, v15
	v_lshlrev_b64 v[3:4], v3, v[14:15]
	v_sub_u32_e32 v4, 29, v15
	v_and_b32_e32 v3, 7, v3
	v_cndmask_b32_e32 v4, v34, v4, vcc
	v_cndmask_b32_e32 v3, v18, v3, vcc
	v_lshlrev_b32_e32 v15, 24, v47
	v_lshlrev_b32_e32 v3, 20, v3
	v_and_b32_e32 v15, 0x80000000, v15
	v_lshl_add_u32 v4, v4, 23, v48
	v_or3_b32 v18, v15, v4, v3
.LBB2_1870:                             ;   in Loop: Header=BB2_1769 Depth=4
	s_or_b64 exec, exec, s[52:53]
.LBB2_1871:                             ;   in Loop: Header=BB2_1769 Depth=4
	s_or_b64 exec, exec, s[50:51]
.LBB2_1872:                             ;   in Loop: Header=BB2_1769 Depth=4
	s_or_b64 exec, exec, s[48:49]
	v_and_b32_e32 v15, 0xff, v44
	v_cmp_ne_u16_e32 vcc, 0, v15
	s_and_saveexec_b64 s[48:49], vcc
	s_cbranch_execz .LBB2_1878
; %bb.1873:                             ;   in Loop: Header=BB2_1769 Depth=4
	v_cmp_ne_u16_e32 vcc, s59, v15
	v_bfrev_b32_e32 v19, 1
	s_and_saveexec_b64 s[50:51], vcc
	s_cbranch_execz .LBB2_1877
; %bb.1874:                             ;   in Loop: Header=BB2_1769 Depth=4
	v_and_b32_e32 v34, 0x7f, v44
	v_cmp_ne_u32_e32 vcc, s97, v34
	v_mov_b32_e32 v19, 0x7f800001
	s_and_saveexec_b64 s[52:53], vcc
	s_cbranch_execz .LBB2_1876
; %bb.1875:                             ;   in Loop: Header=BB2_1769 Depth=4
	v_and_b32_e32 v19, 7, v15
	v_ffbh_u32_e32 v3, v19
	v_lshrrev_b32_e32 v40, 3, v34
	v_cmp_gt_u32_e32 vcc, 8, v34
	v_min_u32_e32 v34, 32, v3
	v_subrev_u32_e32 v3, 28, v34
	v_lshlrev_b64 v[3:4], v3, v[15:16]
	v_sub_u32_e32 v4, 29, v34
	v_and_b32_e32 v3, 7, v3
	v_cndmask_b32_e32 v4, v40, v4, vcc
	v_cndmask_b32_e32 v3, v19, v3, vcc
	v_lshlrev_b32_e32 v15, 24, v44
	v_lshlrev_b32_e32 v3, 20, v3
	v_and_b32_e32 v15, 0x80000000, v15
	v_lshl_add_u32 v4, v4, 23, v48
	v_or3_b32 v19, v15, v4, v3
.LBB2_1876:                             ;   in Loop: Header=BB2_1769 Depth=4
	s_or_b64 exec, exec, s[52:53]
.LBB2_1877:                             ;   in Loop: Header=BB2_1769 Depth=4
	s_or_b64 exec, exec, s[50:51]
.LBB2_1878:                             ;   in Loop: Header=BB2_1769 Depth=4
	s_or_b64 exec, exec, s[48:49]
	v_max_f32_e32 v3, v19, v19
	v_max_f32_e32 v4, v18, v18
	;; [unrolled: 1-line block ×3, first 2 shown]
	s_mov_b64 s[48:49], 0
.LBB2_1879:                             ;   in Loop: Header=BB2_1769 Depth=4
	s_and_b64 vcc, exec, s[48:49]
	s_cbranch_vccz .LBB2_1893
; %bb.1880:                             ;   in Loop: Header=BB2_1769 Depth=4
	v_mov_b32_e32 v18, 0
	v_mov_b32_e32 v15, 0
	s_and_saveexec_b64 s[48:49], s[40:41]
	s_cbranch_execz .LBB2_1886
; %bb.1881:                             ;   in Loop: Header=BB2_1769 Depth=4
	v_cmp_ne_u16_e32 vcc, s59, v14
	v_bfrev_b32_e32 v15, 1
	s_and_saveexec_b64 s[40:41], vcc
	s_cbranch_execz .LBB2_1885
; %bb.1882:                             ;   in Loop: Header=BB2_1769 Depth=4
	v_and_b32_e32 v19, 0x7f, v47
	v_cmp_ne_u32_e32 vcc, s97, v19
	v_mov_b32_e32 v15, 0x7f800001
	s_and_saveexec_b64 s[50:51], vcc
	s_cbranch_execz .LBB2_1884
; %bb.1883:                             ;   in Loop: Header=BB2_1769 Depth=4
	v_and_b32_e32 v15, 7, v14
	v_ffbh_u32_e32 v3, v15
	v_lshrrev_b32_e32 v34, 3, v19
	v_cmp_gt_u32_e32 vcc, 8, v19
	v_min_u32_e32 v19, 32, v3
	v_subrev_u32_e32 v3, 28, v19
	v_lshlrev_b64 v[3:4], v3, v[14:15]
	v_sub_u32_e32 v4, 29, v19
	v_and_b32_e32 v3, 7, v3
	v_cndmask_b32_e32 v4, v34, v4, vcc
	v_cndmask_b32_e32 v3, v15, v3, vcc
	v_lshlrev_b32_e32 v14, 24, v47
	v_lshlrev_b32_e32 v3, 20, v3
	v_and_b32_e32 v14, 0x80000000, v14
	v_lshl_add_u32 v4, v4, 23, v48
	v_or3_b32 v15, v14, v4, v3
.LBB2_1884:                             ;   in Loop: Header=BB2_1769 Depth=4
	s_or_b64 exec, exec, s[50:51]
.LBB2_1885:                             ;   in Loop: Header=BB2_1769 Depth=4
	s_or_b64 exec, exec, s[40:41]
.LBB2_1886:                             ;   in Loop: Header=BB2_1769 Depth=4
	s_or_b64 exec, exec, s[48:49]
	v_and_b32_e32 v14, 0xff, v44
	v_cmp_ne_u16_e32 vcc, 0, v14
	s_and_saveexec_b64 s[40:41], vcc
	s_cbranch_execz .LBB2_1892
; %bb.1887:                             ;   in Loop: Header=BB2_1769 Depth=4
	v_cmp_ne_u16_e32 vcc, s59, v14
	v_bfrev_b32_e32 v18, 1
	s_and_saveexec_b64 s[48:49], vcc
	s_cbranch_execz .LBB2_1891
; %bb.1888:                             ;   in Loop: Header=BB2_1769 Depth=4
	v_and_b32_e32 v19, 0x7f, v44
	v_cmp_ne_u32_e32 vcc, s97, v19
	v_mov_b32_e32 v18, 0x7f800001
	s_and_saveexec_b64 s[50:51], vcc
	s_cbranch_execz .LBB2_1890
; %bb.1889:                             ;   in Loop: Header=BB2_1769 Depth=4
	v_and_b32_e32 v18, 7, v14
	v_ffbh_u32_e32 v3, v18
	v_lshrrev_b32_e32 v34, 3, v19
	v_cmp_gt_u32_e32 vcc, 8, v19
	v_min_u32_e32 v19, 32, v3
	v_subrev_u32_e32 v3, 28, v19
	v_lshlrev_b64 v[3:4], v3, v[14:15]
	v_sub_u32_e32 v4, 29, v19
	v_and_b32_e32 v3, 7, v3
	v_cndmask_b32_e32 v4, v34, v4, vcc
	v_cndmask_b32_e32 v3, v18, v3, vcc
	v_lshlrev_b32_e32 v14, 24, v44
	v_lshlrev_b32_e32 v3, 20, v3
	v_and_b32_e32 v14, 0x80000000, v14
	v_lshl_add_u32 v4, v4, 23, v48
	v_or3_b32 v18, v14, v4, v3
.LBB2_1890:                             ;   in Loop: Header=BB2_1769 Depth=4
	s_or_b64 exec, exec, s[50:51]
.LBB2_1891:                             ;   in Loop: Header=BB2_1769 Depth=4
	s_or_b64 exec, exec, s[48:49]
.LBB2_1892:                             ;   in Loop: Header=BB2_1769 Depth=4
	s_or_b64 exec, exec, s[40:41]
	v_max_f32_e32 v3, v18, v18
	v_max_f32_e32 v4, v15, v15
	v_min_f32_e32 v15, v4, v3
.LBB2_1893:                             ;   in Loop: Header=BB2_1769 Depth=4
	v_and_b32_e32 v34, 0x7f800000, v15
	v_cmp_ne_u64_e32 vcc, s[90:91], v[34:35]
                                        ; implicit-def: $vgpr44
	s_and_saveexec_b64 s[40:41], vcc
	s_xor_b64 s[48:49], exec, s[40:41]
	s_cbranch_execz .LBB2_1911
; %bb.1894:                             ;   in Loop: Header=BB2_1769 Depth=4
	v_and_b32_e32 v34, 0x7fffffff, v15
	v_cmp_gt_u64_e32 vcc, s[92:93], v[34:35]
	v_and_b32_sdwa v47, v15, s59 dst_sel:DWORD dst_unused:UNUSED_PAD src0_sel:BYTE_3 src1_sel:DWORD
                                        ; implicit-def: $vgpr44
	s_and_saveexec_b64 s[40:41], vcc
	s_xor_b64 s[50:51], exec, s[40:41]
	s_cbranch_execz .LBB2_1908
; %bb.1895:                             ;   in Loop: Header=BB2_1769 Depth=4
	v_cmp_ne_u32_e32 vcc, 0, v15
	v_mov_b32_e32 v44, 0
	s_and_saveexec_b64 s[52:53], vcc
	s_cbranch_execz .LBB2_1907
; %bb.1896:                             ;   in Loop: Header=BB2_1769 Depth=4
	v_bfe_u32 v40, v15, 23, 8
	v_cmp_gt_u32_e64 s[40:41], s56, v40
	v_sub_u32_e32 v4, 0x79, v40
	v_and_b32_e32 v3, 0x7fffff, v15
	v_cmp_eq_u32_e32 vcc, 0, v40
	v_cndmask_b32_e64 v4, 0, v4, s[40:41]
	v_mov_b32_e32 v15, 0x78
	v_or_b32_e32 v14, 0x800000, v3
	v_cndmask_b32_e32 v41, v4, v15, vcc
	v_cndmask_b32_e32 v34, v14, v3, vcc
	v_add_u32_e32 v3, 20, v41
	v_lshlrev_b64 v[3:4], v3, -1
	v_add_u32_e32 v14, 19, v41
	v_lshlrev_b64 v[14:15], v14, 1
	v_bfi_b32 v4, v4, 0, 0
	v_bfi_b32 v3, v3, 0, v34
	v_cmp_eq_u64_e64 s[40:41], v[3:4], v[14:15]
	v_lshrrev_b64 v[14:15], v41, v[34:35]
	v_mov_b32_e32 v19, v15
	v_mov_b32_e32 v18, v14
	s_and_saveexec_b64 s[54:55], s[40:41]
; %bb.1897:                             ;   in Loop: Header=BB2_1769 Depth=4
	v_bfe_u32 v3, v14, 20, 1
	v_add_co_u32_e64 v3, s[40:41], v14, v3
	v_add_co_u32_e64 v18, s[40:41], -1, v3
; %bb.1898:                             ;   in Loop: Header=BB2_1769 Depth=4
	s_or_b64 exec, exec, s[54:55]
	v_add_u32_e32 v3, 0xffffff81, v40
	v_cndmask_b32_e32 v3, v3, v52, vcc
	v_lshrrev_b32_e32 v4, 23, v14
	v_add3_u32 v40, v41, v3, v4
	v_add_u32_e32 v19, 6, v40
	v_and_b32_e32 v3, 0xfffff, v18
	v_add_u32_e32 v34, v3, v14
	v_cmp_ne_u32_e32 vcc, 0, v19
                                        ; implicit-def: $vgpr14_vgpr15
                                        ; implicit-def: $vgpr18
	s_and_saveexec_b64 s[40:41], vcc
	s_xor_b64 s[40:41], exec, s[40:41]
; %bb.1899:                             ;   in Loop: Header=BB2_1769 Depth=4
	v_cmp_lt_u64_e32 vcc, s[94:95], v[34:35]
	v_add_u32_e32 v3, 7, v40
	v_cndmask_b32_e32 v18, v19, v3, vcc
	v_cndmask_b32_e64 v3, 0, 1, vcc
	v_lshrrev_b64 v[14:15], v3, v[34:35]
; %bb.1900:                             ;   in Loop: Header=BB2_1769 Depth=4
	s_andn2_saveexec_b64 s[40:41], s[40:41]
; %bb.1901:                             ;   in Loop: Header=BB2_1769 Depth=4
	v_mov_b32_e32 v14, v34
	v_bfe_u32 v18, v34, 23, 1
	v_mov_b32_e32 v15, v35
; %bb.1902:                             ;   in Loop: Header=BB2_1769 Depth=4
	s_or_b64 exec, exec, s[40:41]
	v_lshrrev_b64 v[3:4], 20, v[14:15]
	v_cmp_gt_i32_e32 vcc, 16, v18
	v_cndmask_b32_e32 v15, 0, v4, vcc
	v_cndmask_b32_e32 v14, 7, v3, vcc
	v_cmp_ne_u64_e32 vcc, 0, v[14:15]
	v_cmp_ne_u32_e64 s[40:41], 0, v18
	s_or_b64 s[40:41], s[40:41], vcc
                                        ; implicit-def: $vgpr44
	s_and_saveexec_b64 vcc, s[40:41]
	s_xor_b64 s[40:41], exec, vcc
; %bb.1903:                             ;   in Loop: Header=BB2_1769 Depth=4
	v_min_i32_e32 v3, 15, v18
	v_lshl_or_b32 v3, v3, 3, v47
	v_and_or_b32 v44, v14, 7, v3
                                        ; implicit-def: $vgpr47
; %bb.1904:                             ;   in Loop: Header=BB2_1769 Depth=4
	s_andn2_saveexec_b64 s[40:41], s[40:41]
; %bb.1905:                             ;   in Loop: Header=BB2_1769 Depth=4
	v_mov_b32_e32 v44, v47
; %bb.1906:                             ;   in Loop: Header=BB2_1769 Depth=4
	s_or_b64 exec, exec, s[40:41]
.LBB2_1907:                             ;   in Loop: Header=BB2_1769 Depth=4
	s_or_b64 exec, exec, s[52:53]
                                        ; implicit-def: $vgpr47
.LBB2_1908:                             ;   in Loop: Header=BB2_1769 Depth=4
	s_andn2_saveexec_b64 s[40:41], s[50:51]
; %bb.1909:                             ;   in Loop: Header=BB2_1769 Depth=4
	v_or_b32_e32 v44, 0x7e, v47
; %bb.1910:                             ;   in Loop: Header=BB2_1769 Depth=4
	s_or_b64 exec, exec, s[40:41]
                                        ; implicit-def: $vgpr15
.LBB2_1911:                             ;   in Loop: Header=BB2_1769 Depth=4
	s_andn2_saveexec_b64 s[40:41], s[48:49]
; %bb.1912:                             ;   in Loop: Header=BB2_1769 Depth=4
	v_or_b32_sdwa v44, v15, s97 dst_sel:DWORD dst_unused:UNUSED_PAD src0_sel:BYTE_3 src1_sel:DWORD
; %bb.1913:                             ;   in Loop: Header=BB2_1769 Depth=4
	s_or_b64 exec, exec, s[40:41]
	v_and_b32_e32 v14, 0xff, v25
	v_cmp_ne_u16_e64 s[40:41], 0, v14
	s_and_b64 vcc, exec, s[28:29]
	s_mov_b64 s[48:49], -1
                                        ; implicit-def: $vgpr15
	s_cbranch_vccnz .LBB2_1927
; %bb.1914:                             ;   in Loop: Header=BB2_1769 Depth=4
	v_mov_b32_e32 v19, 0
	v_mov_b32_e32 v18, 0
	s_and_saveexec_b64 s[48:49], s[40:41]
	s_cbranch_execz .LBB2_1920
; %bb.1915:                             ;   in Loop: Header=BB2_1769 Depth=4
	v_cmp_ne_u16_e32 vcc, s59, v14
	v_bfrev_b32_e32 v18, 1
	s_and_saveexec_b64 s[50:51], vcc
	s_cbranch_execz .LBB2_1919
; %bb.1916:                             ;   in Loop: Header=BB2_1769 Depth=4
	v_and_b32_e32 v15, 0x7f, v25
	v_cmp_ne_u32_e32 vcc, s97, v15
	v_mov_b32_e32 v18, 0x7f800001
	s_and_saveexec_b64 s[52:53], vcc
	s_cbranch_execz .LBB2_1918
; %bb.1917:                             ;   in Loop: Header=BB2_1769 Depth=4
	v_and_b32_e32 v18, 7, v14
	v_ffbh_u32_e32 v3, v18
	v_lshrrev_b32_e32 v34, 3, v15
	v_cmp_gt_u32_e32 vcc, 8, v15
	v_min_u32_e32 v15, 32, v3
	v_subrev_u32_e32 v3, 28, v15
	v_lshlrev_b64 v[3:4], v3, v[14:15]
	v_sub_u32_e32 v4, 29, v15
	v_and_b32_e32 v3, 7, v3
	v_cndmask_b32_e32 v4, v34, v4, vcc
	v_cndmask_b32_e32 v3, v18, v3, vcc
	v_lshlrev_b32_e32 v15, 24, v25
	v_lshlrev_b32_e32 v3, 20, v3
	v_and_b32_e32 v15, 0x80000000, v15
	v_lshl_add_u32 v4, v4, 23, v48
	v_or3_b32 v18, v15, v4, v3
.LBB2_1918:                             ;   in Loop: Header=BB2_1769 Depth=4
	s_or_b64 exec, exec, s[52:53]
.LBB2_1919:                             ;   in Loop: Header=BB2_1769 Depth=4
	s_or_b64 exec, exec, s[50:51]
.LBB2_1920:                             ;   in Loop: Header=BB2_1769 Depth=4
	s_or_b64 exec, exec, s[48:49]
	v_and_b32_e32 v15, 0xff, v24
	v_cmp_ne_u16_e32 vcc, 0, v15
	s_and_saveexec_b64 s[48:49], vcc
	s_cbranch_execz .LBB2_1926
; %bb.1921:                             ;   in Loop: Header=BB2_1769 Depth=4
	v_cmp_ne_u16_e32 vcc, s59, v15
	v_bfrev_b32_e32 v19, 1
	s_and_saveexec_b64 s[50:51], vcc
	s_cbranch_execz .LBB2_1925
; %bb.1922:                             ;   in Loop: Header=BB2_1769 Depth=4
	v_and_b32_e32 v34, 0x7f, v24
	v_cmp_ne_u32_e32 vcc, s97, v34
	v_mov_b32_e32 v19, 0x7f800001
	s_and_saveexec_b64 s[52:53], vcc
	s_cbranch_execz .LBB2_1924
; %bb.1923:                             ;   in Loop: Header=BB2_1769 Depth=4
	v_and_b32_e32 v19, 7, v15
	v_ffbh_u32_e32 v3, v19
	v_lshrrev_b32_e32 v40, 3, v34
	v_cmp_gt_u32_e32 vcc, 8, v34
	v_min_u32_e32 v34, 32, v3
	v_subrev_u32_e32 v3, 28, v34
	v_lshlrev_b64 v[3:4], v3, v[15:16]
	v_sub_u32_e32 v4, 29, v34
	v_and_b32_e32 v3, 7, v3
	v_cndmask_b32_e32 v4, v40, v4, vcc
	v_cndmask_b32_e32 v3, v19, v3, vcc
	v_lshlrev_b32_e32 v15, 24, v24
	v_lshlrev_b32_e32 v3, 20, v3
	v_and_b32_e32 v15, 0x80000000, v15
	v_lshl_add_u32 v4, v4, 23, v48
	v_or3_b32 v19, v15, v4, v3
.LBB2_1924:                             ;   in Loop: Header=BB2_1769 Depth=4
	s_or_b64 exec, exec, s[52:53]
.LBB2_1925:                             ;   in Loop: Header=BB2_1769 Depth=4
	s_or_b64 exec, exec, s[50:51]
.LBB2_1926:                             ;   in Loop: Header=BB2_1769 Depth=4
	s_or_b64 exec, exec, s[48:49]
	v_max_f32_e32 v3, v19, v19
	v_max_f32_e32 v4, v18, v18
	;; [unrolled: 1-line block ×3, first 2 shown]
	s_mov_b64 s[48:49], 0
.LBB2_1927:                             ;   in Loop: Header=BB2_1769 Depth=4
	s_and_b64 vcc, exec, s[48:49]
	s_cbranch_vccz .LBB2_1941
; %bb.1928:                             ;   in Loop: Header=BB2_1769 Depth=4
	v_mov_b32_e32 v18, 0
	v_mov_b32_e32 v15, 0
	s_and_saveexec_b64 s[48:49], s[40:41]
	s_cbranch_execz .LBB2_1934
; %bb.1929:                             ;   in Loop: Header=BB2_1769 Depth=4
	v_cmp_ne_u16_e32 vcc, s59, v14
	v_bfrev_b32_e32 v15, 1
	s_and_saveexec_b64 s[40:41], vcc
	s_cbranch_execz .LBB2_1933
; %bb.1930:                             ;   in Loop: Header=BB2_1769 Depth=4
	v_and_b32_e32 v19, 0x7f, v25
	v_cmp_ne_u32_e32 vcc, s97, v19
	v_mov_b32_e32 v15, 0x7f800001
	s_and_saveexec_b64 s[50:51], vcc
	s_cbranch_execz .LBB2_1932
; %bb.1931:                             ;   in Loop: Header=BB2_1769 Depth=4
	v_and_b32_e32 v15, 7, v14
	v_ffbh_u32_e32 v3, v15
	v_lshrrev_b32_e32 v34, 3, v19
	v_cmp_gt_u32_e32 vcc, 8, v19
	v_min_u32_e32 v19, 32, v3
	v_subrev_u32_e32 v3, 28, v19
	v_lshlrev_b64 v[3:4], v3, v[14:15]
	v_sub_u32_e32 v4, 29, v19
	v_and_b32_e32 v3, 7, v3
	v_cndmask_b32_e32 v4, v34, v4, vcc
	v_cndmask_b32_e32 v3, v15, v3, vcc
	v_lshlrev_b32_e32 v14, 24, v25
	v_lshlrev_b32_e32 v3, 20, v3
	v_and_b32_e32 v14, 0x80000000, v14
	v_lshl_add_u32 v4, v4, 23, v48
	v_or3_b32 v15, v14, v4, v3
.LBB2_1932:                             ;   in Loop: Header=BB2_1769 Depth=4
	s_or_b64 exec, exec, s[50:51]
.LBB2_1933:                             ;   in Loop: Header=BB2_1769 Depth=4
	s_or_b64 exec, exec, s[40:41]
.LBB2_1934:                             ;   in Loop: Header=BB2_1769 Depth=4
	s_or_b64 exec, exec, s[48:49]
	v_and_b32_e32 v14, 0xff, v24
	v_cmp_ne_u16_e32 vcc, 0, v14
	s_and_saveexec_b64 s[40:41], vcc
	s_cbranch_execz .LBB2_1940
; %bb.1935:                             ;   in Loop: Header=BB2_1769 Depth=4
	v_cmp_ne_u16_e32 vcc, s59, v14
	v_bfrev_b32_e32 v18, 1
	s_and_saveexec_b64 s[48:49], vcc
	s_cbranch_execz .LBB2_1939
; %bb.1936:                             ;   in Loop: Header=BB2_1769 Depth=4
	v_and_b32_e32 v19, 0x7f, v24
	v_cmp_ne_u32_e32 vcc, s97, v19
	v_mov_b32_e32 v18, 0x7f800001
	s_and_saveexec_b64 s[50:51], vcc
	s_cbranch_execz .LBB2_1938
; %bb.1937:                             ;   in Loop: Header=BB2_1769 Depth=4
	v_and_b32_e32 v18, 7, v14
	v_ffbh_u32_e32 v3, v18
	v_lshrrev_b32_e32 v25, 3, v19
	v_cmp_gt_u32_e32 vcc, 8, v19
	v_min_u32_e32 v19, 32, v3
	v_subrev_u32_e32 v3, 28, v19
	v_lshlrev_b64 v[3:4], v3, v[14:15]
	v_sub_u32_e32 v4, 29, v19
	v_and_b32_e32 v3, 7, v3
	v_cndmask_b32_e32 v4, v25, v4, vcc
	v_cndmask_b32_e32 v3, v18, v3, vcc
	v_lshlrev_b32_e32 v14, 24, v24
	v_lshlrev_b32_e32 v3, 20, v3
	v_and_b32_e32 v14, 0x80000000, v14
	v_lshl_add_u32 v4, v4, 23, v48
	v_or3_b32 v18, v14, v4, v3
.LBB2_1938:                             ;   in Loop: Header=BB2_1769 Depth=4
	s_or_b64 exec, exec, s[50:51]
.LBB2_1939:                             ;   in Loop: Header=BB2_1769 Depth=4
	s_or_b64 exec, exec, s[48:49]
.LBB2_1940:                             ;   in Loop: Header=BB2_1769 Depth=4
	s_or_b64 exec, exec, s[40:41]
	v_max_f32_e32 v3, v18, v18
	v_max_f32_e32 v4, v15, v15
	v_min_f32_e32 v15, v4, v3
.LBB2_1941:                             ;   in Loop: Header=BB2_1769 Depth=4
	v_and_b32_e32 v34, 0x7f800000, v15
	v_cmp_ne_u64_e32 vcc, s[90:91], v[34:35]
                                        ; implicit-def: $vgpr47
	s_and_saveexec_b64 s[40:41], vcc
	s_xor_b64 s[48:49], exec, s[40:41]
	s_cbranch_execz .LBB2_1959
; %bb.1942:                             ;   in Loop: Header=BB2_1769 Depth=4
	v_and_b32_e32 v34, 0x7fffffff, v15
	v_cmp_gt_u64_e32 vcc, s[92:93], v[34:35]
	v_and_b32_sdwa v24, v15, s59 dst_sel:DWORD dst_unused:UNUSED_PAD src0_sel:BYTE_3 src1_sel:DWORD
                                        ; implicit-def: $vgpr47
	s_and_saveexec_b64 s[40:41], vcc
	s_xor_b64 s[50:51], exec, s[40:41]
	s_cbranch_execz .LBB2_1956
; %bb.1943:                             ;   in Loop: Header=BB2_1769 Depth=4
	v_cmp_ne_u32_e32 vcc, 0, v15
	v_mov_b32_e32 v47, 0
	s_and_saveexec_b64 s[52:53], vcc
	s_cbranch_execz .LBB2_1955
; %bb.1944:                             ;   in Loop: Header=BB2_1769 Depth=4
	v_bfe_u32 v25, v15, 23, 8
	v_cmp_gt_u32_e64 s[40:41], s56, v25
	v_sub_u32_e32 v4, 0x79, v25
	v_and_b32_e32 v3, 0x7fffff, v15
	v_cmp_eq_u32_e32 vcc, 0, v25
	v_cndmask_b32_e64 v4, 0, v4, s[40:41]
	v_mov_b32_e32 v15, 0x78
	v_or_b32_e32 v14, 0x800000, v3
	v_cndmask_b32_e32 v40, v4, v15, vcc
	v_cndmask_b32_e32 v34, v14, v3, vcc
	v_add_u32_e32 v3, 20, v40
	v_lshlrev_b64 v[3:4], v3, -1
	v_add_u32_e32 v14, 19, v40
	v_lshlrev_b64 v[14:15], v14, 1
	v_bfi_b32 v4, v4, 0, 0
	v_bfi_b32 v3, v3, 0, v34
	v_cmp_eq_u64_e64 s[40:41], v[3:4], v[14:15]
	v_lshrrev_b64 v[14:15], v40, v[34:35]
	v_mov_b32_e32 v19, v15
	v_mov_b32_e32 v18, v14
	s_and_saveexec_b64 s[54:55], s[40:41]
; %bb.1945:                             ;   in Loop: Header=BB2_1769 Depth=4
	v_bfe_u32 v3, v14, 20, 1
	v_add_co_u32_e64 v3, s[40:41], v14, v3
	v_add_co_u32_e64 v18, s[40:41], -1, v3
; %bb.1946:                             ;   in Loop: Header=BB2_1769 Depth=4
	s_or_b64 exec, exec, s[54:55]
	v_add_u32_e32 v3, 0xffffff81, v25
	v_cndmask_b32_e32 v3, v3, v52, vcc
	v_lshrrev_b32_e32 v4, 23, v14
	v_add3_u32 v25, v40, v3, v4
	v_add_u32_e32 v19, 6, v25
	v_and_b32_e32 v3, 0xfffff, v18
	v_add_u32_e32 v34, v3, v14
	v_cmp_ne_u32_e32 vcc, 0, v19
                                        ; implicit-def: $vgpr14_vgpr15
                                        ; implicit-def: $vgpr18
	s_and_saveexec_b64 s[40:41], vcc
	s_xor_b64 s[40:41], exec, s[40:41]
; %bb.1947:                             ;   in Loop: Header=BB2_1769 Depth=4
	v_cmp_lt_u64_e32 vcc, s[94:95], v[34:35]
	v_add_u32_e32 v3, 7, v25
	v_cndmask_b32_e32 v18, v19, v3, vcc
	v_cndmask_b32_e64 v3, 0, 1, vcc
	v_lshrrev_b64 v[14:15], v3, v[34:35]
; %bb.1948:                             ;   in Loop: Header=BB2_1769 Depth=4
	s_andn2_saveexec_b64 s[40:41], s[40:41]
; %bb.1949:                             ;   in Loop: Header=BB2_1769 Depth=4
	v_mov_b32_e32 v14, v34
	v_bfe_u32 v18, v34, 23, 1
	v_mov_b32_e32 v15, v35
; %bb.1950:                             ;   in Loop: Header=BB2_1769 Depth=4
	s_or_b64 exec, exec, s[40:41]
	v_lshrrev_b64 v[3:4], 20, v[14:15]
	v_cmp_gt_i32_e32 vcc, 16, v18
	v_cndmask_b32_e32 v15, 0, v4, vcc
	v_cndmask_b32_e32 v14, 7, v3, vcc
	v_cmp_ne_u64_e32 vcc, 0, v[14:15]
	v_cmp_ne_u32_e64 s[40:41], 0, v18
	s_or_b64 s[40:41], s[40:41], vcc
                                        ; implicit-def: $vgpr47
	s_and_saveexec_b64 vcc, s[40:41]
	s_xor_b64 s[40:41], exec, vcc
; %bb.1951:                             ;   in Loop: Header=BB2_1769 Depth=4
	v_min_i32_e32 v3, 15, v18
	v_lshl_or_b32 v3, v3, 3, v24
	v_and_or_b32 v47, v14, 7, v3
                                        ; implicit-def: $vgpr24
; %bb.1952:                             ;   in Loop: Header=BB2_1769 Depth=4
	s_andn2_saveexec_b64 s[40:41], s[40:41]
; %bb.1953:                             ;   in Loop: Header=BB2_1769 Depth=4
	v_mov_b32_e32 v47, v24
; %bb.1954:                             ;   in Loop: Header=BB2_1769 Depth=4
	s_or_b64 exec, exec, s[40:41]
.LBB2_1955:                             ;   in Loop: Header=BB2_1769 Depth=4
	s_or_b64 exec, exec, s[52:53]
                                        ; implicit-def: $vgpr24
.LBB2_1956:                             ;   in Loop: Header=BB2_1769 Depth=4
	s_andn2_saveexec_b64 s[40:41], s[50:51]
; %bb.1957:                             ;   in Loop: Header=BB2_1769 Depth=4
	v_or_b32_e32 v47, 0x7e, v24
; %bb.1958:                             ;   in Loop: Header=BB2_1769 Depth=4
	s_or_b64 exec, exec, s[40:41]
                                        ; implicit-def: $vgpr15
.LBB2_1959:                             ;   in Loop: Header=BB2_1769 Depth=4
	s_andn2_saveexec_b64 s[40:41], s[48:49]
; %bb.1960:                             ;   in Loop: Header=BB2_1769 Depth=4
	v_or_b32_sdwa v47, v15, s97 dst_sel:DWORD dst_unused:UNUSED_PAD src0_sel:BYTE_3 src1_sel:DWORD
; %bb.1961:                             ;   in Loop: Header=BB2_1769 Depth=4
	s_or_b64 exec, exec, s[40:41]
	v_and_b32_e32 v14, 0xff, v46
	v_cmp_ne_u16_e64 s[40:41], 0, v14
	s_and_b64 vcc, exec, s[28:29]
	s_mov_b64 s[48:49], -1
                                        ; implicit-def: $vgpr15
	s_cbranch_vccnz .LBB2_1975
; %bb.1962:                             ;   in Loop: Header=BB2_1769 Depth=4
	v_mov_b32_e32 v19, 0
	v_mov_b32_e32 v18, 0
	s_and_saveexec_b64 s[48:49], s[40:41]
	s_cbranch_execz .LBB2_1968
; %bb.1963:                             ;   in Loop: Header=BB2_1769 Depth=4
	v_cmp_ne_u16_e32 vcc, s59, v14
	v_bfrev_b32_e32 v18, 1
	s_and_saveexec_b64 s[50:51], vcc
	s_cbranch_execz .LBB2_1967
; %bb.1964:                             ;   in Loop: Header=BB2_1769 Depth=4
	v_and_b32_e32 v15, 0x7f, v46
	v_cmp_ne_u32_e32 vcc, s97, v15
	v_mov_b32_e32 v18, 0x7f800001
	s_and_saveexec_b64 s[52:53], vcc
	s_cbranch_execz .LBB2_1966
; %bb.1965:                             ;   in Loop: Header=BB2_1769 Depth=4
	v_and_b32_e32 v18, 7, v14
	v_ffbh_u32_e32 v3, v18
	v_lshrrev_b32_e32 v24, 3, v15
	v_cmp_gt_u32_e32 vcc, 8, v15
	v_min_u32_e32 v15, 32, v3
	v_subrev_u32_e32 v3, 28, v15
	v_lshlrev_b64 v[3:4], v3, v[14:15]
	v_sub_u32_e32 v4, 29, v15
	v_and_b32_e32 v3, 7, v3
	v_cndmask_b32_e32 v4, v24, v4, vcc
	v_cndmask_b32_e32 v3, v18, v3, vcc
	v_lshlrev_b32_e32 v15, 24, v46
	v_lshlrev_b32_e32 v3, 20, v3
	v_and_b32_e32 v15, 0x80000000, v15
	v_lshl_add_u32 v4, v4, 23, v48
	v_or3_b32 v18, v15, v4, v3
.LBB2_1966:                             ;   in Loop: Header=BB2_1769 Depth=4
	s_or_b64 exec, exec, s[52:53]
.LBB2_1967:                             ;   in Loop: Header=BB2_1769 Depth=4
	s_or_b64 exec, exec, s[50:51]
.LBB2_1968:                             ;   in Loop: Header=BB2_1769 Depth=4
	s_or_b64 exec, exec, s[48:49]
	v_and_b32_e32 v15, 0xff, v45
	v_cmp_ne_u16_e32 vcc, 0, v15
	s_and_saveexec_b64 s[48:49], vcc
	s_cbranch_execz .LBB2_1974
; %bb.1969:                             ;   in Loop: Header=BB2_1769 Depth=4
	v_cmp_ne_u16_e32 vcc, s59, v15
	v_bfrev_b32_e32 v19, 1
	s_and_saveexec_b64 s[50:51], vcc
	s_cbranch_execz .LBB2_1973
; %bb.1970:                             ;   in Loop: Header=BB2_1769 Depth=4
	v_and_b32_e32 v24, 0x7f, v45
	v_cmp_ne_u32_e32 vcc, s97, v24
	v_mov_b32_e32 v19, 0x7f800001
	s_and_saveexec_b64 s[52:53], vcc
	s_cbranch_execz .LBB2_1972
; %bb.1971:                             ;   in Loop: Header=BB2_1769 Depth=4
	v_and_b32_e32 v19, 7, v15
	v_ffbh_u32_e32 v3, v19
	v_lshrrev_b32_e32 v25, 3, v24
	v_cmp_gt_u32_e32 vcc, 8, v24
	v_min_u32_e32 v24, 32, v3
	v_subrev_u32_e32 v3, 28, v24
	v_lshlrev_b64 v[3:4], v3, v[15:16]
	v_sub_u32_e32 v4, 29, v24
	v_and_b32_e32 v3, 7, v3
	v_cndmask_b32_e32 v4, v25, v4, vcc
	v_cndmask_b32_e32 v3, v19, v3, vcc
	v_lshlrev_b32_e32 v15, 24, v45
	v_lshlrev_b32_e32 v3, 20, v3
	v_and_b32_e32 v15, 0x80000000, v15
	v_lshl_add_u32 v4, v4, 23, v48
	v_or3_b32 v19, v15, v4, v3
.LBB2_1972:                             ;   in Loop: Header=BB2_1769 Depth=4
	s_or_b64 exec, exec, s[52:53]
.LBB2_1973:                             ;   in Loop: Header=BB2_1769 Depth=4
	s_or_b64 exec, exec, s[50:51]
.LBB2_1974:                             ;   in Loop: Header=BB2_1769 Depth=4
	s_or_b64 exec, exec, s[48:49]
	v_max_f32_e32 v3, v19, v19
	v_max_f32_e32 v4, v18, v18
	;; [unrolled: 1-line block ×3, first 2 shown]
	s_mov_b64 s[48:49], 0
.LBB2_1975:                             ;   in Loop: Header=BB2_1769 Depth=4
	s_and_b64 vcc, exec, s[48:49]
	s_cbranch_vccz .LBB2_1989
; %bb.1976:                             ;   in Loop: Header=BB2_1769 Depth=4
	v_mov_b32_e32 v18, 0
	v_mov_b32_e32 v15, 0
	s_and_saveexec_b64 s[48:49], s[40:41]
	s_cbranch_execz .LBB2_1982
; %bb.1977:                             ;   in Loop: Header=BB2_1769 Depth=4
	v_cmp_ne_u16_e32 vcc, s59, v14
	v_bfrev_b32_e32 v15, 1
	s_and_saveexec_b64 s[40:41], vcc
	s_cbranch_execz .LBB2_1981
; %bb.1978:                             ;   in Loop: Header=BB2_1769 Depth=4
	v_and_b32_e32 v19, 0x7f, v46
	v_cmp_ne_u32_e32 vcc, s97, v19
	v_mov_b32_e32 v15, 0x7f800001
	s_and_saveexec_b64 s[50:51], vcc
	s_cbranch_execz .LBB2_1980
; %bb.1979:                             ;   in Loop: Header=BB2_1769 Depth=4
	v_and_b32_e32 v15, 7, v14
	v_ffbh_u32_e32 v3, v15
	v_lshrrev_b32_e32 v24, 3, v19
	v_cmp_gt_u32_e32 vcc, 8, v19
	v_min_u32_e32 v19, 32, v3
	v_subrev_u32_e32 v3, 28, v19
	v_lshlrev_b64 v[3:4], v3, v[14:15]
	v_sub_u32_e32 v4, 29, v19
	v_and_b32_e32 v3, 7, v3
	v_cndmask_b32_e32 v4, v24, v4, vcc
	v_cndmask_b32_e32 v3, v15, v3, vcc
	v_lshlrev_b32_e32 v14, 24, v46
	v_lshlrev_b32_e32 v3, 20, v3
	v_and_b32_e32 v14, 0x80000000, v14
	v_lshl_add_u32 v4, v4, 23, v48
	v_or3_b32 v15, v14, v4, v3
.LBB2_1980:                             ;   in Loop: Header=BB2_1769 Depth=4
	s_or_b64 exec, exec, s[50:51]
.LBB2_1981:                             ;   in Loop: Header=BB2_1769 Depth=4
	s_or_b64 exec, exec, s[40:41]
.LBB2_1982:                             ;   in Loop: Header=BB2_1769 Depth=4
	s_or_b64 exec, exec, s[48:49]
	v_and_b32_e32 v14, 0xff, v45
	v_cmp_ne_u16_e32 vcc, 0, v14
	s_and_saveexec_b64 s[40:41], vcc
	s_cbranch_execz .LBB2_1988
; %bb.1983:                             ;   in Loop: Header=BB2_1769 Depth=4
	v_cmp_ne_u16_e32 vcc, s59, v14
	v_bfrev_b32_e32 v18, 1
	s_and_saveexec_b64 s[48:49], vcc
	s_cbranch_execz .LBB2_1987
; %bb.1984:                             ;   in Loop: Header=BB2_1769 Depth=4
	v_and_b32_e32 v19, 0x7f, v45
	v_cmp_ne_u32_e32 vcc, s97, v19
	v_mov_b32_e32 v18, 0x7f800001
	s_and_saveexec_b64 s[50:51], vcc
	s_cbranch_execz .LBB2_1986
; %bb.1985:                             ;   in Loop: Header=BB2_1769 Depth=4
	v_and_b32_e32 v18, 7, v14
	v_ffbh_u32_e32 v3, v18
	v_lshrrev_b32_e32 v24, 3, v19
	v_cmp_gt_u32_e32 vcc, 8, v19
	v_min_u32_e32 v19, 32, v3
	v_subrev_u32_e32 v3, 28, v19
	v_lshlrev_b64 v[3:4], v3, v[14:15]
	v_sub_u32_e32 v4, 29, v19
	v_and_b32_e32 v3, 7, v3
	v_cndmask_b32_e32 v4, v24, v4, vcc
	v_cndmask_b32_e32 v3, v18, v3, vcc
	v_lshlrev_b32_e32 v14, 24, v45
	v_lshlrev_b32_e32 v3, 20, v3
	v_and_b32_e32 v14, 0x80000000, v14
	v_lshl_add_u32 v4, v4, 23, v48
	v_or3_b32 v18, v14, v4, v3
.LBB2_1986:                             ;   in Loop: Header=BB2_1769 Depth=4
	s_or_b64 exec, exec, s[50:51]
.LBB2_1987:                             ;   in Loop: Header=BB2_1769 Depth=4
	s_or_b64 exec, exec, s[48:49]
.LBB2_1988:                             ;   in Loop: Header=BB2_1769 Depth=4
	s_or_b64 exec, exec, s[40:41]
	v_max_f32_e32 v3, v18, v18
	v_max_f32_e32 v4, v15, v15
	v_min_f32_e32 v15, v4, v3
.LBB2_1989:                             ;   in Loop: Header=BB2_1769 Depth=4
	v_and_b32_e32 v34, 0x7f800000, v15
	v_cmp_ne_u64_e32 vcc, s[90:91], v[34:35]
                                        ; implicit-def: $vgpr24
	s_and_saveexec_b64 s[40:41], vcc
	s_xor_b64 s[48:49], exec, s[40:41]
	s_cbranch_execz .LBB2_2007
; %bb.1990:                             ;   in Loop: Header=BB2_1769 Depth=4
	v_and_b32_e32 v34, 0x7fffffff, v15
	v_cmp_gt_u64_e32 vcc, s[92:93], v[34:35]
	v_and_b32_sdwa v25, v15, s59 dst_sel:DWORD dst_unused:UNUSED_PAD src0_sel:BYTE_3 src1_sel:DWORD
                                        ; implicit-def: $vgpr24
	s_and_saveexec_b64 s[40:41], vcc
	s_xor_b64 s[50:51], exec, s[40:41]
	s_cbranch_execz .LBB2_2004
; %bb.1991:                             ;   in Loop: Header=BB2_1769 Depth=4
	v_cmp_ne_u32_e32 vcc, 0, v15
	v_mov_b32_e32 v24, 0
	s_and_saveexec_b64 s[52:53], vcc
	s_cbranch_execz .LBB2_2003
; %bb.1992:                             ;   in Loop: Header=BB2_1769 Depth=4
	v_bfe_u32 v24, v15, 23, 8
	v_cmp_gt_u32_e64 s[40:41], s56, v24
	v_sub_u32_e32 v4, 0x79, v24
	v_and_b32_e32 v3, 0x7fffff, v15
	v_cmp_eq_u32_e32 vcc, 0, v24
	v_cndmask_b32_e64 v4, 0, v4, s[40:41]
	v_mov_b32_e32 v15, 0x78
	v_or_b32_e32 v14, 0x800000, v3
	v_cndmask_b32_e32 v40, v4, v15, vcc
	v_cndmask_b32_e32 v34, v14, v3, vcc
	v_add_u32_e32 v3, 20, v40
	v_lshlrev_b64 v[3:4], v3, -1
	v_add_u32_e32 v14, 19, v40
	v_lshlrev_b64 v[14:15], v14, 1
	v_bfi_b32 v4, v4, 0, 0
	v_bfi_b32 v3, v3, 0, v34
	v_cmp_eq_u64_e64 s[40:41], v[3:4], v[14:15]
	v_lshrrev_b64 v[14:15], v40, v[34:35]
	v_mov_b32_e32 v19, v15
	v_mov_b32_e32 v18, v14
	s_and_saveexec_b64 s[54:55], s[40:41]
; %bb.1993:                             ;   in Loop: Header=BB2_1769 Depth=4
	v_bfe_u32 v3, v14, 20, 1
	v_add_co_u32_e64 v3, s[40:41], v14, v3
	v_add_co_u32_e64 v18, s[40:41], -1, v3
; %bb.1994:                             ;   in Loop: Header=BB2_1769 Depth=4
	s_or_b64 exec, exec, s[54:55]
	v_add_u32_e32 v3, 0xffffff81, v24
	v_cndmask_b32_e32 v3, v3, v52, vcc
	v_lshrrev_b32_e32 v4, 23, v14
	v_add3_u32 v24, v40, v3, v4
	v_add_u32_e32 v19, 6, v24
	v_and_b32_e32 v3, 0xfffff, v18
	v_add_u32_e32 v34, v3, v14
	v_cmp_ne_u32_e32 vcc, 0, v19
                                        ; implicit-def: $vgpr14_vgpr15
                                        ; implicit-def: $vgpr18
	s_and_saveexec_b64 s[40:41], vcc
	s_xor_b64 s[40:41], exec, s[40:41]
; %bb.1995:                             ;   in Loop: Header=BB2_1769 Depth=4
	v_cmp_lt_u64_e32 vcc, s[94:95], v[34:35]
	v_add_u32_e32 v3, 7, v24
	v_cndmask_b32_e32 v18, v19, v3, vcc
	v_cndmask_b32_e64 v3, 0, 1, vcc
	v_lshrrev_b64 v[14:15], v3, v[34:35]
; %bb.1996:                             ;   in Loop: Header=BB2_1769 Depth=4
	s_andn2_saveexec_b64 s[40:41], s[40:41]
; %bb.1997:                             ;   in Loop: Header=BB2_1769 Depth=4
	v_mov_b32_e32 v14, v34
	v_bfe_u32 v18, v34, 23, 1
	v_mov_b32_e32 v15, v35
; %bb.1998:                             ;   in Loop: Header=BB2_1769 Depth=4
	s_or_b64 exec, exec, s[40:41]
	v_lshrrev_b64 v[3:4], 20, v[14:15]
	v_cmp_gt_i32_e32 vcc, 16, v18
	v_cndmask_b32_e32 v15, 0, v4, vcc
	v_cndmask_b32_e32 v14, 7, v3, vcc
	v_cmp_ne_u64_e32 vcc, 0, v[14:15]
	v_cmp_ne_u32_e64 s[40:41], 0, v18
	s_or_b64 s[40:41], s[40:41], vcc
                                        ; implicit-def: $vgpr24
	s_and_saveexec_b64 vcc, s[40:41]
	s_xor_b64 s[40:41], exec, vcc
; %bb.1999:                             ;   in Loop: Header=BB2_1769 Depth=4
	v_min_i32_e32 v3, 15, v18
	v_lshl_or_b32 v3, v3, 3, v25
	v_and_or_b32 v24, v14, 7, v3
                                        ; implicit-def: $vgpr25
; %bb.2000:                             ;   in Loop: Header=BB2_1769 Depth=4
	s_andn2_saveexec_b64 s[40:41], s[40:41]
; %bb.2001:                             ;   in Loop: Header=BB2_1769 Depth=4
	v_mov_b32_e32 v24, v25
; %bb.2002:                             ;   in Loop: Header=BB2_1769 Depth=4
	s_or_b64 exec, exec, s[40:41]
.LBB2_2003:                             ;   in Loop: Header=BB2_1769 Depth=4
	s_or_b64 exec, exec, s[52:53]
                                        ; implicit-def: $vgpr25
.LBB2_2004:                             ;   in Loop: Header=BB2_1769 Depth=4
	s_andn2_saveexec_b64 s[40:41], s[50:51]
; %bb.2005:                             ;   in Loop: Header=BB2_1769 Depth=4
	v_or_b32_e32 v24, 0x7e, v25
; %bb.2006:                             ;   in Loop: Header=BB2_1769 Depth=4
	s_or_b64 exec, exec, s[40:41]
                                        ; implicit-def: $vgpr15
.LBB2_2007:                             ;   in Loop: Header=BB2_1769 Depth=4
	s_andn2_saveexec_b64 s[40:41], s[48:49]
; %bb.2008:                             ;   in Loop: Header=BB2_1769 Depth=4
	v_or_b32_sdwa v24, v15, s97 dst_sel:DWORD dst_unused:UNUSED_PAD src0_sel:BYTE_3 src1_sel:DWORD
; %bb.2009:                             ;   in Loop: Header=BB2_1769 Depth=4
	s_or_b64 exec, exec, s[40:41]
	v_and_b32_e32 v14, 0xff, v43
	v_cmp_ne_u16_e64 s[40:41], 0, v14
	s_and_b64 vcc, exec, s[28:29]
	s_mov_b64 s[48:49], -1
                                        ; implicit-def: $vgpr15
	s_cbranch_vccnz .LBB2_2023
; %bb.2010:                             ;   in Loop: Header=BB2_1769 Depth=4
	v_mov_b32_e32 v19, 0
	v_mov_b32_e32 v18, 0
	s_and_saveexec_b64 s[48:49], s[40:41]
	s_cbranch_execz .LBB2_2016
; %bb.2011:                             ;   in Loop: Header=BB2_1769 Depth=4
	v_cmp_ne_u16_e32 vcc, s59, v14
	v_bfrev_b32_e32 v18, 1
	s_and_saveexec_b64 s[50:51], vcc
	s_cbranch_execz .LBB2_2015
; %bb.2012:                             ;   in Loop: Header=BB2_1769 Depth=4
	v_and_b32_e32 v15, 0x7f, v43
	v_cmp_ne_u32_e32 vcc, s97, v15
	v_mov_b32_e32 v18, 0x7f800001
	s_and_saveexec_b64 s[52:53], vcc
	s_cbranch_execz .LBB2_2014
; %bb.2013:                             ;   in Loop: Header=BB2_1769 Depth=4
	v_and_b32_e32 v18, 7, v14
	v_ffbh_u32_e32 v3, v18
	v_lshrrev_b32_e32 v25, 3, v15
	v_cmp_gt_u32_e32 vcc, 8, v15
	v_min_u32_e32 v15, 32, v3
	v_subrev_u32_e32 v3, 28, v15
	v_lshlrev_b64 v[3:4], v3, v[14:15]
	v_sub_u32_e32 v4, 29, v15
	v_and_b32_e32 v3, 7, v3
	v_cndmask_b32_e32 v4, v25, v4, vcc
	v_cndmask_b32_e32 v3, v18, v3, vcc
	v_lshlrev_b32_e32 v15, 24, v43
	v_lshlrev_b32_e32 v3, 20, v3
	v_and_b32_e32 v15, 0x80000000, v15
	v_lshl_add_u32 v4, v4, 23, v48
	v_or3_b32 v18, v15, v4, v3
.LBB2_2014:                             ;   in Loop: Header=BB2_1769 Depth=4
	s_or_b64 exec, exec, s[52:53]
.LBB2_2015:                             ;   in Loop: Header=BB2_1769 Depth=4
	s_or_b64 exec, exec, s[50:51]
.LBB2_2016:                             ;   in Loop: Header=BB2_1769 Depth=4
	s_or_b64 exec, exec, s[48:49]
	v_and_b32_e32 v15, 0xff, v1
	v_cmp_ne_u16_e32 vcc, 0, v15
	s_and_saveexec_b64 s[48:49], vcc
	s_cbranch_execz .LBB2_2022
; %bb.2017:                             ;   in Loop: Header=BB2_1769 Depth=4
	v_cmp_ne_u16_e32 vcc, s59, v15
	v_bfrev_b32_e32 v19, 1
	s_and_saveexec_b64 s[50:51], vcc
	s_cbranch_execz .LBB2_2021
; %bb.2018:                             ;   in Loop: Header=BB2_1769 Depth=4
	v_and_b32_e32 v25, 0x7f, v1
	v_cmp_ne_u32_e32 vcc, s97, v25
	v_mov_b32_e32 v19, 0x7f800001
	s_and_saveexec_b64 s[52:53], vcc
	s_cbranch_execz .LBB2_2020
; %bb.2019:                             ;   in Loop: Header=BB2_1769 Depth=4
	v_and_b32_e32 v19, 7, v15
	v_ffbh_u32_e32 v3, v19
	v_lshrrev_b32_e32 v34, 3, v25
	v_cmp_gt_u32_e32 vcc, 8, v25
	v_min_u32_e32 v25, 32, v3
	v_subrev_u32_e32 v3, 28, v25
	v_lshlrev_b64 v[3:4], v3, v[15:16]
	v_sub_u32_e32 v4, 29, v25
	v_and_b32_e32 v3, 7, v3
	v_cndmask_b32_e32 v4, v34, v4, vcc
	v_cndmask_b32_e32 v3, v19, v3, vcc
	v_lshlrev_b32_e32 v15, 24, v1
	v_lshlrev_b32_e32 v3, 20, v3
	v_and_b32_e32 v15, 0x80000000, v15
	v_lshl_add_u32 v4, v4, 23, v48
	v_or3_b32 v19, v15, v4, v3
.LBB2_2020:                             ;   in Loop: Header=BB2_1769 Depth=4
	s_or_b64 exec, exec, s[52:53]
.LBB2_2021:                             ;   in Loop: Header=BB2_1769 Depth=4
	s_or_b64 exec, exec, s[50:51]
.LBB2_2022:                             ;   in Loop: Header=BB2_1769 Depth=4
	s_or_b64 exec, exec, s[48:49]
	v_max_f32_e32 v3, v19, v19
	v_max_f32_e32 v4, v18, v18
	;; [unrolled: 1-line block ×3, first 2 shown]
	s_mov_b64 s[48:49], 0
.LBB2_2023:                             ;   in Loop: Header=BB2_1769 Depth=4
	s_and_b64 vcc, exec, s[48:49]
	s_cbranch_vccz .LBB2_2037
; %bb.2024:                             ;   in Loop: Header=BB2_1769 Depth=4
	v_mov_b32_e32 v18, 0
	v_mov_b32_e32 v15, 0
	s_and_saveexec_b64 s[48:49], s[40:41]
	s_cbranch_execz .LBB2_2030
; %bb.2025:                             ;   in Loop: Header=BB2_1769 Depth=4
	v_cmp_ne_u16_e32 vcc, s59, v14
	v_bfrev_b32_e32 v15, 1
	s_and_saveexec_b64 s[40:41], vcc
	s_cbranch_execz .LBB2_2029
; %bb.2026:                             ;   in Loop: Header=BB2_1769 Depth=4
	v_and_b32_e32 v19, 0x7f, v43
	v_cmp_ne_u32_e32 vcc, s97, v19
	v_mov_b32_e32 v15, 0x7f800001
	s_and_saveexec_b64 s[50:51], vcc
	s_cbranch_execz .LBB2_2028
; %bb.2027:                             ;   in Loop: Header=BB2_1769 Depth=4
	v_and_b32_e32 v15, 7, v14
	v_ffbh_u32_e32 v3, v15
	v_lshrrev_b32_e32 v25, 3, v19
	v_cmp_gt_u32_e32 vcc, 8, v19
	v_min_u32_e32 v19, 32, v3
	v_subrev_u32_e32 v3, 28, v19
	v_lshlrev_b64 v[3:4], v3, v[14:15]
	v_sub_u32_e32 v4, 29, v19
	v_and_b32_e32 v3, 7, v3
	v_cndmask_b32_e32 v4, v25, v4, vcc
	v_cndmask_b32_e32 v3, v15, v3, vcc
	v_lshlrev_b32_e32 v14, 24, v43
	v_lshlrev_b32_e32 v3, 20, v3
	v_and_b32_e32 v14, 0x80000000, v14
	v_lshl_add_u32 v4, v4, 23, v48
	v_or3_b32 v15, v14, v4, v3
.LBB2_2028:                             ;   in Loop: Header=BB2_1769 Depth=4
	s_or_b64 exec, exec, s[50:51]
.LBB2_2029:                             ;   in Loop: Header=BB2_1769 Depth=4
	s_or_b64 exec, exec, s[40:41]
.LBB2_2030:                             ;   in Loop: Header=BB2_1769 Depth=4
	s_or_b64 exec, exec, s[48:49]
	v_and_b32_e32 v14, 0xff, v1
	v_cmp_ne_u16_e32 vcc, 0, v14
	s_and_saveexec_b64 s[40:41], vcc
	s_cbranch_execz .LBB2_2036
; %bb.2031:                             ;   in Loop: Header=BB2_1769 Depth=4
	v_cmp_ne_u16_e32 vcc, s59, v14
	v_bfrev_b32_e32 v18, 1
	s_and_saveexec_b64 s[48:49], vcc
	s_cbranch_execz .LBB2_2035
; %bb.2032:                             ;   in Loop: Header=BB2_1769 Depth=4
	v_and_b32_e32 v19, 0x7f, v1
	v_cmp_ne_u32_e32 vcc, s97, v19
	v_mov_b32_e32 v18, 0x7f800001
	s_and_saveexec_b64 s[50:51], vcc
	s_cbranch_execz .LBB2_2034
; %bb.2033:                             ;   in Loop: Header=BB2_1769 Depth=4
	v_and_b32_e32 v18, 7, v14
	v_ffbh_u32_e32 v3, v18
	v_lshrrev_b32_e32 v25, 3, v19
	v_cmp_gt_u32_e32 vcc, 8, v19
	v_min_u32_e32 v19, 32, v3
	v_subrev_u32_e32 v3, 28, v19
	v_lshlrev_b64 v[3:4], v3, v[14:15]
	v_sub_u32_e32 v4, 29, v19
	v_and_b32_e32 v3, 7, v3
	v_cndmask_b32_e32 v4, v25, v4, vcc
	v_cndmask_b32_e32 v3, v18, v3, vcc
	v_lshlrev_b32_e32 v1, 24, v1
	v_lshlrev_b32_e32 v3, 20, v3
	v_and_b32_e32 v1, 0x80000000, v1
	v_lshl_add_u32 v4, v4, 23, v48
	v_or3_b32 v18, v1, v4, v3
.LBB2_2034:                             ;   in Loop: Header=BB2_1769 Depth=4
	s_or_b64 exec, exec, s[50:51]
.LBB2_2035:                             ;   in Loop: Header=BB2_1769 Depth=4
	s_or_b64 exec, exec, s[48:49]
.LBB2_2036:                             ;   in Loop: Header=BB2_1769 Depth=4
	s_or_b64 exec, exec, s[40:41]
	v_max_f32_e32 v1, v18, v18
	v_max_f32_e32 v3, v15, v15
	v_min_f32_e32 v15, v3, v1
.LBB2_2037:                             ;   in Loop: Header=BB2_1769 Depth=4
	v_and_b32_e32 v34, 0x7f800000, v15
	v_cmp_ne_u64_e32 vcc, s[90:91], v[34:35]
                                        ; implicit-def: $vgpr1
	s_and_saveexec_b64 s[40:41], vcc
	s_xor_b64 s[48:49], exec, s[40:41]
	s_cbranch_execz .LBB2_2055
; %bb.2038:                             ;   in Loop: Header=BB2_1769 Depth=4
	v_and_b32_e32 v34, 0x7fffffff, v15
	v_cmp_gt_u64_e32 vcc, s[92:93], v[34:35]
	v_and_b32_sdwa v25, v15, s59 dst_sel:DWORD dst_unused:UNUSED_PAD src0_sel:BYTE_3 src1_sel:DWORD
                                        ; implicit-def: $vgpr1
	s_and_saveexec_b64 s[40:41], vcc
	s_xor_b64 s[50:51], exec, s[40:41]
	s_cbranch_execz .LBB2_2052
; %bb.2039:                             ;   in Loop: Header=BB2_1769 Depth=4
	v_cmp_ne_u32_e32 vcc, 0, v15
	v_mov_b32_e32 v1, 0
	s_and_saveexec_b64 s[52:53], vcc
	s_cbranch_execz .LBB2_2051
; %bb.2040:                             ;   in Loop: Header=BB2_1769 Depth=4
	v_bfe_u32 v1, v15, 23, 8
	v_cmp_gt_u32_e64 s[40:41], s56, v1
	v_sub_u32_e32 v4, 0x79, v1
	v_and_b32_e32 v3, 0x7fffff, v15
	v_cmp_eq_u32_e32 vcc, 0, v1
	v_cndmask_b32_e64 v4, 0, v4, s[40:41]
	v_mov_b32_e32 v15, 0x78
	v_or_b32_e32 v14, 0x800000, v3
	v_cndmask_b32_e32 v40, v4, v15, vcc
	v_cndmask_b32_e32 v34, v14, v3, vcc
	v_add_u32_e32 v3, 20, v40
	v_lshlrev_b64 v[3:4], v3, -1
	v_add_u32_e32 v14, 19, v40
	v_lshlrev_b64 v[14:15], v14, 1
	v_bfi_b32 v4, v4, 0, 0
	v_bfi_b32 v3, v3, 0, v34
	v_cmp_eq_u64_e64 s[40:41], v[3:4], v[14:15]
	v_lshrrev_b64 v[14:15], v40, v[34:35]
	v_mov_b32_e32 v19, v15
	v_mov_b32_e32 v18, v14
	s_and_saveexec_b64 s[54:55], s[40:41]
; %bb.2041:                             ;   in Loop: Header=BB2_1769 Depth=4
	v_bfe_u32 v3, v14, 20, 1
	v_add_co_u32_e64 v3, s[40:41], v14, v3
	v_add_co_u32_e64 v18, s[40:41], -1, v3
; %bb.2042:                             ;   in Loop: Header=BB2_1769 Depth=4
	s_or_b64 exec, exec, s[54:55]
	v_add_u32_e32 v1, 0xffffff81, v1
	v_cndmask_b32_e32 v1, v1, v52, vcc
	v_lshrrev_b32_e32 v3, 23, v14
	v_add3_u32 v19, v40, v1, v3
	v_add_u32_e32 v1, 6, v19
	v_and_b32_e32 v3, 0xfffff, v18
	v_add_u32_e32 v34, v3, v14
	v_cmp_ne_u32_e32 vcc, 0, v1
                                        ; implicit-def: $vgpr14_vgpr15
                                        ; implicit-def: $vgpr18
	s_and_saveexec_b64 s[40:41], vcc
	s_xor_b64 s[40:41], exec, s[40:41]
; %bb.2043:                             ;   in Loop: Header=BB2_1769 Depth=4
	v_cmp_lt_u64_e32 vcc, s[94:95], v[34:35]
	v_add_u32_e32 v3, 7, v19
	v_cndmask_b32_e32 v18, v1, v3, vcc
	v_cndmask_b32_e64 v1, 0, 1, vcc
	v_lshrrev_b64 v[14:15], v1, v[34:35]
; %bb.2044:                             ;   in Loop: Header=BB2_1769 Depth=4
	s_andn2_saveexec_b64 s[40:41], s[40:41]
; %bb.2045:                             ;   in Loop: Header=BB2_1769 Depth=4
	v_mov_b32_e32 v14, v34
	v_bfe_u32 v18, v34, 23, 1
	v_mov_b32_e32 v15, v35
; %bb.2046:                             ;   in Loop: Header=BB2_1769 Depth=4
	s_or_b64 exec, exec, s[40:41]
	v_lshrrev_b64 v[3:4], 20, v[14:15]
	v_cmp_gt_i32_e32 vcc, 16, v18
	v_cndmask_b32_e32 v15, 0, v4, vcc
	v_cndmask_b32_e32 v14, 7, v3, vcc
	v_cmp_ne_u64_e32 vcc, 0, v[14:15]
	v_cmp_ne_u32_e64 s[40:41], 0, v18
	s_or_b64 s[40:41], s[40:41], vcc
                                        ; implicit-def: $vgpr1
	s_and_saveexec_b64 vcc, s[40:41]
	s_xor_b64 s[40:41], exec, vcc
; %bb.2047:                             ;   in Loop: Header=BB2_1769 Depth=4
	v_min_i32_e32 v1, 15, v18
	v_lshl_or_b32 v1, v1, 3, v25
	v_and_or_b32 v1, v14, 7, v1
                                        ; implicit-def: $vgpr25
; %bb.2048:                             ;   in Loop: Header=BB2_1769 Depth=4
	s_andn2_saveexec_b64 s[40:41], s[40:41]
; %bb.2049:                             ;   in Loop: Header=BB2_1769 Depth=4
	v_mov_b32_e32 v1, v25
; %bb.2050:                             ;   in Loop: Header=BB2_1769 Depth=4
	s_or_b64 exec, exec, s[40:41]
.LBB2_2051:                             ;   in Loop: Header=BB2_1769 Depth=4
	s_or_b64 exec, exec, s[52:53]
                                        ; implicit-def: $vgpr25
.LBB2_2052:                             ;   in Loop: Header=BB2_1769 Depth=4
	s_andn2_saveexec_b64 s[40:41], s[50:51]
; %bb.2053:                             ;   in Loop: Header=BB2_1769 Depth=4
	v_or_b32_e32 v1, 0x7e, v25
; %bb.2054:                             ;   in Loop: Header=BB2_1769 Depth=4
	s_or_b64 exec, exec, s[40:41]
                                        ; implicit-def: $vgpr15
.LBB2_2055:                             ;   in Loop: Header=BB2_1769 Depth=4
	s_andn2_saveexec_b64 s[40:41], s[48:49]
; %bb.2056:                             ;   in Loop: Header=BB2_1769 Depth=4
	v_or_b32_sdwa v1, v15, s97 dst_sel:DWORD dst_unused:UNUSED_PAD src0_sel:BYTE_3 src1_sel:DWORD
; %bb.2057:                             ;   in Loop: Header=BB2_1769 Depth=4
	s_or_b64 exec, exec, s[40:41]
	v_and_b32_e32 v14, 0xff, v55
	v_cmp_ne_u16_e64 s[40:41], 0, v14
	s_and_b64 vcc, exec, s[28:29]
	s_mov_b64 s[48:49], -1
                                        ; implicit-def: $vgpr15
	s_cbranch_vccnz .LBB2_2071
; %bb.2058:                             ;   in Loop: Header=BB2_1769 Depth=4
	v_mov_b32_e32 v19, 0
	v_mov_b32_e32 v18, 0
	s_and_saveexec_b64 s[48:49], s[40:41]
	s_cbranch_execz .LBB2_2064
; %bb.2059:                             ;   in Loop: Header=BB2_1769 Depth=4
	v_cmp_ne_u16_e32 vcc, s59, v14
	v_bfrev_b32_e32 v18, 1
	s_and_saveexec_b64 s[50:51], vcc
	s_cbranch_execz .LBB2_2063
; %bb.2060:                             ;   in Loop: Header=BB2_1769 Depth=4
	v_and_b32_e32 v15, 0x7f, v55
	v_cmp_ne_u32_e32 vcc, s97, v15
	v_mov_b32_e32 v18, 0x7f800001
	s_and_saveexec_b64 s[52:53], vcc
	s_cbranch_execz .LBB2_2062
; %bb.2061:                             ;   in Loop: Header=BB2_1769 Depth=4
	v_and_b32_e32 v18, 7, v14
	v_ffbh_u32_e32 v3, v18
	v_lshrrev_b32_e32 v25, 3, v15
	v_cmp_gt_u32_e32 vcc, 8, v15
	v_min_u32_e32 v15, 32, v3
	v_subrev_u32_e32 v3, 28, v15
	v_lshlrev_b64 v[3:4], v3, v[14:15]
	v_sub_u32_e32 v4, 29, v15
	v_and_b32_e32 v3, 7, v3
	v_cndmask_b32_e32 v4, v25, v4, vcc
	v_cndmask_b32_e32 v3, v18, v3, vcc
	v_lshlrev_b32_e32 v15, 24, v55
	v_lshlrev_b32_e32 v3, 20, v3
	v_and_b32_e32 v15, 0x80000000, v15
	v_lshl_add_u32 v4, v4, 23, v48
	v_or3_b32 v18, v15, v4, v3
.LBB2_2062:                             ;   in Loop: Header=BB2_1769 Depth=4
	s_or_b64 exec, exec, s[52:53]
.LBB2_2063:                             ;   in Loop: Header=BB2_1769 Depth=4
	s_or_b64 exec, exec, s[50:51]
.LBB2_2064:                             ;   in Loop: Header=BB2_1769 Depth=4
	s_or_b64 exec, exec, s[48:49]
	v_and_b32_e32 v15, 0xff, v39
	v_cmp_ne_u16_e32 vcc, 0, v15
	s_and_saveexec_b64 s[48:49], vcc
	s_cbranch_execz .LBB2_2070
; %bb.2065:                             ;   in Loop: Header=BB2_1769 Depth=4
	v_cmp_ne_u16_e32 vcc, s59, v15
	v_bfrev_b32_e32 v19, 1
	s_and_saveexec_b64 s[50:51], vcc
	s_cbranch_execz .LBB2_2069
; %bb.2066:                             ;   in Loop: Header=BB2_1769 Depth=4
	v_and_b32_e32 v25, 0x7f, v39
	v_cmp_ne_u32_e32 vcc, s97, v25
	v_mov_b32_e32 v19, 0x7f800001
	s_and_saveexec_b64 s[52:53], vcc
	s_cbranch_execz .LBB2_2068
; %bb.2067:                             ;   in Loop: Header=BB2_1769 Depth=4
	v_and_b32_e32 v19, 7, v15
	v_ffbh_u32_e32 v3, v19
	v_lshrrev_b32_e32 v34, 3, v25
	v_cmp_gt_u32_e32 vcc, 8, v25
	v_min_u32_e32 v25, 32, v3
	v_subrev_u32_e32 v3, 28, v25
	v_lshlrev_b64 v[3:4], v3, v[15:16]
	v_sub_u32_e32 v4, 29, v25
	v_and_b32_e32 v3, 7, v3
	v_cndmask_b32_e32 v4, v34, v4, vcc
	v_cndmask_b32_e32 v3, v19, v3, vcc
	v_lshlrev_b32_e32 v15, 24, v39
	v_lshlrev_b32_e32 v3, 20, v3
	v_and_b32_e32 v15, 0x80000000, v15
	v_lshl_add_u32 v4, v4, 23, v48
	v_or3_b32 v19, v15, v4, v3
.LBB2_2068:                             ;   in Loop: Header=BB2_1769 Depth=4
	s_or_b64 exec, exec, s[52:53]
.LBB2_2069:                             ;   in Loop: Header=BB2_1769 Depth=4
	s_or_b64 exec, exec, s[50:51]
.LBB2_2070:                             ;   in Loop: Header=BB2_1769 Depth=4
	s_or_b64 exec, exec, s[48:49]
	v_max_f32_e32 v3, v19, v19
	v_max_f32_e32 v4, v18, v18
	;; [unrolled: 1-line block ×3, first 2 shown]
	s_mov_b64 s[48:49], 0
.LBB2_2071:                             ;   in Loop: Header=BB2_1769 Depth=4
	s_and_b64 vcc, exec, s[48:49]
	s_cbranch_vccz .LBB2_2085
; %bb.2072:                             ;   in Loop: Header=BB2_1769 Depth=4
	v_mov_b32_e32 v18, 0
	v_mov_b32_e32 v15, 0
	s_and_saveexec_b64 s[48:49], s[40:41]
	s_cbranch_execz .LBB2_2078
; %bb.2073:                             ;   in Loop: Header=BB2_1769 Depth=4
	v_cmp_ne_u16_e32 vcc, s59, v14
	v_bfrev_b32_e32 v15, 1
	s_and_saveexec_b64 s[40:41], vcc
	s_cbranch_execz .LBB2_2077
; %bb.2074:                             ;   in Loop: Header=BB2_1769 Depth=4
	v_and_b32_e32 v19, 0x7f, v55
	v_cmp_ne_u32_e32 vcc, s97, v19
	v_mov_b32_e32 v15, 0x7f800001
	s_and_saveexec_b64 s[50:51], vcc
	s_cbranch_execz .LBB2_2076
; %bb.2075:                             ;   in Loop: Header=BB2_1769 Depth=4
	v_and_b32_e32 v15, 7, v14
	v_ffbh_u32_e32 v3, v15
	v_lshrrev_b32_e32 v25, 3, v19
	v_cmp_gt_u32_e32 vcc, 8, v19
	v_min_u32_e32 v19, 32, v3
	v_subrev_u32_e32 v3, 28, v19
	v_lshlrev_b64 v[3:4], v3, v[14:15]
	v_sub_u32_e32 v4, 29, v19
	v_and_b32_e32 v3, 7, v3
	v_cndmask_b32_e32 v4, v25, v4, vcc
	v_cndmask_b32_e32 v3, v15, v3, vcc
	v_lshlrev_b32_e32 v14, 24, v55
	v_lshlrev_b32_e32 v3, 20, v3
	v_and_b32_e32 v14, 0x80000000, v14
	v_lshl_add_u32 v4, v4, 23, v48
	v_or3_b32 v15, v14, v4, v3
.LBB2_2076:                             ;   in Loop: Header=BB2_1769 Depth=4
	s_or_b64 exec, exec, s[50:51]
.LBB2_2077:                             ;   in Loop: Header=BB2_1769 Depth=4
	s_or_b64 exec, exec, s[40:41]
.LBB2_2078:                             ;   in Loop: Header=BB2_1769 Depth=4
	s_or_b64 exec, exec, s[48:49]
	v_and_b32_e32 v14, 0xff, v39
	v_cmp_ne_u16_e32 vcc, 0, v14
	s_and_saveexec_b64 s[40:41], vcc
	s_cbranch_execz .LBB2_2084
; %bb.2079:                             ;   in Loop: Header=BB2_1769 Depth=4
	v_cmp_ne_u16_e32 vcc, s59, v14
	v_bfrev_b32_e32 v18, 1
	s_and_saveexec_b64 s[48:49], vcc
	s_cbranch_execz .LBB2_2083
; %bb.2080:                             ;   in Loop: Header=BB2_1769 Depth=4
	v_and_b32_e32 v19, 0x7f, v39
	v_cmp_ne_u32_e32 vcc, s97, v19
	v_mov_b32_e32 v18, 0x7f800001
	s_and_saveexec_b64 s[50:51], vcc
	s_cbranch_execz .LBB2_2082
; %bb.2081:                             ;   in Loop: Header=BB2_1769 Depth=4
	v_and_b32_e32 v18, 7, v14
	v_ffbh_u32_e32 v3, v18
	v_lshrrev_b32_e32 v25, 3, v19
	v_cmp_gt_u32_e32 vcc, 8, v19
	v_min_u32_e32 v19, 32, v3
	v_subrev_u32_e32 v3, 28, v19
	v_lshlrev_b64 v[3:4], v3, v[14:15]
	v_sub_u32_e32 v4, 29, v19
	v_and_b32_e32 v3, 7, v3
	v_cndmask_b32_e32 v4, v25, v4, vcc
	v_cndmask_b32_e32 v3, v18, v3, vcc
	v_lshlrev_b32_e32 v14, 24, v39
	v_lshlrev_b32_e32 v3, 20, v3
	v_and_b32_e32 v14, 0x80000000, v14
	v_lshl_add_u32 v4, v4, 23, v48
	v_or3_b32 v18, v14, v4, v3
.LBB2_2082:                             ;   in Loop: Header=BB2_1769 Depth=4
	s_or_b64 exec, exec, s[50:51]
.LBB2_2083:                             ;   in Loop: Header=BB2_1769 Depth=4
	s_or_b64 exec, exec, s[48:49]
.LBB2_2084:                             ;   in Loop: Header=BB2_1769 Depth=4
	s_or_b64 exec, exec, s[40:41]
	v_max_f32_e32 v3, v18, v18
	v_max_f32_e32 v4, v15, v15
	v_min_f32_e32 v15, v4, v3
.LBB2_2085:                             ;   in Loop: Header=BB2_1769 Depth=4
	v_and_b32_e32 v34, 0x7f800000, v15
	v_cmp_ne_u64_e32 vcc, s[90:91], v[34:35]
                                        ; implicit-def: $vgpr25
	s_and_saveexec_b64 s[40:41], vcc
	s_xor_b64 s[48:49], exec, s[40:41]
	s_cbranch_execz .LBB2_2103
; %bb.2086:                             ;   in Loop: Header=BB2_1769 Depth=4
	v_and_b32_e32 v34, 0x7fffffff, v15
	v_cmp_gt_u64_e32 vcc, s[92:93], v[34:35]
	v_and_b32_sdwa v39, v15, s59 dst_sel:DWORD dst_unused:UNUSED_PAD src0_sel:BYTE_3 src1_sel:DWORD
                                        ; implicit-def: $vgpr25
	s_and_saveexec_b64 s[40:41], vcc
	s_xor_b64 s[50:51], exec, s[40:41]
	s_cbranch_execz .LBB2_2100
; %bb.2087:                             ;   in Loop: Header=BB2_1769 Depth=4
	v_cmp_ne_u32_e32 vcc, 0, v15
	v_mov_b32_e32 v25, 0
	s_and_saveexec_b64 s[52:53], vcc
	s_cbranch_execz .LBB2_2099
; %bb.2088:                             ;   in Loop: Header=BB2_1769 Depth=4
	v_bfe_u32 v25, v15, 23, 8
	v_cmp_gt_u32_e64 s[40:41], s56, v25
	v_sub_u32_e32 v4, 0x79, v25
	v_and_b32_e32 v3, 0x7fffff, v15
	v_cmp_eq_u32_e32 vcc, 0, v25
	v_cndmask_b32_e64 v4, 0, v4, s[40:41]
	v_mov_b32_e32 v15, 0x78
	v_or_b32_e32 v14, 0x800000, v3
	v_cndmask_b32_e32 v55, v4, v15, vcc
	v_cndmask_b32_e32 v34, v14, v3, vcc
	v_add_u32_e32 v3, 20, v55
	v_lshlrev_b64 v[3:4], v3, -1
	v_add_u32_e32 v14, 19, v55
	v_lshlrev_b64 v[14:15], v14, 1
	v_bfi_b32 v4, v4, 0, 0
	v_bfi_b32 v3, v3, 0, v34
	v_cmp_eq_u64_e64 s[40:41], v[3:4], v[14:15]
	v_lshrrev_b64 v[14:15], v55, v[34:35]
	v_mov_b32_e32 v19, v15
	v_mov_b32_e32 v18, v14
	s_and_saveexec_b64 s[54:55], s[40:41]
; %bb.2089:                             ;   in Loop: Header=BB2_1769 Depth=4
	v_bfe_u32 v3, v14, 20, 1
	v_add_co_u32_e64 v3, s[40:41], v14, v3
	v_add_co_u32_e64 v18, s[40:41], -1, v3
; %bb.2090:                             ;   in Loop: Header=BB2_1769 Depth=4
	s_or_b64 exec, exec, s[54:55]
	v_add_u32_e32 v3, 0xffffff81, v25
	v_cndmask_b32_e32 v3, v3, v52, vcc
	v_lshrrev_b32_e32 v4, 23, v14
	v_add3_u32 v25, v55, v3, v4
	v_add_u32_e32 v19, 6, v25
	v_and_b32_e32 v3, 0xfffff, v18
	v_add_u32_e32 v34, v3, v14
	v_cmp_ne_u32_e32 vcc, 0, v19
                                        ; implicit-def: $vgpr14_vgpr15
                                        ; implicit-def: $vgpr18
	s_and_saveexec_b64 s[40:41], vcc
	s_xor_b64 s[40:41], exec, s[40:41]
; %bb.2091:                             ;   in Loop: Header=BB2_1769 Depth=4
	v_cmp_lt_u64_e32 vcc, s[94:95], v[34:35]
	v_add_u32_e32 v3, 7, v25
	v_cndmask_b32_e32 v18, v19, v3, vcc
	v_cndmask_b32_e64 v3, 0, 1, vcc
	v_lshrrev_b64 v[14:15], v3, v[34:35]
; %bb.2092:                             ;   in Loop: Header=BB2_1769 Depth=4
	s_andn2_saveexec_b64 s[40:41], s[40:41]
; %bb.2093:                             ;   in Loop: Header=BB2_1769 Depth=4
	v_mov_b32_e32 v14, v34
	v_bfe_u32 v18, v34, 23, 1
	v_mov_b32_e32 v15, v35
; %bb.2094:                             ;   in Loop: Header=BB2_1769 Depth=4
	s_or_b64 exec, exec, s[40:41]
	v_lshrrev_b64 v[3:4], 20, v[14:15]
	v_cmp_gt_i32_e32 vcc, 16, v18
	v_cndmask_b32_e32 v15, 0, v4, vcc
	v_cndmask_b32_e32 v14, 7, v3, vcc
	v_cmp_ne_u64_e32 vcc, 0, v[14:15]
	v_cmp_ne_u32_e64 s[40:41], 0, v18
	s_or_b64 s[40:41], s[40:41], vcc
                                        ; implicit-def: $vgpr25
	s_and_saveexec_b64 vcc, s[40:41]
	s_xor_b64 s[40:41], exec, vcc
; %bb.2095:                             ;   in Loop: Header=BB2_1769 Depth=4
	v_min_i32_e32 v3, 15, v18
	v_lshl_or_b32 v3, v3, 3, v39
	v_and_or_b32 v25, v14, 7, v3
                                        ; implicit-def: $vgpr39
; %bb.2096:                             ;   in Loop: Header=BB2_1769 Depth=4
	s_andn2_saveexec_b64 s[40:41], s[40:41]
; %bb.2097:                             ;   in Loop: Header=BB2_1769 Depth=4
	v_mov_b32_e32 v25, v39
; %bb.2098:                             ;   in Loop: Header=BB2_1769 Depth=4
	s_or_b64 exec, exec, s[40:41]
.LBB2_2099:                             ;   in Loop: Header=BB2_1769 Depth=4
	s_or_b64 exec, exec, s[52:53]
                                        ; implicit-def: $vgpr39
.LBB2_2100:                             ;   in Loop: Header=BB2_1769 Depth=4
	s_andn2_saveexec_b64 s[40:41], s[50:51]
; %bb.2101:                             ;   in Loop: Header=BB2_1769 Depth=4
	v_or_b32_e32 v25, 0x7e, v39
; %bb.2102:                             ;   in Loop: Header=BB2_1769 Depth=4
	s_or_b64 exec, exec, s[40:41]
                                        ; implicit-def: $vgpr15
.LBB2_2103:                             ;   in Loop: Header=BB2_1769 Depth=4
	s_andn2_saveexec_b64 s[40:41], s[48:49]
; %bb.2104:                             ;   in Loop: Header=BB2_1769 Depth=4
	v_or_b32_sdwa v25, v15, s97 dst_sel:DWORD dst_unused:UNUSED_PAD src0_sel:BYTE_3 src1_sel:DWORD
; %bb.2105:                             ;   in Loop: Header=BB2_1769 Depth=4
	s_or_b64 exec, exec, s[40:41]
	v_and_b32_e32 v14, 0xff, v31
	v_cmp_ne_u16_e64 s[40:41], 0, v14
	s_and_b64 vcc, exec, s[28:29]
	s_mov_b64 s[28:29], -1
                                        ; implicit-def: $vgpr18
	s_cbranch_vccnz .LBB2_2119
; %bb.2106:                             ;   in Loop: Header=BB2_1769 Depth=4
	v_mov_b32_e32 v19, 0
	v_mov_b32_e32 v18, 0
	s_and_saveexec_b64 s[28:29], s[40:41]
	s_cbranch_execz .LBB2_2112
; %bb.2107:                             ;   in Loop: Header=BB2_1769 Depth=4
	v_cmp_ne_u16_e32 vcc, s59, v14
	v_bfrev_b32_e32 v18, 1
	s_and_saveexec_b64 s[48:49], vcc
	s_cbranch_execz .LBB2_2111
; %bb.2108:                             ;   in Loop: Header=BB2_1769 Depth=4
	v_and_b32_e32 v15, 0x7f, v31
	v_cmp_ne_u32_e32 vcc, s97, v15
	v_mov_b32_e32 v18, 0x7f800001
	s_and_saveexec_b64 s[50:51], vcc
	s_cbranch_execz .LBB2_2110
; %bb.2109:                             ;   in Loop: Header=BB2_1769 Depth=4
	v_and_b32_e32 v18, 7, v14
	v_ffbh_u32_e32 v3, v18
	v_lshrrev_b32_e32 v34, 3, v15
	v_cmp_gt_u32_e32 vcc, 8, v15
	v_min_u32_e32 v15, 32, v3
	v_subrev_u32_e32 v3, 28, v15
	v_lshlrev_b64 v[3:4], v3, v[14:15]
	v_sub_u32_e32 v4, 29, v15
	v_and_b32_e32 v3, 7, v3
	v_cndmask_b32_e32 v4, v34, v4, vcc
	v_cndmask_b32_e32 v3, v18, v3, vcc
	v_lshlrev_b32_e32 v15, 24, v31
	v_lshlrev_b32_e32 v3, 20, v3
	v_and_b32_e32 v15, 0x80000000, v15
	v_lshl_add_u32 v4, v4, 23, v48
	v_or3_b32 v18, v15, v4, v3
.LBB2_2110:                             ;   in Loop: Header=BB2_1769 Depth=4
	s_or_b64 exec, exec, s[50:51]
.LBB2_2111:                             ;   in Loop: Header=BB2_1769 Depth=4
	s_or_b64 exec, exec, s[48:49]
.LBB2_2112:                             ;   in Loop: Header=BB2_1769 Depth=4
	s_or_b64 exec, exec, s[28:29]
	v_and_b32_e32 v15, 0xff, v30
	v_cmp_ne_u16_e32 vcc, 0, v15
	s_and_saveexec_b64 s[28:29], vcc
	s_cbranch_execz .LBB2_2118
; %bb.2113:                             ;   in Loop: Header=BB2_1769 Depth=4
	v_cmp_ne_u16_e32 vcc, s59, v15
	v_bfrev_b32_e32 v19, 1
	s_and_saveexec_b64 s[48:49], vcc
	s_cbranch_execz .LBB2_2117
; %bb.2114:                             ;   in Loop: Header=BB2_1769 Depth=4
	v_and_b32_e32 v34, 0x7f, v30
	v_cmp_ne_u32_e32 vcc, s97, v34
	v_mov_b32_e32 v19, 0x7f800001
	s_and_saveexec_b64 s[50:51], vcc
	s_cbranch_execz .LBB2_2116
; %bb.2115:                             ;   in Loop: Header=BB2_1769 Depth=4
	v_and_b32_e32 v19, 7, v15
	v_ffbh_u32_e32 v3, v19
	v_lshrrev_b32_e32 v39, 3, v34
	v_cmp_gt_u32_e32 vcc, 8, v34
	v_min_u32_e32 v34, 32, v3
	v_subrev_u32_e32 v3, 28, v34
	v_lshlrev_b64 v[3:4], v3, v[15:16]
	v_sub_u32_e32 v4, 29, v34
	v_and_b32_e32 v3, 7, v3
	v_cndmask_b32_e32 v4, v39, v4, vcc
	v_cndmask_b32_e32 v3, v19, v3, vcc
	v_lshlrev_b32_e32 v15, 24, v30
	v_lshlrev_b32_e32 v3, 20, v3
	v_and_b32_e32 v15, 0x80000000, v15
	v_lshl_add_u32 v4, v4, 23, v48
	v_or3_b32 v19, v15, v4, v3
.LBB2_2116:                             ;   in Loop: Header=BB2_1769 Depth=4
	s_or_b64 exec, exec, s[50:51]
.LBB2_2117:                             ;   in Loop: Header=BB2_1769 Depth=4
	s_or_b64 exec, exec, s[48:49]
.LBB2_2118:                             ;   in Loop: Header=BB2_1769 Depth=4
	s_or_b64 exec, exec, s[28:29]
	v_max_f32_e32 v3, v19, v19
	v_max_f32_e32 v4, v18, v18
	v_max_f32_e32 v18, v4, v3
	s_mov_b64 s[28:29], 0
.LBB2_2119:                             ;   in Loop: Header=BB2_1769 Depth=4
	s_and_b64 vcc, exec, s[28:29]
	s_cbranch_vccz .LBB2_2133
; %bb.2120:                             ;   in Loop: Header=BB2_1769 Depth=4
	v_mov_b32_e32 v18, 0
	v_mov_b32_e32 v15, 0
	s_and_saveexec_b64 s[28:29], s[40:41]
	s_cbranch_execz .LBB2_2126
; %bb.2121:                             ;   in Loop: Header=BB2_1769 Depth=4
	v_cmp_ne_u16_e32 vcc, s59, v14
	v_bfrev_b32_e32 v15, 1
	s_and_saveexec_b64 s[40:41], vcc
	s_cbranch_execz .LBB2_2125
; %bb.2122:                             ;   in Loop: Header=BB2_1769 Depth=4
	v_and_b32_e32 v19, 0x7f, v31
	v_cmp_ne_u32_e32 vcc, s97, v19
	v_mov_b32_e32 v15, 0x7f800001
	s_and_saveexec_b64 s[48:49], vcc
	s_cbranch_execz .LBB2_2124
; %bb.2123:                             ;   in Loop: Header=BB2_1769 Depth=4
	v_and_b32_e32 v15, 7, v14
	v_ffbh_u32_e32 v3, v15
	v_lshrrev_b32_e32 v34, 3, v19
	v_cmp_gt_u32_e32 vcc, 8, v19
	v_min_u32_e32 v19, 32, v3
	v_subrev_u32_e32 v3, 28, v19
	v_lshlrev_b64 v[3:4], v3, v[14:15]
	v_sub_u32_e32 v4, 29, v19
	v_and_b32_e32 v3, 7, v3
	v_cndmask_b32_e32 v4, v34, v4, vcc
	v_cndmask_b32_e32 v3, v15, v3, vcc
	v_lshlrev_b32_e32 v14, 24, v31
	v_lshlrev_b32_e32 v3, 20, v3
	v_and_b32_e32 v14, 0x80000000, v14
	v_lshl_add_u32 v4, v4, 23, v48
	v_or3_b32 v15, v14, v4, v3
.LBB2_2124:                             ;   in Loop: Header=BB2_1769 Depth=4
	s_or_b64 exec, exec, s[48:49]
.LBB2_2125:                             ;   in Loop: Header=BB2_1769 Depth=4
	s_or_b64 exec, exec, s[40:41]
.LBB2_2126:                             ;   in Loop: Header=BB2_1769 Depth=4
	s_or_b64 exec, exec, s[28:29]
	v_and_b32_e32 v14, 0xff, v30
	v_cmp_ne_u16_e32 vcc, 0, v14
	s_and_saveexec_b64 s[28:29], vcc
	s_cbranch_execz .LBB2_2132
; %bb.2127:                             ;   in Loop: Header=BB2_1769 Depth=4
	v_cmp_ne_u16_e32 vcc, s59, v14
	v_bfrev_b32_e32 v18, 1
	s_and_saveexec_b64 s[40:41], vcc
	s_cbranch_execz .LBB2_2131
; %bb.2128:                             ;   in Loop: Header=BB2_1769 Depth=4
	v_and_b32_e32 v19, 0x7f, v30
	v_cmp_ne_u32_e32 vcc, s97, v19
	v_mov_b32_e32 v18, 0x7f800001
	s_and_saveexec_b64 s[48:49], vcc
	s_cbranch_execz .LBB2_2130
; %bb.2129:                             ;   in Loop: Header=BB2_1769 Depth=4
	v_and_b32_e32 v18, 7, v14
	v_ffbh_u32_e32 v3, v18
	v_lshrrev_b32_e32 v31, 3, v19
	v_cmp_gt_u32_e32 vcc, 8, v19
	v_min_u32_e32 v19, 32, v3
	v_subrev_u32_e32 v3, 28, v19
	v_lshlrev_b64 v[3:4], v3, v[14:15]
	v_sub_u32_e32 v4, 29, v19
	v_and_b32_e32 v3, 7, v3
	v_cndmask_b32_e32 v4, v31, v4, vcc
	v_cndmask_b32_e32 v3, v18, v3, vcc
	v_lshlrev_b32_e32 v14, 24, v30
	v_lshlrev_b32_e32 v3, 20, v3
	v_and_b32_e32 v14, 0x80000000, v14
	v_lshl_add_u32 v4, v4, 23, v48
	v_or3_b32 v18, v14, v4, v3
.LBB2_2130:                             ;   in Loop: Header=BB2_1769 Depth=4
	s_or_b64 exec, exec, s[48:49]
.LBB2_2131:                             ;   in Loop: Header=BB2_1769 Depth=4
	s_or_b64 exec, exec, s[40:41]
.LBB2_2132:                             ;   in Loop: Header=BB2_1769 Depth=4
	s_or_b64 exec, exec, s[28:29]
	v_max_f32_e32 v3, v18, v18
	v_max_f32_e32 v4, v15, v15
	v_min_f32_e32 v18, v4, v3
.LBB2_2133:                             ;   in Loop: Header=BB2_1769 Depth=4
	v_and_b32_e32 v34, 0x7f800000, v18
	v_cmp_ne_u64_e32 vcc, s[90:91], v[34:35]
                                        ; implicit-def: $vgpr15
	s_and_saveexec_b64 s[28:29], vcc
	s_xor_b64 s[40:41], exec, s[28:29]
	s_cbranch_execz .LBB2_2151
; %bb.2134:                             ;   in Loop: Header=BB2_1769 Depth=4
	v_and_b32_e32 v34, 0x7fffffff, v18
	v_cmp_gt_u64_e32 vcc, s[92:93], v[34:35]
	v_and_b32_sdwa v30, v18, s59 dst_sel:DWORD dst_unused:UNUSED_PAD src0_sel:BYTE_3 src1_sel:DWORD
                                        ; implicit-def: $vgpr15
	s_and_saveexec_b64 s[28:29], vcc
	s_xor_b64 s[48:49], exec, s[28:29]
	s_cbranch_execz .LBB2_2148
; %bb.2135:                             ;   in Loop: Header=BB2_1769 Depth=4
	v_cmp_ne_u32_e32 vcc, 0, v18
	v_mov_b32_e32 v15, 0
	s_and_saveexec_b64 s[50:51], vcc
	s_cbranch_execz .LBB2_2147
; %bb.2136:                             ;   in Loop: Header=BB2_1769 Depth=4
	v_bfe_u32 v31, v18, 23, 8
	v_cmp_gt_u32_e64 s[28:29], s56, v31
	v_sub_u32_e32 v4, 0x79, v31
	v_and_b32_e32 v3, 0x7fffff, v18
	v_cmp_eq_u32_e32 vcc, 0, v31
	v_cndmask_b32_e64 v4, 0, v4, s[28:29]
	v_mov_b32_e32 v15, 0x78
	v_or_b32_e32 v14, 0x800000, v3
	v_cndmask_b32_e32 v39, v4, v15, vcc
	v_cndmask_b32_e32 v34, v14, v3, vcc
	v_add_u32_e32 v3, 20, v39
	v_lshlrev_b64 v[3:4], v3, -1
	v_add_u32_e32 v14, 19, v39
	v_lshlrev_b64 v[14:15], v14, 1
	v_bfi_b32 v4, v4, 0, 0
	v_bfi_b32 v3, v3, 0, v34
	v_cmp_eq_u64_e64 s[28:29], v[3:4], v[14:15]
	v_lshrrev_b64 v[14:15], v39, v[34:35]
	v_mov_b32_e32 v19, v15
	v_mov_b32_e32 v18, v14
	s_and_saveexec_b64 s[52:53], s[28:29]
; %bb.2137:                             ;   in Loop: Header=BB2_1769 Depth=4
	v_bfe_u32 v3, v14, 20, 1
	v_add_co_u32_e64 v3, s[28:29], v14, v3
	v_add_co_u32_e64 v18, s[28:29], -1, v3
; %bb.2138:                             ;   in Loop: Header=BB2_1769 Depth=4
	s_or_b64 exec, exec, s[52:53]
	v_add_u32_e32 v3, 0xffffff81, v31
	v_cndmask_b32_e32 v3, v3, v52, vcc
	v_lshrrev_b32_e32 v4, 23, v14
	v_add3_u32 v31, v39, v3, v4
	v_add_u32_e32 v19, 6, v31
	v_and_b32_e32 v3, 0xfffff, v18
	v_add_u32_e32 v34, v3, v14
	v_cmp_ne_u32_e32 vcc, 0, v19
                                        ; implicit-def: $vgpr14_vgpr15
                                        ; implicit-def: $vgpr18
	s_and_saveexec_b64 s[28:29], vcc
	s_xor_b64 s[28:29], exec, s[28:29]
; %bb.2139:                             ;   in Loop: Header=BB2_1769 Depth=4
	v_cmp_lt_u64_e32 vcc, s[94:95], v[34:35]
	v_add_u32_e32 v3, 7, v31
	v_cndmask_b32_e32 v18, v19, v3, vcc
	v_cndmask_b32_e64 v3, 0, 1, vcc
	v_lshrrev_b64 v[14:15], v3, v[34:35]
; %bb.2140:                             ;   in Loop: Header=BB2_1769 Depth=4
	s_andn2_saveexec_b64 s[28:29], s[28:29]
; %bb.2141:                             ;   in Loop: Header=BB2_1769 Depth=4
	v_mov_b32_e32 v14, v34
	v_bfe_u32 v18, v34, 23, 1
	v_mov_b32_e32 v15, v35
; %bb.2142:                             ;   in Loop: Header=BB2_1769 Depth=4
	s_or_b64 exec, exec, s[28:29]
	v_lshrrev_b64 v[3:4], 20, v[14:15]
	v_cmp_gt_i32_e32 vcc, 16, v18
	v_cndmask_b32_e32 v15, 0, v4, vcc
	v_cndmask_b32_e32 v14, 7, v3, vcc
	v_cmp_ne_u64_e32 vcc, 0, v[14:15]
	v_cmp_ne_u32_e64 s[28:29], 0, v18
	s_or_b64 s[28:29], s[28:29], vcc
                                        ; implicit-def: $vgpr15
	s_and_saveexec_b64 vcc, s[28:29]
	s_xor_b64 s[28:29], exec, vcc
; %bb.2143:                             ;   in Loop: Header=BB2_1769 Depth=4
	v_min_i32_e32 v3, 15, v18
	v_lshl_or_b32 v3, v3, 3, v30
	v_and_or_b32 v15, v14, 7, v3
                                        ; implicit-def: $vgpr30
; %bb.2144:                             ;   in Loop: Header=BB2_1769 Depth=4
	s_andn2_saveexec_b64 s[28:29], s[28:29]
; %bb.2145:                             ;   in Loop: Header=BB2_1769 Depth=4
	v_mov_b32_e32 v15, v30
; %bb.2146:                             ;   in Loop: Header=BB2_1769 Depth=4
	s_or_b64 exec, exec, s[28:29]
.LBB2_2147:                             ;   in Loop: Header=BB2_1769 Depth=4
	s_or_b64 exec, exec, s[50:51]
                                        ; implicit-def: $vgpr30
.LBB2_2148:                             ;   in Loop: Header=BB2_1769 Depth=4
	s_andn2_saveexec_b64 s[28:29], s[48:49]
; %bb.2149:                             ;   in Loop: Header=BB2_1769 Depth=4
	v_or_b32_e32 v15, 0x7e, v30
; %bb.2150:                             ;   in Loop: Header=BB2_1769 Depth=4
	s_or_b64 exec, exec, s[28:29]
                                        ; implicit-def: $vgpr18
.LBB2_2151:                             ;   in Loop: Header=BB2_1769 Depth=4
	s_andn2_saveexec_b64 s[28:29], s[40:41]
	s_cbranch_execz .LBB2_1768
; %bb.2152:                             ;   in Loop: Header=BB2_1769 Depth=4
	v_or_b32_sdwa v15, v18, s97 dst_sel:DWORD dst_unused:UNUSED_PAD src0_sel:BYTE_3 src1_sel:DWORD
	s_branch .LBB2_1768
.LBB2_2153:                             ;   in Loop: Header=BB2_272 Depth=3
	s_or_b64 exec, exec, s[38:39]
.LBB2_2154:                             ;   in Loop: Header=BB2_272 Depth=3
	s_or_b64 exec, exec, s[42:43]
	v_lshlrev_b32_e32 v1, 9, v27
	v_cmp_ne_u32_e32 vcc, v7, v1
	s_and_b64 exec, exec, vcc
	s_cbranch_execz .LBB2_2206
; %bb.2155:                             ;   in Loop: Header=BB2_272 Depth=3
	v_lshlrev_b32_e32 v3, 6, v16
	v_sub_u32_e32 v3, v21, v3
	v_lshlrev_b32_e32 v4, 6, v26
	v_sub_u32_e32 v3, v3, v4
	v_add_u32_e32 v8, v1, v3
	v_sub_u32_e32 v1, v7, v8
	v_cmp_lt_i32_e32 vcc, 0, v1
	s_and_b64 exec, exec, vcc
	s_cbranch_execz .LBB2_2206
; %bb.2156:                             ;   in Loop: Header=BB2_272 Depth=3
	v_add_u32_e32 v6, v8, v6
	s_trap 2
	ds_read_b128 v[8:11], v0
	ds_read_b64 v[3:4], v0
	v_ashrrev_i32_e32 v7, 31, v6
	s_bitcmp1_b32 s70, 0
	s_mov_b64 s[46:47], 0
	s_waitcnt lgkmcnt(0)
	v_add_co_u32_e32 v8, vcc, v8, v6
	v_addc_co_u32_e32 v9, vcc, v9, v7, vcc
	v_add_co_u32_e32 v10, vcc, v10, v6
	v_addc_co_u32_e32 v11, vcc, v11, v7, vcc
	;; [unrolled: 2-line block ×3, first 2 shown]
	s_cselect_b64 s[38:39], -1, 0
	s_branch .LBB2_2158
.LBB2_2157:                             ;   in Loop: Header=BB2_2158 Depth=4
	s_or_b64 exec, exec, s[28:29]
	s_waitcnt vmcnt(0)
	v_add_co_u32_e32 v8, vcc, v8, v21
	v_addc_co_u32_e32 v9, vcc, 0, v9, vcc
	v_add_co_u32_e32 v10, vcc, v10, v21
	v_addc_co_u32_e32 v11, vcc, 0, v11, vcc
	v_sub_u32_e32 v1, v1, v21
	v_cmp_gt_i32_e32 vcc, 1, v1
	flat_store_byte v[12:13], v7 glc slc
	s_or_b64 s[46:47], vcc, s[46:47]
	v_add_co_u32_e32 v12, vcc, v12, v21
	v_addc_co_u32_e32 v13, vcc, 0, v13, vcc
	s_andn2_b64 exec, exec, s[46:47]
	s_cbranch_execz .LBB2_2206
.LBB2_2158:                             ;   Parent Loop BB2_47 Depth=1
                                        ;     Parent Loop BB2_269 Depth=2
                                        ;       Parent Loop BB2_272 Depth=3
                                        ; =>      This Inner Loop Header: Depth=4
	flat_load_ubyte v7, v[10:11] glc slc
	flat_load_ubyte v15, v[8:9] glc slc
	s_mov_b64 s[48:49], -1
	s_and_b64 vcc, exec, s[38:39]
                                        ; implicit-def: $vgpr14
	s_waitcnt vmcnt(0) lgkmcnt(0)
	v_cmp_ne_u16_e64 s[40:41], 0, v7
	v_cmp_ne_u16_e64 s[28:29], s59, v7
	v_and_b32_sdwa v6, sext(v7), s58 dst_sel:DWORD dst_unused:UNUSED_PAD src0_sel:BYTE_0 src1_sel:DWORD
	v_cmp_ne_u16_e64 s[42:43], 0, v15
	s_cbranch_vccz .LBB2_2172
; %bb.2159:                             ;   in Loop: Header=BB2_2158 Depth=4
	v_mov_b32_e32 v16, 0
	v_mov_b32_e32 v18, 0
	s_and_saveexec_b64 s[48:49], s[42:43]
	s_cbranch_execz .LBB2_2165
; %bb.2160:                             ;   in Loop: Header=BB2_2158 Depth=4
	v_cmp_ne_u16_e32 vcc, s59, v15
	v_bfrev_b32_e32 v18, 1
	s_and_saveexec_b64 s[50:51], vcc
	s_cbranch_execz .LBB2_2164
; %bb.2161:                             ;   in Loop: Header=BB2_2158 Depth=4
	v_and_b32_e32 v14, 0xffff, v15
	v_and_b32_e32 v19, 0x7f, v14
	v_cmp_ne_u32_e32 vcc, s97, v19
	v_mov_b32_e32 v18, 0x7f800001
	s_and_saveexec_b64 s[52:53], vcc
	s_cbranch_execz .LBB2_2163
; %bb.2162:                             ;   in Loop: Header=BB2_2158 Depth=4
	v_and_b32_e32 v18, 7, v14
	v_ffbh_u32_e32 v3, v18
	v_lshrrev_b32_e32 v21, 3, v19
	v_cmp_gt_u32_e32 vcc, 8, v19
	v_min_u32_e32 v19, 32, v3
	v_subrev_u32_e32 v3, 28, v19
	v_lshlrev_b64 v[3:4], v3, v[14:15]
	v_sub_u32_e32 v4, 29, v19
	v_and_b32_e32 v3, 7, v3
	v_cndmask_b32_e32 v4, v21, v4, vcc
	v_cndmask_b32_e32 v3, v18, v3, vcc
	v_lshlrev_b32_e32 v14, 24, v15
	v_lshlrev_b32_e32 v3, 20, v3
	v_and_b32_e32 v14, 0x80000000, v14
	v_lshl_add_u32 v4, v4, 23, v48
	v_or3_b32 v18, v14, v4, v3
.LBB2_2163:                             ;   in Loop: Header=BB2_2158 Depth=4
	s_or_b64 exec, exec, s[52:53]
.LBB2_2164:                             ;   in Loop: Header=BB2_2158 Depth=4
	s_or_b64 exec, exec, s[50:51]
.LBB2_2165:                             ;   in Loop: Header=BB2_2158 Depth=4
	s_or_b64 exec, exec, s[48:49]
	s_and_saveexec_b64 s[48:49], s[40:41]
	s_cbranch_execz .LBB2_2171
; %bb.2166:                             ;   in Loop: Header=BB2_2158 Depth=4
	v_bfrev_b32_e32 v16, 1
	s_and_saveexec_b64 s[50:51], s[28:29]
	s_cbranch_execz .LBB2_2170
; %bb.2167:                             ;   in Loop: Header=BB2_2158 Depth=4
	v_and_b32_e32 v14, 0xffff, v7
	v_and_b32_e32 v19, 0x7f, v14
	v_cmp_ne_u32_e32 vcc, s97, v19
	v_mov_b32_e32 v16, 0x7f800001
	s_and_saveexec_b64 s[52:53], vcc
	s_cbranch_execz .LBB2_2169
; %bb.2168:                             ;   in Loop: Header=BB2_2158 Depth=4
	v_and_b32_e32 v16, 7, v14
	v_ffbh_u32_e32 v3, v16
	v_lshrrev_b32_e32 v21, 3, v19
	v_cmp_gt_u32_e32 vcc, 8, v19
	v_min_u32_e32 v19, 32, v3
	v_subrev_u32_e32 v3, 28, v19
	v_lshlrev_b64 v[3:4], v3, v[14:15]
	v_sub_u32_e32 v4, 29, v19
	v_and_b32_e32 v3, 7, v3
	v_cndmask_b32_e32 v3, v16, v3, vcc
	v_cndmask_b32_e32 v4, v21, v4, vcc
	v_lshlrev_b32_e32 v3, 20, v3
	v_lshl_or_b32 v3, v4, 23, v3
	v_add_u32_e32 v3, 0x3c000000, v3
	v_or_b32_e32 v16, v3, v6
.LBB2_2169:                             ;   in Loop: Header=BB2_2158 Depth=4
	s_or_b64 exec, exec, s[52:53]
.LBB2_2170:                             ;   in Loop: Header=BB2_2158 Depth=4
	s_or_b64 exec, exec, s[50:51]
.LBB2_2171:                             ;   in Loop: Header=BB2_2158 Depth=4
	s_or_b64 exec, exec, s[48:49]
	v_max_f32_e32 v3, v16, v16
	v_max_f32_e32 v4, v18, v18
	;; [unrolled: 1-line block ×3, first 2 shown]
	s_mov_b64 s[48:49], 0
.LBB2_2172:                             ;   in Loop: Header=BB2_2158 Depth=4
	s_and_b64 vcc, exec, s[48:49]
	s_cbranch_vccz .LBB2_2186
; %bb.2173:                             ;   in Loop: Header=BB2_2158 Depth=4
	v_mov_b32_e32 v16, 0
	v_mov_b32_e32 v18, 0
	s_and_saveexec_b64 s[48:49], s[42:43]
	s_cbranch_execz .LBB2_2179
; %bb.2174:                             ;   in Loop: Header=BB2_2158 Depth=4
	v_cmp_ne_u16_e32 vcc, s59, v15
	v_bfrev_b32_e32 v18, 1
	s_and_saveexec_b64 s[42:43], vcc
	s_cbranch_execz .LBB2_2178
; %bb.2175:                             ;   in Loop: Header=BB2_2158 Depth=4
	v_and_b32_e32 v14, 0xffff, v15
	v_and_b32_e32 v19, 0x7f, v14
	v_cmp_ne_u32_e32 vcc, s97, v19
	v_mov_b32_e32 v18, 0x7f800001
	s_and_saveexec_b64 s[50:51], vcc
	s_cbranch_execz .LBB2_2177
; %bb.2176:                             ;   in Loop: Header=BB2_2158 Depth=4
	v_and_b32_e32 v18, 7, v14
	v_ffbh_u32_e32 v3, v18
	v_lshrrev_b32_e32 v21, 3, v19
	v_cmp_gt_u32_e32 vcc, 8, v19
	v_min_u32_e32 v19, 32, v3
	v_subrev_u32_e32 v3, 28, v19
	v_lshlrev_b64 v[3:4], v3, v[14:15]
	v_sub_u32_e32 v4, 29, v19
	v_and_b32_e32 v3, 7, v3
	v_cndmask_b32_e32 v4, v21, v4, vcc
	v_cndmask_b32_e32 v3, v18, v3, vcc
	v_lshlrev_b32_e32 v14, 24, v15
	v_lshlrev_b32_e32 v3, 20, v3
	v_and_b32_e32 v14, 0x80000000, v14
	v_lshl_add_u32 v4, v4, 23, v48
	v_or3_b32 v18, v14, v4, v3
.LBB2_2177:                             ;   in Loop: Header=BB2_2158 Depth=4
	s_or_b64 exec, exec, s[50:51]
.LBB2_2178:                             ;   in Loop: Header=BB2_2158 Depth=4
	s_or_b64 exec, exec, s[42:43]
.LBB2_2179:                             ;   in Loop: Header=BB2_2158 Depth=4
	s_or_b64 exec, exec, s[48:49]
	s_and_saveexec_b64 s[42:43], s[40:41]
	s_cbranch_execz .LBB2_2185
; %bb.2180:                             ;   in Loop: Header=BB2_2158 Depth=4
	v_bfrev_b32_e32 v16, 1
	s_and_saveexec_b64 s[40:41], s[28:29]
	s_cbranch_execz .LBB2_2184
; %bb.2181:                             ;   in Loop: Header=BB2_2158 Depth=4
	v_and_b32_e32 v14, 0xffff, v7
	v_and_b32_e32 v7, 0x7f, v14
	v_cmp_ne_u32_e32 vcc, s97, v7
	v_mov_b32_e32 v16, 0x7f800001
	s_and_saveexec_b64 s[28:29], vcc
	s_cbranch_execz .LBB2_2183
; %bb.2182:                             ;   in Loop: Header=BB2_2158 Depth=4
	v_and_b32_e32 v15, 7, v14
	v_ffbh_u32_e32 v3, v15
	v_lshrrev_b32_e32 v16, 3, v7
	v_cmp_gt_u32_e32 vcc, 8, v7
	v_min_u32_e32 v7, 32, v3
	v_subrev_u32_e32 v3, 28, v7
	v_lshlrev_b64 v[3:4], v3, v[14:15]
	v_sub_u32_e32 v4, 29, v7
	v_and_b32_e32 v3, 7, v3
	v_cndmask_b32_e32 v3, v15, v3, vcc
	v_cndmask_b32_e32 v4, v16, v4, vcc
	v_lshlrev_b32_e32 v3, 20, v3
	v_lshl_or_b32 v3, v4, 23, v3
	v_add_u32_e32 v3, 0x3c000000, v3
	v_or_b32_e32 v16, v3, v6
.LBB2_2183:                             ;   in Loop: Header=BB2_2158 Depth=4
	s_or_b64 exec, exec, s[28:29]
.LBB2_2184:                             ;   in Loop: Header=BB2_2158 Depth=4
	s_or_b64 exec, exec, s[40:41]
.LBB2_2185:                             ;   in Loop: Header=BB2_2158 Depth=4
	s_or_b64 exec, exec, s[42:43]
	v_max_f32_e32 v3, v16, v16
	v_max_f32_e32 v4, v18, v18
	v_min_f32_e32 v14, v4, v3
.LBB2_2186:                             ;   in Loop: Header=BB2_2158 Depth=4
	v_and_b32_e32 v34, 0x7f800000, v14
	v_cmp_ne_u64_e32 vcc, s[90:91], v[34:35]
                                        ; implicit-def: $vgpr7
	s_mov_b64 s[28:29], exec
	buffer_load_dword v21, off, s[0:3], s33 offset:56 ; 4-byte Folded Reload
	s_and_b64 s[42:43], s[28:29], vcc
	s_xor_b64 s[40:41], s[42:43], s[28:29]
	s_mov_b64 exec, s[42:43]
	s_cbranch_execz .LBB2_2204
; %bb.2187:                             ;   in Loop: Header=BB2_2158 Depth=4
	v_and_b32_e32 v34, 0x7fffffff, v14
	v_cmp_gt_u64_e32 vcc, s[92:93], v[34:35]
	v_and_b32_sdwa v6, v14, s59 dst_sel:DWORD dst_unused:UNUSED_PAD src0_sel:BYTE_3 src1_sel:DWORD
                                        ; implicit-def: $vgpr7
	s_and_saveexec_b64 s[28:29], vcc
	s_xor_b64 s[42:43], exec, s[28:29]
	s_cbranch_execz .LBB2_2201
; %bb.2188:                             ;   in Loop: Header=BB2_2158 Depth=4
	v_cmp_ne_u32_e32 vcc, 0, v14
	v_mov_b32_e32 v7, 0
	s_and_saveexec_b64 s[48:49], vcc
	s_cbranch_execz .LBB2_2200
; %bb.2189:                             ;   in Loop: Header=BB2_2158 Depth=4
	v_bfe_u32 v7, v14, 23, 8
	v_cmp_gt_u32_e64 s[28:29], s56, v7
	v_sub_u32_e32 v4, 0x79, v7
	v_and_b32_e32 v3, 0x7fffff, v14
	v_cmp_eq_u32_e32 vcc, 0, v7
	v_cndmask_b32_e64 v4, 0, v4, s[28:29]
	v_mov_b32_e32 v15, 0x78
	v_or_b32_e32 v14, 0x800000, v3
	v_cndmask_b32_e32 v16, v4, v15, vcc
	v_cndmask_b32_e32 v34, v14, v3, vcc
	v_add_u32_e32 v3, 20, v16
	v_lshlrev_b64 v[3:4], v3, -1
	v_add_u32_e32 v14, 19, v16
	v_lshlrev_b64 v[14:15], v14, 1
	v_bfi_b32 v4, v4, 0, 0
	v_bfi_b32 v3, v3, 0, v34
	v_cmp_eq_u64_e64 s[28:29], v[3:4], v[14:15]
	v_lshrrev_b64 v[14:15], v16, v[34:35]
	v_mov_b32_e32 v19, v15
	v_mov_b32_e32 v18, v14
	s_and_saveexec_b64 s[50:51], s[28:29]
; %bb.2190:                             ;   in Loop: Header=BB2_2158 Depth=4
	v_bfe_u32 v3, v14, 20, 1
	v_add_co_u32_e64 v3, s[28:29], v14, v3
	v_add_co_u32_e64 v18, s[28:29], -1, v3
; %bb.2191:                             ;   in Loop: Header=BB2_2158 Depth=4
	s_or_b64 exec, exec, s[50:51]
	v_add_u32_e32 v3, 0xffffff81, v7
	v_cndmask_b32_e32 v3, v3, v52, vcc
	v_lshrrev_b32_e32 v4, 23, v14
	v_add3_u32 v19, v16, v3, v4
	v_add_u32_e32 v7, 6, v19
	v_and_b32_e32 v3, 0xfffff, v18
	v_add_u32_e32 v34, v3, v14
	v_cmp_ne_u32_e32 vcc, 0, v7
                                        ; implicit-def: $vgpr14_vgpr15
                                        ; implicit-def: $vgpr16
	s_and_saveexec_b64 s[28:29], vcc
	s_xor_b64 s[28:29], exec, s[28:29]
; %bb.2192:                             ;   in Loop: Header=BB2_2158 Depth=4
	v_cmp_lt_u64_e32 vcc, s[94:95], v[34:35]
	v_add_u32_e32 v3, 7, v19
	v_cndmask_b32_e32 v16, v7, v3, vcc
	v_cndmask_b32_e64 v3, 0, 1, vcc
	v_lshrrev_b64 v[14:15], v3, v[34:35]
; %bb.2193:                             ;   in Loop: Header=BB2_2158 Depth=4
	s_andn2_saveexec_b64 s[28:29], s[28:29]
; %bb.2194:                             ;   in Loop: Header=BB2_2158 Depth=4
	v_mov_b32_e32 v14, v34
	v_bfe_u32 v16, v34, 23, 1
	v_mov_b32_e32 v15, v35
; %bb.2195:                             ;   in Loop: Header=BB2_2158 Depth=4
	s_or_b64 exec, exec, s[28:29]
	v_lshrrev_b64 v[3:4], 20, v[14:15]
	v_cmp_gt_i32_e32 vcc, 16, v16
	v_cndmask_b32_e32 v15, 0, v4, vcc
	v_cndmask_b32_e32 v14, 7, v3, vcc
	v_cmp_ne_u64_e32 vcc, 0, v[14:15]
	v_cmp_ne_u32_e64 s[28:29], 0, v16
	s_or_b64 s[28:29], s[28:29], vcc
                                        ; implicit-def: $vgpr7
	s_and_saveexec_b64 vcc, s[28:29]
	s_xor_b64 s[28:29], exec, vcc
; %bb.2196:                             ;   in Loop: Header=BB2_2158 Depth=4
	v_min_i32_e32 v3, 15, v16
	v_lshl_or_b32 v3, v3, 3, v6
	v_and_or_b32 v7, v14, 7, v3
                                        ; implicit-def: $vgpr6
; %bb.2197:                             ;   in Loop: Header=BB2_2158 Depth=4
	s_andn2_saveexec_b64 s[28:29], s[28:29]
; %bb.2198:                             ;   in Loop: Header=BB2_2158 Depth=4
	v_mov_b32_e32 v7, v6
; %bb.2199:                             ;   in Loop: Header=BB2_2158 Depth=4
	s_or_b64 exec, exec, s[28:29]
.LBB2_2200:                             ;   in Loop: Header=BB2_2158 Depth=4
	s_or_b64 exec, exec, s[48:49]
                                        ; implicit-def: $vgpr6
.LBB2_2201:                             ;   in Loop: Header=BB2_2158 Depth=4
	s_andn2_saveexec_b64 s[28:29], s[42:43]
; %bb.2202:                             ;   in Loop: Header=BB2_2158 Depth=4
	v_or_b32_e32 v7, 0x7e, v6
; %bb.2203:                             ;   in Loop: Header=BB2_2158 Depth=4
	s_or_b64 exec, exec, s[28:29]
                                        ; implicit-def: $vgpr14
.LBB2_2204:                             ;   in Loop: Header=BB2_2158 Depth=4
	s_andn2_saveexec_b64 s[28:29], s[40:41]
	s_cbranch_execz .LBB2_2157
; %bb.2205:                             ;   in Loop: Header=BB2_2158 Depth=4
	v_or_b32_sdwa v7, v14, s97 dst_sel:DWORD dst_unused:UNUSED_PAD src0_sel:BYTE_3 src1_sel:DWORD
	s_branch .LBB2_2157
.LBB2_2206:                             ;   in Loop: Header=BB2_272 Depth=3
	s_or_b64 exec, exec, s[44:45]
	buffer_load_dword v26, off, s[0:3], s33 offset:56 ; 4-byte Folded Reload
	v_cmp_lt_i32_e64 s[28:29], 0, v38
	s_and_saveexec_b64 s[40:41], s[12:13]
	s_cbranch_execz .LBB2_2225
.LBB2_2207:                             ;   in Loop: Header=BB2_272 Depth=3
	s_and_saveexec_b64 s[42:43], s[72:73]
	s_xor_b64 s[42:43], exec, s[42:43]
	s_cbranch_execz .LBB2_2222
; %bb.2208:                             ;   in Loop: Header=BB2_272 Depth=3
	s_and_saveexec_b64 s[44:45], s[6:7]
	s_cbranch_execz .LBB2_2221
; %bb.2209:                             ;   in Loop: Header=BB2_272 Depth=3
	s_mov_b64 s[38:39], exec
	v_mbcnt_lo_u32_b32 v1, s38, 0
	v_mbcnt_hi_u32_b32 v1, s39, v1
	v_cmp_eq_u32_e32 vcc, 0, v1
	s_waitcnt vmcnt(0) lgkmcnt(0)
	buffer_wbinvl1_vol
	s_and_saveexec_b64 s[46:47], vcc
	s_cbranch_execz .LBB2_2211
; %bb.2210:                             ;   in Loop: Header=BB2_272 Depth=3
	s_bcnt1_i32_b64 vcc_lo, s[38:39]
	v_mov_b32_e32 v34, vcc_lo
	ds_add_u64 v0, v[34:35]
	s_trap 2
.LBB2_2211:                             ;   in Loop: Header=BB2_272 Depth=3
	s_or_b64 exec, exec, s[46:47]
	s_trap 2
	ds_read_b64 v[3:4], v0
	s_waitcnt lgkmcnt(0)
	v_add_co_u32_e32 v32, vcc, v32, v17
	v_addc_co_u32_e32 v33, vcc, 0, v33, vcc
	v_cmp_lt_u64_e32 vcc, v[3:4], v[32:33]
	s_and_saveexec_b64 s[46:47], vcc
	s_cbranch_execz .LBB2_2220
; %bb.2212:                             ;   in Loop: Header=BB2_272 Depth=3
	s_mov_b32 s64, 0
	s_mov_b64 s[38:39], 0
                                        ; implicit-def: $sgpr48_sgpr49
                                        ; implicit-def: $sgpr50_sgpr51
	s_branch .LBB2_2214
.LBB2_2213:                             ;   in Loop: Header=BB2_2214 Depth=4
	s_or_b64 exec, exec, s[54:55]
	s_and_b64 vcc, exec, vcc
	s_or_b64 s[38:39], vcc, s[38:39]
	s_andn2_b64 vcc, s[48:49], exec
	s_and_b64 s[48:49], s[50:51], exec
	s_or_b64 s[48:49], vcc, s[48:49]
	s_andn2_b64 exec, exec, s[38:39]
	s_cbranch_execz .LBB2_2218
.LBB2_2214:                             ;   Parent Loop BB2_47 Depth=1
                                        ;     Parent Loop BB2_269 Depth=2
                                        ;       Parent Loop BB2_272 Depth=3
                                        ; =>      This Inner Loop Header: Depth=4
	s_add_i32 s64, s64, 1
	s_cmpk_lg_i32 s64, 0x2710
	s_cselect_b64 s[52:53], -1, 0
	s_and_b64 vcc, exec, s[52:53]
	s_cbranch_vccz .LBB2_2216
; %bb.2215:                             ;   in Loop: Header=BB2_2214 Depth=4
	s_mov_b64 vcc, -1
	s_or_b64 s[50:51], s[50:51], exec
	s_and_saveexec_b64 s[54:55], s[52:53]
	s_cbranch_execz .LBB2_2213
	s_branch .LBB2_2217
.LBB2_2216:                             ;   in Loop: Header=BB2_2214 Depth=4
	s_trap 2
	ds_read_b64 v[3:4], v0
	s_andn2_b64 s[52:53], s[52:53], exec
	s_mov_b32 s64, 0
	s_waitcnt lgkmcnt(0)
	flat_load_dword v1, v[3:4] glc
	s_waitcnt vmcnt(0) lgkmcnt(0)
	buffer_wbinvl1_vol
	v_cmp_eq_u32_e32 vcc, 0, v1
	s_and_b64 vcc, vcc, exec
	s_or_b64 s[52:53], s[52:53], vcc
	s_mov_b64 vcc, -1
	s_or_b64 s[50:51], s[50:51], exec
	s_and_saveexec_b64 s[54:55], s[52:53]
	s_cbranch_execz .LBB2_2213
.LBB2_2217:                             ;   in Loop: Header=BB2_2214 Depth=4
	s_sleep 1
	s_trap 2
	ds_read_b64 v[3:4], v0
	s_waitcnt lgkmcnt(0)
	s_andn2_b64 s[50:51], s[50:51], exec
	v_cmp_ge_u64_e32 vcc, v[3:4], v[32:33]
	s_orn2_b64 vcc, vcc, exec
	s_branch .LBB2_2213
.LBB2_2218:                             ;   in Loop: Header=BB2_272 Depth=3
	s_or_b64 exec, exec, s[38:39]
	s_and_saveexec_b64 vcc, s[48:49]
	s_xor_b64 vcc, exec, vcc
	s_cbranch_execz .LBB2_2220
; %bb.2219:                             ;   in Loop: Header=BB2_272 Depth=3
	v_mov_b32_e32 v1, 1
	ds_write_b32 v0, v1
	s_trap 2
.LBB2_2220:                             ;   in Loop: Header=BB2_272 Depth=3
	s_or_b64 exec, exec, s[46:47]
	;;#ASMSTART
	s_wakeup
	;;#ASMEND
.LBB2_2221:                             ;   in Loop: Header=BB2_272 Depth=3
	s_or_b64 exec, exec, s[44:45]
.LBB2_2222:                             ;   in Loop: Header=BB2_272 Depth=3
	s_andn2_saveexec_b64 s[42:43], s[42:43]
	s_cbranch_execz .LBB2_2224
; %bb.2223:                             ;   in Loop: Header=BB2_272 Depth=3
	s_waitcnt vmcnt(0) lgkmcnt(0)
	buffer_wbinvl1_vol
	s_barrier
.LBB2_2224:                             ;   in Loop: Header=BB2_272 Depth=3
	s_or_b64 exec, exec, s[42:43]
.LBB2_2225:                             ;   in Loop: Header=BB2_272 Depth=3
	s_or_b64 exec, exec, s[40:41]
	v_and_b32_e32 v1, 16, v20
	s_and_saveexec_b64 s[40:41], s[18:19]
	s_xor_b64 s[40:41], exec, s[40:41]
	s_cbranch_execz .LBB2_2229
; %bb.2226:                             ;   in Loop: Header=BB2_272 Depth=3
	v_and_b32_e32 v3, 16, v20
	v_cmp_ne_u32_e32 vcc, 0, v3
	v_and_b32_e32 v1, 16, v20
	s_and_b64 s[42:43], vcc, s[28:29]
	s_and_saveexec_b64 s[28:29], s[42:43]
	s_cbranch_execz .LBB2_2228
; %bb.2227:                             ;   in Loop: Header=BB2_272 Depth=3
	v_mov_b32_e32 v1, 1
	s_waitcnt vmcnt(0) lgkmcnt(0)
	buffer_wbinvl1_vol
.LBB2_2228:                             ;   in Loop: Header=BB2_272 Depth=3
	s_or_b64 exec, exec, s[28:29]
.LBB2_2229:                             ;   in Loop: Header=BB2_272 Depth=3
	s_andn2_saveexec_b64 s[28:29], s[40:41]
	s_cbranch_execz .LBB2_2248
; %bb.2230:                             ;   in Loop: Header=BB2_272 Depth=3
	s_and_saveexec_b64 s[40:41], s[72:73]
	s_xor_b64 s[40:41], exec, s[40:41]
	s_cbranch_execz .LBB2_2245
; %bb.2231:                             ;   in Loop: Header=BB2_272 Depth=3
	s_and_saveexec_b64 s[42:43], s[6:7]
	s_cbranch_execz .LBB2_2244
; %bb.2232:                             ;   in Loop: Header=BB2_272 Depth=3
	s_mov_b64 s[46:47], exec
	v_mbcnt_lo_u32_b32 v3, s46, 0
	v_mbcnt_hi_u32_b32 v3, s47, v3
	v_cmp_eq_u32_e32 vcc, 0, v3
	;;#ASMSTART
	s_waitcnt lgkmcnt(0) vmcnt(0)
	;;#ASMEND
	s_and_saveexec_b64 s[44:45], vcc
	s_cbranch_execz .LBB2_2234
; %bb.2233:                             ;   in Loop: Header=BB2_272 Depth=3
	s_bcnt1_i32_b64 s46, s[46:47]
	v_mov_b32_e32 v34, s46
	s_waitcnt lgkmcnt(0)
	ds_add_u64 v0, v[34:35]
	s_trap 2
.LBB2_2234:                             ;   in Loop: Header=BB2_272 Depth=3
	s_or_b64 exec, exec, s[44:45]
	s_trap 2
	ds_read_b64 v[3:4], v0
	s_waitcnt lgkmcnt(0)
	v_add_co_u32_e32 v32, vcc, v32, v17
	v_addc_co_u32_e32 v33, vcc, 0, v33, vcc
	v_cmp_lt_u64_e32 vcc, v[3:4], v[32:33]
	s_and_saveexec_b64 s[44:45], vcc
	s_cbranch_execz .LBB2_2243
; %bb.2235:                             ;   in Loop: Header=BB2_272 Depth=3
	s_mov_b32 s54, 0
	s_mov_b64 s[46:47], 0
                                        ; implicit-def: $sgpr38_sgpr39
                                        ; implicit-def: $sgpr48_sgpr49
	s_branch .LBB2_2237
.LBB2_2236:                             ;   in Loop: Header=BB2_2237 Depth=4
	s_or_b64 exec, exec, s[52:53]
	s_and_b64 vcc, exec, vcc
	s_or_b64 s[46:47], vcc, s[46:47]
	s_andn2_b64 vcc, s[38:39], exec
	s_and_b64 s[38:39], s[48:49], exec
	s_or_b64 s[38:39], vcc, s[38:39]
	s_andn2_b64 exec, exec, s[46:47]
	s_cbranch_execz .LBB2_2241
.LBB2_2237:                             ;   Parent Loop BB2_47 Depth=1
                                        ;     Parent Loop BB2_269 Depth=2
                                        ;       Parent Loop BB2_272 Depth=3
                                        ; =>      This Inner Loop Header: Depth=4
	s_add_i32 s54, s54, 1
	s_cmpk_lg_i32 s54, 0x2710
	s_cselect_b64 s[50:51], -1, 0
	s_and_b64 vcc, exec, s[50:51]
	s_cbranch_vccz .LBB2_2239
; %bb.2238:                             ;   in Loop: Header=BB2_2237 Depth=4
	s_mov_b64 vcc, -1
	s_or_b64 s[48:49], s[48:49], exec
	s_and_saveexec_b64 s[52:53], s[50:51]
	s_cbranch_execz .LBB2_2236
	s_branch .LBB2_2240
.LBB2_2239:                             ;   in Loop: Header=BB2_2237 Depth=4
	s_trap 2
	ds_read_b64 v[3:4], v0
	s_andn2_b64 s[50:51], s[50:51], exec
	s_mov_b32 s54, 0
	s_waitcnt vmcnt(0) lgkmcnt(0)
	flat_load_dword v3, v[3:4] glc
	s_waitcnt vmcnt(0) lgkmcnt(0)
	buffer_wbinvl1_vol
	v_cmp_eq_u32_e32 vcc, 0, v3
	s_and_b64 vcc, vcc, exec
	s_or_b64 s[50:51], s[50:51], vcc
	s_mov_b64 vcc, -1
	s_or_b64 s[48:49], s[48:49], exec
	s_and_saveexec_b64 s[52:53], s[50:51]
	s_cbranch_execz .LBB2_2236
.LBB2_2240:                             ;   in Loop: Header=BB2_2237 Depth=4
	s_sleep 1
	s_trap 2
	ds_read_b64 v[3:4], v0
	s_waitcnt lgkmcnt(0)
	s_andn2_b64 s[48:49], s[48:49], exec
	v_cmp_ge_u64_e32 vcc, v[3:4], v[32:33]
	s_orn2_b64 vcc, vcc, exec
	s_branch .LBB2_2236
.LBB2_2241:                             ;   in Loop: Header=BB2_272 Depth=3
	s_or_b64 exec, exec, s[46:47]
	s_and_saveexec_b64 s[46:47], s[38:39]
	s_xor_b64 s[46:47], exec, s[46:47]
	s_cbranch_execz .LBB2_2243
; %bb.2242:                             ;   in Loop: Header=BB2_272 Depth=3
	v_mov_b32_e32 v3, 1
	ds_write_b32 v0, v3
	s_trap 2
.LBB2_2243:                             ;   in Loop: Header=BB2_272 Depth=3
	s_or_b64 exec, exec, s[44:45]
	;;#ASMSTART
	s_wakeup
	;;#ASMEND
.LBB2_2244:                             ;   in Loop: Header=BB2_272 Depth=3
	s_or_b64 exec, exec, s[42:43]
.LBB2_2245:                             ;   in Loop: Header=BB2_272 Depth=3
	s_andn2_saveexec_b64 s[40:41], s[40:41]
	s_cbranch_execz .LBB2_2247
; %bb.2246:                             ;   in Loop: Header=BB2_272 Depth=3
	;;#ASMSTART
	s_waitcnt lgkmcnt(0) vmcnt(0)
	;;#ASMEND
	s_waitcnt vmcnt(0) lgkmcnt(0)
	s_barrier
.LBB2_2247:                             ;   in Loop: Header=BB2_272 Depth=3
	s_or_b64 exec, exec, s[40:41]
.LBB2_2248:                             ;   in Loop: Header=BB2_272 Depth=3
	s_or_b64 exec, exec, s[28:29]
	v_cmp_ne_u32_e32 vcc, 0, v1
	s_xor_b64 s[28:29], s[20:21], -1
	s_and_b64 s[40:41], vcc, s[28:29]
	s_and_saveexec_b64 s[28:29], s[40:41]
	s_cbranch_execz .LBB2_2250
; %bb.2249:                             ;   in Loop: Header=BB2_272 Depth=3
	buffer_load_dword v3, off, s[0:3], s33 offset:96 ; 4-byte Folded Reload
	buffer_load_dword v4, off, s[0:3], s33 offset:100 ; 4-byte Folded Reload
	v_mov_b32_e32 v1, 1
	s_waitcnt vmcnt(0)
	flat_store_dword v[3:4], v1
.LBB2_2250:                             ;   in Loop: Header=BB2_272 Depth=3
	s_or_b64 exec, exec, s[28:29]
	v_and_b32_e32 v1, 48, v20
	v_cmp_ne_u32_e32 vcc, 0, v1
	s_and_saveexec_b64 s[28:29], vcc
	s_cbranch_execz .LBB2_271
; %bb.2251:                             ;   in Loop: Header=BB2_272 Depth=3
	v_add_co_u32_e32 v50, vcc, 2, v50
	v_addc_co_u32_e32 v51, vcc, 0, v51, vcc
	flat_store_dwordx2 v[22:23], v[50:51]
	s_branch .LBB2_271
.LBB2_2252:                             ;   in Loop: Header=BB2_269 Depth=2
	s_or_b64 exec, exec, s[34:35]
.LBB2_2253:                             ;   in Loop: Header=BB2_269 Depth=2
	s_or_b64 exec, exec, s[30:31]
	v_cmp_gt_i32_e32 vcc, 2, v1
	s_and_saveexec_b64 s[40:41], vcc
	s_cbranch_execz .LBB2_268
; %bb.2254:                             ;   in Loop: Header=BB2_269 Depth=2
	v_cmp_eq_u32_e64 s[44:45], 0, v1
	s_mov_b64 s[42:43], 0
	s_branch .LBB2_2256
.LBB2_2255:                             ;   in Loop: Header=BB2_2256 Depth=3
	s_or_b64 exec, exec, s[28:29]
	v_add_u32_e32 v53, v54, v53
	s_mov_b64 s[44:45], 0
	s_andn2_b64 exec, exec, s[42:43]
	s_cbranch_execz .LBB2_267
.LBB2_2256:                             ;   Parent Loop BB2_47 Depth=1
                                        ;     Parent Loop BB2_269 Depth=2
                                        ; =>    This Loop Header: Depth=3
                                        ;         Child Loop BB2_2262 Depth 4
                                        ;         Child Loop BB2_2290 Depth 4
	;; [unrolled: 1-line block ×3, first 2 shown]
	v_sub_u32_e32 v1, v37, v53
	v_min_i32_e32 v54, v54, v1
	v_and_b32_e32 v1, 12, v20
	v_cmp_ne_u32_e32 vcc, 0, v1
	s_and_saveexec_b64 s[46:47], vcc
	s_cbranch_execz .LBB2_2282
; %bb.2257:                             ;   in Loop: Header=BB2_2256 Depth=3
	v_and_b32_e32 v1, 8, v20
	s_waitcnt lgkmcnt(0)
	v_add_co_u32_e32 v3, vcc, v28, v1
	v_addc_co_u32_e32 v4, vcc, 0, v29, vcc
	v_add_co_u32_e32 v8, vcc, 2, v50
	v_addc_co_u32_e32 v9, vcc, 0, v51, vcc
	v_cmp_lt_u64_e32 vcc, v[3:4], v[8:9]
	s_and_saveexec_b64 s[30:31], vcc
	s_cbranch_execz .LBB2_2269
; %bb.2258:                             ;   in Loop: Header=BB2_2256 Depth=3
	v_and_b32_e32 v3, 64, v20
	s_mov_b32 s57, 0
	v_cmp_eq_u32_e32 vcc, 0, v3
	s_mov_b64 s[34:35], 0
                                        ; implicit-def: $sgpr36_sgpr37
                                        ; implicit-def: $sgpr38_sgpr39
                                        ; implicit-def: $sgpr48_sgpr49
	s_branch .LBB2_2262
.LBB2_2259:                             ;   in Loop: Header=BB2_2262 Depth=4
	s_waitcnt vmcnt(0) lgkmcnt(0)
	v_add_co_u32_e64 v3, s[28:29], v28, v1
	v_addc_co_u32_e64 v4, s[28:29], 0, v29, s[28:29]
	v_cmp_ge_u64_e64 s[28:29], v[3:4], v[8:9]
	s_or_b64 s[54:55], s[54:55], exec
	s_orn2_b64 s[52:53], s[28:29], exec
.LBB2_2260:                             ;   in Loop: Header=BB2_2262 Depth=4
	s_or_b64 exec, exec, s[66:67]
	s_andn2_b64 s[28:29], s[48:49], exec
	s_and_b64 s[48:49], s[54:55], exec
	s_or_b64 s[48:49], s[28:29], s[48:49]
	s_andn2_b64 s[28:29], s[38:39], exec
	s_and_b64 s[38:39], s[52:53], exec
	s_or_b64 s[38:39], s[28:29], s[38:39]
.LBB2_2261:                             ;   in Loop: Header=BB2_2262 Depth=4
	s_or_b64 exec, exec, s[50:51]
	s_and_b64 s[28:29], exec, s[38:39]
	s_or_b64 s[34:35], s[28:29], s[34:35]
	s_andn2_b64 s[28:29], s[36:37], exec
	s_and_b64 s[36:37], s[48:49], exec
	s_or_b64 s[36:37], s[28:29], s[36:37]
	s_andn2_b64 exec, exec, s[34:35]
	s_cbranch_execz .LBB2_2266
.LBB2_2262:                             ;   Parent Loop BB2_47 Depth=1
                                        ;     Parent Loop BB2_269 Depth=2
                                        ;       Parent Loop BB2_2256 Depth=3
                                        ; =>      This Inner Loop Header: Depth=4
	s_sleep 1
	s_waitcnt vmcnt(0) lgkmcnt(0)
	flat_load_dwordx2 v[28:29], v[22:23] glc
	s_or_b64 s[48:49], s[48:49], exec
	s_or_b64 s[38:39], s[38:39], exec
                                        ; implicit-def: $vgpr6
	s_and_saveexec_b64 s[50:51], vcc
	s_cbranch_execz .LBB2_2261
; %bb.2263:                             ;   in Loop: Header=BB2_2262 Depth=4
	s_cmpk_lt_i32 s57, 0x270f
	s_cselect_b64 s[64:65], -1, 0
	s_cmpk_gt_i32 s57, 0x270e
	s_mov_b64 s[52:53], -1
	s_cbranch_scc0 .LBB2_2265
; %bb.2264:                             ;   in Loop: Header=BB2_2262 Depth=4
	s_trap 2
	ds_read_b64 v[3:4], v0
	s_andn2_b64 s[64:65], s[64:65], exec
	s_mov_b32 s57, 0
	s_mov_b64 s[54:55], 0
	s_waitcnt vmcnt(0) lgkmcnt(0)
	flat_load_dword v6, v[3:4] glc
	s_waitcnt vmcnt(0) lgkmcnt(0)
	buffer_wbinvl1_vol
	v_cmp_eq_u32_e64 s[28:29], 0, v6
	s_and_b64 s[28:29], s[28:29], exec
	s_or_b64 s[64:65], s[64:65], s[28:29]
	s_and_saveexec_b64 s[66:67], s[64:65]
	s_cbranch_execz .LBB2_2260
	s_branch .LBB2_2259
.LBB2_2265:                             ;   in Loop: Header=BB2_2262 Depth=4
	s_add_i32 s57, s57, 1
	s_mov_b64 s[54:55], -1
                                        ; implicit-def: $vgpr6
	s_and_saveexec_b64 s[66:67], s[64:65]
	s_cbranch_execz .LBB2_2260
	s_branch .LBB2_2259
.LBB2_2266:                             ;   in Loop: Header=BB2_2256 Depth=3
	s_or_b64 exec, exec, s[34:35]
	s_xor_b64 s[28:29], s[36:37], -1
	s_and_saveexec_b64 vcc, s[28:29]
	s_xor_b64 s[28:29], exec, vcc
	s_cbranch_execz .LBB2_2268
; %bb.2267:                             ;   in Loop: Header=BB2_2256 Depth=3
	v_or_b32_e32 v20, 64, v20
	s_waitcnt lgkmcnt(0)
	ds_write_b32 v0, v6
	s_trap 2
.LBB2_2268:                             ;   in Loop: Header=BB2_2256 Depth=3
	s_or_b64 exec, exec, s[28:29]
.LBB2_2269:                             ;   in Loop: Header=BB2_2256 Depth=3
	s_or_b64 exec, exec, s[30:31]
	v_and_b32_e32 v3, 0x108, v20
	v_cmp_ne_u32_e32 vcc, s96, v3
	;;#ASMSTART
	s_wakeup
	;;#ASMEND
	s_and_saveexec_b64 s[28:29], vcc
	s_xor_b64 s[28:29], exec, s[28:29]
                                        ; implicit-def: $vgpr6
; %bb.2270:                             ;   in Loop: Header=BB2_2256 Depth=3
	v_and_b32_e32 v6, 7, v50
                                        ; implicit-def: $vgpr50_vgpr51
; %bb.2271:                             ;   in Loop: Header=BB2_2256 Depth=3
	s_andn2_saveexec_b64 s[28:29], s[28:29]
	s_cbranch_execz .LBB2_2273
; %bb.2272:                             ;   in Loop: Header=BB2_2256 Depth=3
	buffer_load_dword v10, off, s[0:3], s33 offset:80 ; 4-byte Folded Reload
	buffer_load_dword v11, off, s[0:3], s33 offset:84 ; 4-byte Folded Reload
	;; [unrolled: 1-line block ×4, first 2 shown]
	v_and_b32_e32 v6, 7, v50
	v_ashrrev_i32_e32 v55, 31, v54
	s_waitcnt vmcnt(0)
	v_mad_u64_u32 v[3:4], vcc, v6, 24, v[10:11]
	flat_store_dwordx2 v[3:4], v[54:55] offset:8
.LBB2_2273:                             ;   in Loop: Header=BB2_2256 Depth=3
	s_or_b64 exec, exec, s[28:29]
	v_and_b32_e32 v3, 0x100, v20
	v_cmp_ne_u32_e32 vcc, 0, v3
	s_mov_b64 s[28:29], -1
                                        ; implicit-def: $vgpr10_vgpr11
	s_and_saveexec_b64 s[30:31], vcc
	s_cbranch_execz .LBB2_2277
; %bb.2274:                             ;   in Loop: Header=BB2_2256 Depth=3
	buffer_load_dword v10, off, s[0:3], s33 offset:80 ; 4-byte Folded Reload
	buffer_load_dword v11, off, s[0:3], s33 offset:84 ; 4-byte Folded Reload
	buffer_load_dword v12, off, s[0:3], s33 offset:88 ; 4-byte Folded Reload
	buffer_load_dword v13, off, s[0:3], s33 offset:92 ; 4-byte Folded Reload
	s_waitcnt vmcnt(0)
	v_mad_u64_u32 v[12:13], s[28:29], v6, 24, v[10:11]
                                        ; implicit-def: $vgpr10_vgpr11
	v_mov_b32_e32 v3, v13
	v_mad_u64_u32 v[3:4], s[28:29], v35, 24, v[3:4]
	v_mov_b32_e32 v13, v3
	flat_load_dword v3, v[12:13]
	s_waitcnt vmcnt(0) lgkmcnt(0)
	v_cmp_ne_u32_e32 vcc, 1, v3
	v_cmp_eq_u32_e64 s[28:29], 1, v3
	s_and_saveexec_b64 s[34:35], s[28:29]
	s_cbranch_execz .LBB2_2276
; %bb.2275:                             ;   in Loop: Header=BB2_2256 Depth=3
	flat_load_dword v10, v[12:13] offset:4 glc
	s_waitcnt vmcnt(0) lgkmcnt(0)
	v_ashrrev_i32_e32 v11, 31, v10
.LBB2_2276:                             ;   in Loop: Header=BB2_2256 Depth=3
	s_or_b64 exec, exec, s[34:35]
	s_orn2_b64 s[28:29], vcc, exec
.LBB2_2277:                             ;   in Loop: Header=BB2_2256 Depth=3
	s_or_b64 exec, exec, s[30:31]
	s_and_saveexec_b64 vcc, s[28:29]
	s_cbranch_execz .LBB2_2279
; %bb.2278:                             ;   in Loop: Header=BB2_2256 Depth=3
	buffer_load_dword v7, off, s[0:3], s33 offset:104 ; 4-byte Folded Reload
	buffer_load_dword v4, off, s[0:3], s33 offset:124 ; 4-byte Folded Reload
	s_waitcnt vmcnt(0)
	v_mul_lo_u32 v3, v35, v7
	v_mul_lo_u32 v4, v6, v4
	v_mad_u64_u32 v[10:11], s[28:29], v6, v7, 0
	v_add3_u32 v11, v11, v4, v3
.LBB2_2279:                             ;   in Loop: Header=BB2_2256 Depth=3
	s_or_b64 exec, exec, vcc
	v_cmp_eq_u32_e32 vcc, 0, v1
	v_mov_b32_e32 v1, 0xc8
	v_mov_b32_e32 v3, 0x90
	v_cndmask_b32_e32 v1, v1, v3, vcc
	buffer_load_dword v3, off, s[0:3], s33 offset:72 ; 4-byte Folded Reload
	buffer_load_dword v4, off, s[0:3], s33 offset:76 ; 4-byte Folded Reload
	v_add_u32_e32 v1, v0, v1
	s_waitcnt vmcnt(0)
	v_add_co_u32_e32 v3, vcc, v3, v10
	v_addc_co_u32_e32 v4, vcc, v4, v11, vcc
	ds_write_b64 v1, v[3:4] offset:584
	v_and_b32_e32 v1, 0x2000, v20
	v_cmp_ne_u32_e32 vcc, 0, v1
	s_and_saveexec_b64 s[28:29], vcc
	s_cbranch_execz .LBB2_2281
; %bb.2280:                             ;   in Loop: Header=BB2_2256 Depth=3
	ds_read_b64 v[3:4], v0 offset:872
	s_waitcnt lgkmcnt(0)
	v_add_co_u32_e32 v3, vcc, 1, v3
	v_addc_co_u32_e32 v4, vcc, 0, v4, vcc
	ds_write_b64 v0, v[3:4] offset:872
.LBB2_2281:                             ;   in Loop: Header=BB2_2256 Depth=3
	s_or_b64 exec, exec, s[28:29]
	v_mov_b32_e32 v51, v9
	v_mov_b32_e32 v50, v8
.LBB2_2282:                             ;   in Loop: Header=BB2_2256 Depth=3
	s_or_b64 exec, exec, s[46:47]
	s_xor_b64 s[28:29], s[44:45], -1
	s_and_b64 s[28:29], exec, s[28:29]
	s_or_b64 s[42:43], s[28:29], s[42:43]
	s_and_saveexec_b64 s[28:29], s[12:13]
	s_cbranch_execz .LBB2_2301
; %bb.2283:                             ;   in Loop: Header=BB2_2256 Depth=3
	s_and_saveexec_b64 s[44:45], s[72:73]
	s_xor_b64 s[44:45], exec, s[44:45]
	s_cbranch_execz .LBB2_2298
; %bb.2284:                             ;   in Loop: Header=BB2_2256 Depth=3
	s_and_saveexec_b64 s[46:47], s[6:7]
	s_cbranch_execz .LBB2_2297
; %bb.2285:                             ;   in Loop: Header=BB2_2256 Depth=3
	s_mov_b64 s[34:35], exec
	v_mbcnt_lo_u32_b32 v1, s34, 0
	v_mbcnt_hi_u32_b32 v1, s35, v1
	v_cmp_eq_u32_e32 vcc, 0, v1
	s_waitcnt vmcnt(0) lgkmcnt(0)
	buffer_wbinvl1_vol
	s_and_saveexec_b64 s[30:31], vcc
	s_cbranch_execz .LBB2_2287
; %bb.2286:                             ;   in Loop: Header=BB2_2256 Depth=3
	s_bcnt1_i32_b64 s57, s[34:35]
	v_mov_b32_e32 v34, s57
	ds_add_u64 v0, v[34:35]
	s_trap 2
.LBB2_2287:                             ;   in Loop: Header=BB2_2256 Depth=3
	s_or_b64 exec, exec, s[30:31]
	s_trap 2
	ds_read_b64 v[3:4], v0
	s_waitcnt lgkmcnt(0)
	v_add_co_u32_e32 v32, vcc, v32, v17
	v_addc_co_u32_e32 v33, vcc, 0, v33, vcc
	v_cmp_lt_u64_e32 vcc, v[3:4], v[32:33]
	s_and_saveexec_b64 s[30:31], vcc
	s_cbranch_execz .LBB2_2296
; %bb.2288:                             ;   in Loop: Header=BB2_2256 Depth=3
	s_mov_b32 s57, 0
	s_mov_b64 s[34:35], 0
                                        ; implicit-def: $sgpr36_sgpr37
                                        ; implicit-def: $sgpr38_sgpr39
	s_branch .LBB2_2290
.LBB2_2289:                             ;   in Loop: Header=BB2_2290 Depth=4
	s_or_b64 exec, exec, s[50:51]
	s_and_b64 vcc, exec, vcc
	s_or_b64 s[34:35], vcc, s[34:35]
	s_andn2_b64 vcc, s[36:37], exec
	s_and_b64 s[36:37], s[38:39], exec
	s_or_b64 s[36:37], vcc, s[36:37]
	s_andn2_b64 exec, exec, s[34:35]
	s_cbranch_execz .LBB2_2294
.LBB2_2290:                             ;   Parent Loop BB2_47 Depth=1
                                        ;     Parent Loop BB2_269 Depth=2
                                        ;       Parent Loop BB2_2256 Depth=3
                                        ; =>      This Inner Loop Header: Depth=4
	s_add_i32 s57, s57, 1
	s_cmpk_lg_i32 s57, 0x2710
	s_cselect_b64 s[48:49], -1, 0
	s_and_b64 vcc, exec, s[48:49]
	s_cbranch_vccz .LBB2_2292
; %bb.2291:                             ;   in Loop: Header=BB2_2290 Depth=4
	s_mov_b64 vcc, -1
	s_or_b64 s[38:39], s[38:39], exec
	s_and_saveexec_b64 s[50:51], s[48:49]
	s_cbranch_execz .LBB2_2289
	s_branch .LBB2_2293
.LBB2_2292:                             ;   in Loop: Header=BB2_2290 Depth=4
	s_trap 2
	ds_read_b64 v[3:4], v0
	s_andn2_b64 s[48:49], s[48:49], exec
	s_mov_b32 s57, 0
	s_waitcnt lgkmcnt(0)
	flat_load_dword v1, v[3:4] glc
	s_waitcnt vmcnt(0) lgkmcnt(0)
	buffer_wbinvl1_vol
	v_cmp_eq_u32_e32 vcc, 0, v1
	s_and_b64 vcc, vcc, exec
	s_or_b64 s[48:49], s[48:49], vcc
	s_mov_b64 vcc, -1
	s_or_b64 s[38:39], s[38:39], exec
	s_and_saveexec_b64 s[50:51], s[48:49]
	s_cbranch_execz .LBB2_2289
.LBB2_2293:                             ;   in Loop: Header=BB2_2290 Depth=4
	s_sleep 1
	s_trap 2
	ds_read_b64 v[3:4], v0
	s_waitcnt lgkmcnt(0)
	s_andn2_b64 s[38:39], s[38:39], exec
	v_cmp_ge_u64_e32 vcc, v[3:4], v[32:33]
	s_orn2_b64 vcc, vcc, exec
	s_branch .LBB2_2289
.LBB2_2294:                             ;   in Loop: Header=BB2_2256 Depth=3
	s_or_b64 exec, exec, s[34:35]
	s_and_saveexec_b64 vcc, s[36:37]
	s_xor_b64 vcc, exec, vcc
	s_cbranch_execz .LBB2_2296
; %bb.2295:                             ;   in Loop: Header=BB2_2256 Depth=3
	v_mov_b32_e32 v1, 1
	ds_write_b32 v0, v1
	s_trap 2
.LBB2_2296:                             ;   in Loop: Header=BB2_2256 Depth=3
	s_or_b64 exec, exec, s[30:31]
	;;#ASMSTART
	s_wakeup
	;;#ASMEND
.LBB2_2297:                             ;   in Loop: Header=BB2_2256 Depth=3
	s_or_b64 exec, exec, s[46:47]
.LBB2_2298:                             ;   in Loop: Header=BB2_2256 Depth=3
	s_andn2_saveexec_b64 s[44:45], s[44:45]
	s_cbranch_execz .LBB2_2300
; %bb.2299:                             ;   in Loop: Header=BB2_2256 Depth=3
	s_waitcnt vmcnt(0) lgkmcnt(0)
	buffer_wbinvl1_vol
	s_barrier
.LBB2_2300:                             ;   in Loop: Header=BB2_2256 Depth=3
	s_or_b64 exec, exec, s[44:45]
.LBB2_2301:                             ;   in Loop: Header=BB2_2256 Depth=3
	s_or_b64 exec, exec, s[28:29]
                                        ; implicit-def: $vgpr1
	s_and_saveexec_b64 s[28:29], s[78:79]
	s_xor_b64 s[28:29], exec, s[28:29]
	s_cbranch_execz .LBB2_2313
; %bb.2302:                             ;   in Loop: Header=BB2_2256 Depth=3
	s_and_saveexec_b64 s[44:45], s[72:73]
	s_xor_b64 s[44:45], exec, s[44:45]
	s_cbranch_execz .LBB2_2318
; %bb.2303:                             ;   in Loop: Header=BB2_2256 Depth=3
	s_and_saveexec_b64 s[46:47], s[6:7]
	s_cbranch_execz .LBB2_2317
; %bb.2304:                             ;   in Loop: Header=BB2_2256 Depth=3
	s_mov_b64 s[34:35], exec
	v_mbcnt_lo_u32_b32 v1, s34, 0
	v_mbcnt_hi_u32_b32 v1, s35, v1
	v_cmp_eq_u32_e32 vcc, 0, v1
	;;#ASMSTART
	s_waitcnt lgkmcnt(0) vmcnt(0)
	;;#ASMEND
	s_and_saveexec_b64 s[30:31], vcc
	s_cbranch_execz .LBB2_2306
; %bb.2305:                             ;   in Loop: Header=BB2_2256 Depth=3
	s_bcnt1_i32_b64 s57, s[34:35]
	v_mov_b32_e32 v34, s57
	s_waitcnt lgkmcnt(0)
	ds_add_u64 v0, v[34:35]
	s_trap 2
.LBB2_2306:                             ;   in Loop: Header=BB2_2256 Depth=3
	s_or_b64 exec, exec, s[30:31]
	s_trap 2
	ds_read_b64 v[3:4], v0
	s_waitcnt lgkmcnt(0)
	v_add_co_u32_e32 v32, vcc, v32, v17
	v_addc_co_u32_e32 v33, vcc, 0, v33, vcc
	v_cmp_lt_u64_e32 vcc, v[3:4], v[32:33]
	s_and_saveexec_b64 s[30:31], vcc
	s_cbranch_execz .LBB2_2316
; %bb.2307:                             ;   in Loop: Header=BB2_2256 Depth=3
	s_mov_b32 s57, 0
	s_mov_b64 s[34:35], 0
                                        ; implicit-def: $sgpr36_sgpr37
                                        ; implicit-def: $sgpr38_sgpr39
	s_branch .LBB2_2309
.LBB2_2308:                             ;   in Loop: Header=BB2_2309 Depth=4
	s_or_b64 exec, exec, s[50:51]
	s_and_b64 vcc, exec, vcc
	s_or_b64 s[34:35], vcc, s[34:35]
	s_andn2_b64 vcc, s[36:37], exec
	s_and_b64 s[36:37], s[38:39], exec
	s_or_b64 s[36:37], vcc, s[36:37]
	s_andn2_b64 exec, exec, s[34:35]
	s_cbranch_execz .LBB2_2314
.LBB2_2309:                             ;   Parent Loop BB2_47 Depth=1
                                        ;     Parent Loop BB2_269 Depth=2
                                        ;       Parent Loop BB2_2256 Depth=3
                                        ; =>      This Inner Loop Header: Depth=4
	s_add_i32 s57, s57, 1
	s_cmpk_lg_i32 s57, 0x2710
	s_cselect_b64 s[48:49], -1, 0
	s_and_b64 vcc, exec, s[48:49]
	s_cbranch_vccz .LBB2_2311
; %bb.2310:                             ;   in Loop: Header=BB2_2309 Depth=4
	s_mov_b64 vcc, -1
	s_or_b64 s[38:39], s[38:39], exec
	s_and_saveexec_b64 s[50:51], s[48:49]
	s_cbranch_execz .LBB2_2308
	s_branch .LBB2_2312
.LBB2_2311:                             ;   in Loop: Header=BB2_2309 Depth=4
	s_trap 2
	ds_read_b64 v[3:4], v0
	s_andn2_b64 s[48:49], s[48:49], exec
	s_mov_b32 s57, 0
	s_waitcnt vmcnt(0) lgkmcnt(0)
	flat_load_dword v1, v[3:4] glc
	s_waitcnt vmcnt(0) lgkmcnt(0)
	buffer_wbinvl1_vol
	v_cmp_eq_u32_e32 vcc, 0, v1
	s_and_b64 vcc, vcc, exec
	s_or_b64 s[48:49], s[48:49], vcc
	s_mov_b64 vcc, -1
	s_or_b64 s[38:39], s[38:39], exec
	s_and_saveexec_b64 s[50:51], s[48:49]
	s_cbranch_execz .LBB2_2308
.LBB2_2312:                             ;   in Loop: Header=BB2_2309 Depth=4
	s_sleep 1
	s_trap 2
	ds_read_b64 v[3:4], v0
	s_waitcnt lgkmcnt(0)
	s_andn2_b64 s[38:39], s[38:39], exec
	v_cmp_ge_u64_e32 vcc, v[3:4], v[32:33]
	s_orn2_b64 vcc, vcc, exec
	s_branch .LBB2_2308
.LBB2_2313:                             ;   in Loop: Header=BB2_2256 Depth=3
	s_andn2_saveexec_b64 s[28:29], s[28:29]
	s_cbranch_execnz .LBB2_2321
	s_branch .LBB2_2324
.LBB2_2314:                             ;   in Loop: Header=BB2_2256 Depth=3
	s_or_b64 exec, exec, s[34:35]
	s_and_saveexec_b64 vcc, s[36:37]
	s_xor_b64 vcc, exec, vcc
	s_cbranch_execz .LBB2_2316
; %bb.2315:                             ;   in Loop: Header=BB2_2256 Depth=3
	v_mov_b32_e32 v1, 1
	ds_write_b32 v0, v1
	s_trap 2
.LBB2_2316:                             ;   in Loop: Header=BB2_2256 Depth=3
	s_or_b64 exec, exec, s[30:31]
	;;#ASMSTART
	s_wakeup
	;;#ASMEND
.LBB2_2317:                             ;   in Loop: Header=BB2_2256 Depth=3
	s_or_b64 exec, exec, s[46:47]
.LBB2_2318:                             ;   in Loop: Header=BB2_2256 Depth=3
	s_andn2_saveexec_b64 s[44:45], s[44:45]
	s_cbranch_execz .LBB2_2320
; %bb.2319:                             ;   in Loop: Header=BB2_2256 Depth=3
	;;#ASMSTART
	s_waitcnt lgkmcnt(0) vmcnt(0)
	;;#ASMEND
	s_waitcnt vmcnt(0) lgkmcnt(0)
	s_barrier
.LBB2_2320:                             ;   in Loop: Header=BB2_2256 Depth=3
	s_or_b64 exec, exec, s[44:45]
	v_and_b32_e32 v1, 16, v20
	s_andn2_saveexec_b64 s[28:29], s[28:29]
	s_cbranch_execz .LBB2_2324
.LBB2_2321:                             ;   in Loop: Header=BB2_2256 Depth=3
	s_trap 2
	ds_read_b32 v1, v0
	v_cmp_lt_i32_e32 vcc, 0, v54
	v_and_b32_e32 v3, 16, v20
	s_waitcnt lgkmcnt(0)
	v_readfirstlane_b32 s44, v1
	s_cmp_eq_u32 s44, 0
	s_cselect_b64 s[44:45], -1, 0
	s_and_b64 s[44:45], vcc, s[44:45]
	v_cmp_ne_u32_e32 vcc, 0, v3
	v_and_b32_e32 v1, 16, v20
	s_and_b64 s[46:47], vcc, s[44:45]
	s_and_saveexec_b64 s[44:45], s[46:47]
	s_cbranch_execz .LBB2_2323
; %bb.2322:                             ;   in Loop: Header=BB2_2256 Depth=3
	v_mov_b32_e32 v1, 1
	s_waitcnt vmcnt(0)
	buffer_wbinvl1_vol
.LBB2_2323:                             ;   in Loop: Header=BB2_2256 Depth=3
	s_or_b64 exec, exec, s[44:45]
.LBB2_2324:                             ;   in Loop: Header=BB2_2256 Depth=3
	s_or_b64 exec, exec, s[28:29]
	v_cmp_ne_u32_e32 vcc, 0, v1
	s_xor_b64 s[28:29], s[20:21], -1
	s_and_b64 s[44:45], vcc, s[28:29]
	s_and_saveexec_b64 s[28:29], s[44:45]
	s_cbranch_execz .LBB2_2326
; %bb.2325:                             ;   in Loop: Header=BB2_2256 Depth=3
	buffer_load_dword v3, off, s[0:3], s33 offset:96 ; 4-byte Folded Reload
	buffer_load_dword v4, off, s[0:3], s33 offset:100 ; 4-byte Folded Reload
	v_mov_b32_e32 v1, 1
	s_waitcnt vmcnt(0)
	flat_store_dword v[3:4], v1
.LBB2_2326:                             ;   in Loop: Header=BB2_2256 Depth=3
	s_or_b64 exec, exec, s[28:29]
	v_and_b32_e32 v1, 48, v20
	v_cmp_ne_u32_e32 vcc, 0, v1
	s_and_saveexec_b64 s[28:29], vcc
	s_cbranch_execz .LBB2_2255
; %bb.2327:                             ;   in Loop: Header=BB2_2256 Depth=3
	v_add_co_u32_e32 v50, vcc, 2, v50
	v_addc_co_u32_e32 v51, vcc, 0, v51, vcc
	flat_store_dwordx2 v[22:23], v[50:51]
	s_branch .LBB2_2255
.LBB2_2328:                             ;   in Loop: Header=BB2_47 Depth=1
	buffer_load_dword v10, off, s[0:3], s33 offset:180 ; 4-byte Folded Reload
	buffer_load_dword v11, off, s[0:3], s33 offset:184 ; 4-byte Folded Reload
	v_mov_b32_e32 v19, 0
	s_waitcnt vmcnt(0)
	v_mul_lo_u32 v3, v10, s69
	v_mul_lo_u32 v1, v11, s68
	v_mad_u64_u32 v[8:9], s[28:29], v10, s68, 0
	v_add3_u32 v9, v9, v3, v1
	buffer_load_dword v3, off, s[0:3], s33 offset:164 ; 4-byte Folded Reload
	buffer_load_dword v4, off, s[0:3], s33 offset:168 ; 4-byte Folded Reload
	v_mov_b32_e32 v1, 0
	s_waitcnt vmcnt(0)
	v_sub_co_u32_e32 v6, vcc, v3, v8
	v_subb_co_u32_e32 v7, vcc, v4, v9, vcc
	v_cmp_lt_i64_e32 vcc, v[10:11], v[6:7]
	v_cndmask_b32_e32 v3, v6, v10, vcc
	v_max_i32_e32 v18, 0, v3
	v_add_u32_e32 v4, 31, v18
	v_lshrrev_b32_e32 v4, 1, v4
	v_and_b32_e32 v4, 0x3ffffff0, v4
	v_cmp_lt_i32_e32 vcc, 0, v3
	v_max_i32_e32 v54, s83, v4
	s_and_b64 s[28:29], s[88:89], vcc
	s_and_saveexec_b64 s[30:31], s[28:29]
	s_cbranch_execz .LBB2_6186
; %bb.2329:                             ;   in Loop: Header=BB2_47 Depth=1
	buffer_load_dword v1, off, s[0:3], s33 offset:132 ; 4-byte Folded Reload
	s_mov_b32 s57, 1
	s_mov_b64 s[36:37], -1
	v_mov_b32_e32 v19, 0
	s_mov_b64 s[34:35], 0
	s_waitcnt vmcnt(0)
	v_add_co_u32_e32 v1, vcc, v8, v1
	buffer_store_dword v1, off, s[0:3], s33 offset:188 ; 4-byte Folded Spill
	buffer_load_dword v1, off, s[0:3], s33 offset:136 ; 4-byte Folded Reload
	s_waitcnt vmcnt(0)
	v_addc_co_u32_e32 v1, vcc, v9, v1, vcc
	buffer_store_dword v1, off, s[0:3], s33 offset:192 ; 4-byte Folded Spill
	s_branch .LBB2_2331
.LBB2_2330:                             ;   in Loop: Header=BB2_2331 Depth=2
	s_or_b64 exec, exec, s[28:29]
	v_add_u32_e32 v19, v54, v19
	v_cmp_ge_i32_e32 vcc, v19, v18
	s_xor_b64 s[28:29], s[36:37], -1
	s_or_b64 s[28:29], s[28:29], vcc
	s_and_b64 s[28:29], exec, s[28:29]
	s_or_b64 s[34:35], s[28:29], s[34:35]
	s_mov_b64 s[36:37], 0
	v_mov_b32_e32 v1, s57
	s_mov_b32 s57, 2
	s_andn2_b64 exec, exec, s[34:35]
	s_cbranch_execz .LBB2_6261
.LBB2_2331:                             ;   Parent Loop BB2_47 Depth=1
                                        ; =>  This Loop Header: Depth=2
                                        ;       Child Loop BB2_2339 Depth 3
                                        ;       Child Loop BB2_2367 Depth 3
	;; [unrolled: 1-line block ×4, first 2 shown]
                                        ;         Child Loop BB2_3066 Depth 4
                                        ;       Child Loop BB2_3120 Depth 3
                                        ;         Child Loop BB2_3777 Depth 4
                                        ;       Child Loop BB2_3833 Depth 3
                                        ;       Child Loop BB2_4221 Depth 3
                                        ;         Child Loop BB2_4270 Depth 4
                                        ;       Child Loop BB2_4283 Depth 3
                                        ;       Child Loop BB2_4992 Depth 3
	;; [unrolled: 1-line block ×6, first 2 shown]
	s_and_saveexec_b64 s[28:29], s[4:5]
	s_cbranch_execz .LBB2_2333
; %bb.2332:                             ;   in Loop: Header=BB2_2331 Depth=2
	s_trap 2
	buffer_load_dword v10, off, s[0:3], s33 offset:188 ; 4-byte Folded Reload
	buffer_load_dword v11, off, s[0:3], s33 offset:192 ; 4-byte Folded Reload
	ds_read2_b64 v[6:9], v0 offset1:1
	v_ashrrev_i32_e32 v4, 31, v19
	s_waitcnt vmcnt(0) lgkmcnt(0)
	v_add_co_u32_e32 v1, vcc, v6, v10
	v_addc_co_u32_e32 v3, vcc, v7, v11, vcc
	v_add_co_u32_e32 v6, vcc, v1, v19
	v_addc_co_u32_e32 v7, vcc, v3, v4, vcc
	;; [unrolled: 2-line block ×3, first 2 shown]
	ds_write_b64 v0, v[6:7]
	v_add_co_u32_e32 v6, vcc, v1, v19
	v_addc_co_u32_e32 v7, vcc, v3, v4, vcc
	ds_write_b64 v0, v[6:7]
	ds_read_b64 v[6:7], v0
	s_waitcnt lgkmcnt(0)
	v_add_co_u32_e32 v1, vcc, v6, v10
	v_addc_co_u32_e32 v3, vcc, v7, v11, vcc
	v_add_co_u32_e32 v1, vcc, v1, v19
	v_addc_co_u32_e32 v3, vcc, v3, v4, vcc
	v_cmp_ne_u64_e32 vcc, 0, v[6:7]
	v_cndmask_b32_e32 v7, 0, v3, vcc
	v_cndmask_b32_e32 v6, 0, v1, vcc
	ds_write_b64 v0, v[6:7]
.LBB2_2333:                             ;   in Loop: Header=BB2_2331 Depth=2
	s_or_b64 exec, exec, s[28:29]
	v_sub_u32_e32 v1, v18, v19
	v_min_i32_e32 v54, v54, v1
	v_and_b32_e32 v1, 12, v20
	v_cmp_ne_u32_e32 vcc, 0, v1
	s_and_saveexec_b64 s[40:41], vcc
	s_cbranch_execz .LBB2_2359
; %bb.2334:                             ;   in Loop: Header=BB2_2331 Depth=2
	v_and_b32_e32 v1, 8, v20
	s_waitcnt lgkmcnt(0)
	v_add_co_u32_e32 v6, vcc, v28, v1
	v_addc_co_u32_e32 v7, vcc, 0, v29, vcc
	v_add_co_u32_e32 v8, vcc, 2, v50
	v_addc_co_u32_e32 v9, vcc, 0, v51, vcc
	v_cmp_lt_u64_e32 vcc, v[6:7], v[8:9]
	s_and_saveexec_b64 s[42:43], vcc
	s_cbranch_execz .LBB2_2346
; %bb.2335:                             ;   in Loop: Header=BB2_2331 Depth=2
	v_and_b32_e32 v3, 64, v20
	s_mov_b32 s9, 0
	v_cmp_eq_u32_e32 vcc, 0, v3
	s_mov_b64 s[44:45], 0
                                        ; implicit-def: $sgpr46_sgpr47
                                        ; implicit-def: $sgpr38_sgpr39
                                        ; implicit-def: $sgpr48_sgpr49
	s_branch .LBB2_2339
.LBB2_2336:                             ;   in Loop: Header=BB2_2339 Depth=3
	s_waitcnt vmcnt(0) lgkmcnt(0)
	v_add_co_u32_e64 v10, s[28:29], v28, v1
	v_addc_co_u32_e64 v11, s[28:29], 0, v29, s[28:29]
	v_cmp_ge_u64_e64 s[28:29], v[10:11], v[8:9]
	s_or_b64 s[54:55], s[54:55], exec
	s_orn2_b64 s[52:53], s[28:29], exec
.LBB2_2337:                             ;   in Loop: Header=BB2_2339 Depth=3
	s_or_b64 exec, exec, s[66:67]
	s_andn2_b64 s[28:29], s[48:49], exec
	s_and_b64 s[48:49], s[54:55], exec
	s_or_b64 s[48:49], s[28:29], s[48:49]
	s_andn2_b64 s[28:29], s[38:39], exec
	s_and_b64 s[38:39], s[52:53], exec
	s_or_b64 s[38:39], s[28:29], s[38:39]
.LBB2_2338:                             ;   in Loop: Header=BB2_2339 Depth=3
	s_or_b64 exec, exec, s[50:51]
	s_and_b64 s[28:29], exec, s[38:39]
	s_or_b64 s[44:45], s[28:29], s[44:45]
	s_andn2_b64 s[28:29], s[46:47], exec
	s_and_b64 s[46:47], s[48:49], exec
	s_or_b64 s[46:47], s[28:29], s[46:47]
	s_andn2_b64 exec, exec, s[44:45]
	s_cbranch_execz .LBB2_2343
.LBB2_2339:                             ;   Parent Loop BB2_47 Depth=1
                                        ;     Parent Loop BB2_2331 Depth=2
                                        ; =>    This Inner Loop Header: Depth=3
	s_sleep 1
	s_waitcnt vmcnt(0) lgkmcnt(0)
	flat_load_dwordx2 v[28:29], v[22:23] glc
	s_or_b64 s[48:49], s[48:49], exec
	s_or_b64 s[38:39], s[38:39], exec
                                        ; implicit-def: $vgpr6
	s_and_saveexec_b64 s[50:51], vcc
	s_cbranch_execz .LBB2_2338
; %bb.2340:                             ;   in Loop: Header=BB2_2339 Depth=3
	s_cmpk_lt_i32 s9, 0x270f
	s_cselect_b64 s[64:65], -1, 0
	s_cmpk_gt_i32 s9, 0x270e
	s_mov_b64 s[52:53], -1
	s_cbranch_scc0 .LBB2_2342
; %bb.2341:                             ;   in Loop: Header=BB2_2339 Depth=3
	s_trap 2
	ds_read_b64 v[6:7], v0
	s_andn2_b64 s[64:65], s[64:65], exec
	s_mov_b32 s9, 0
	s_mov_b64 s[54:55], 0
	s_waitcnt vmcnt(0) lgkmcnt(0)
	flat_load_dword v6, v[6:7] glc
	s_waitcnt vmcnt(0) lgkmcnt(0)
	buffer_wbinvl1_vol
	v_cmp_eq_u32_e64 s[28:29], 0, v6
	s_and_b64 s[28:29], s[28:29], exec
	s_or_b64 s[64:65], s[64:65], s[28:29]
	s_and_saveexec_b64 s[66:67], s[64:65]
	s_cbranch_execz .LBB2_2337
	s_branch .LBB2_2336
.LBB2_2342:                             ;   in Loop: Header=BB2_2339 Depth=3
	s_add_i32 s9, s9, 1
	s_mov_b64 s[54:55], -1
                                        ; implicit-def: $vgpr6
	s_and_saveexec_b64 s[66:67], s[64:65]
	s_cbranch_execz .LBB2_2337
	s_branch .LBB2_2336
.LBB2_2343:                             ;   in Loop: Header=BB2_2331 Depth=2
	s_or_b64 exec, exec, s[44:45]
	s_xor_b64 s[28:29], s[46:47], -1
	s_and_saveexec_b64 s[44:45], s[28:29]
	s_xor_b64 s[28:29], exec, s[44:45]
	s_cbranch_execz .LBB2_2345
; %bb.2344:                             ;   in Loop: Header=BB2_2331 Depth=2
	v_or_b32_e32 v20, 64, v20
	s_waitcnt lgkmcnt(0)
	ds_write_b32 v0, v6
	s_trap 2
.LBB2_2345:                             ;   in Loop: Header=BB2_2331 Depth=2
	s_or_b64 exec, exec, s[28:29]
.LBB2_2346:                             ;   in Loop: Header=BB2_2331 Depth=2
	s_or_b64 exec, exec, s[42:43]
	v_and_b32_e32 v3, 0x108, v20
	v_cmp_ne_u32_e32 vcc, s96, v3
	;;#ASMSTART
	s_wakeup
	;;#ASMEND
	s_and_saveexec_b64 s[28:29], vcc
	s_xor_b64 s[28:29], exec, s[28:29]
                                        ; implicit-def: $vgpr6
; %bb.2347:                             ;   in Loop: Header=BB2_2331 Depth=2
	v_and_b32_e32 v6, 7, v50
                                        ; implicit-def: $vgpr50_vgpr51
; %bb.2348:                             ;   in Loop: Header=BB2_2331 Depth=2
	s_andn2_saveexec_b64 s[28:29], s[28:29]
	s_cbranch_execz .LBB2_2350
; %bb.2349:                             ;   in Loop: Header=BB2_2331 Depth=2
	buffer_load_dword v10, off, s[0:3], s33 offset:80 ; 4-byte Folded Reload
	buffer_load_dword v11, off, s[0:3], s33 offset:84 ; 4-byte Folded Reload
	;; [unrolled: 1-line block ×4, first 2 shown]
	v_and_b32_e32 v6, 7, v50
	v_ashrrev_i32_e32 v55, 31, v54
	s_waitcnt vmcnt(0)
	v_mad_u64_u32 v[10:11], s[42:43], v6, 24, v[10:11]
	flat_store_dwordx2 v[10:11], v[54:55] offset:8
.LBB2_2350:                             ;   in Loop: Header=BB2_2331 Depth=2
	s_or_b64 exec, exec, s[28:29]
	v_and_b32_e32 v3, 0x100, v20
	v_cmp_ne_u32_e32 vcc, 0, v3
	s_mov_b64 s[28:29], -1
                                        ; implicit-def: $vgpr10_vgpr11
	s_and_saveexec_b64 s[42:43], vcc
	s_cbranch_execz .LBB2_2354
; %bb.2351:                             ;   in Loop: Header=BB2_2331 Depth=2
	buffer_load_dword v10, off, s[0:3], s33 offset:80 ; 4-byte Folded Reload
	buffer_load_dword v11, off, s[0:3], s33 offset:84 ; 4-byte Folded Reload
	;; [unrolled: 1-line block ×4, first 2 shown]
	s_waitcnt vmcnt(0)
	v_mad_u64_u32 v[12:13], s[28:29], v6, 24, v[10:11]
	v_mov_b32_e32 v7, v13
	v_mad_u64_u32 v[10:11], s[28:29], v35, 24, v[7:8]
	v_mov_b32_e32 v13, v10
	flat_load_dword v3, v[12:13]
                                        ; implicit-def: $vgpr10_vgpr11
	s_waitcnt vmcnt(0) lgkmcnt(0)
	v_cmp_ne_u32_e32 vcc, 1, v3
	v_cmp_eq_u32_e64 s[28:29], 1, v3
	s_and_saveexec_b64 s[44:45], s[28:29]
	s_cbranch_execz .LBB2_2353
; %bb.2352:                             ;   in Loop: Header=BB2_2331 Depth=2
	flat_load_dword v10, v[12:13] offset:4 glc
	s_waitcnt vmcnt(0) lgkmcnt(0)
	v_ashrrev_i32_e32 v11, 31, v10
.LBB2_2353:                             ;   in Loop: Header=BB2_2331 Depth=2
	s_or_b64 exec, exec, s[44:45]
	s_orn2_b64 s[28:29], vcc, exec
.LBB2_2354:                             ;   in Loop: Header=BB2_2331 Depth=2
	s_or_b64 exec, exec, s[42:43]
	s_and_saveexec_b64 s[42:43], s[28:29]
	s_cbranch_execz .LBB2_2356
; %bb.2355:                             ;   in Loop: Header=BB2_2331 Depth=2
	buffer_load_dword v7, off, s[0:3], s33 offset:104 ; 4-byte Folded Reload
	buffer_load_dword v4, off, s[0:3], s33 offset:124 ; 4-byte Folded Reload
	s_waitcnt vmcnt(0)
	v_mul_lo_u32 v3, v35, v7
	v_mul_lo_u32 v4, v6, v4
	v_mad_u64_u32 v[10:11], s[28:29], v6, v7, 0
	v_add3_u32 v11, v11, v4, v3
.LBB2_2356:                             ;   in Loop: Header=BB2_2331 Depth=2
	s_or_b64 exec, exec, s[42:43]
	v_cmp_eq_u32_e32 vcc, 0, v1
	v_mov_b32_e32 v1, 0x90
	v_mov_b32_e32 v3, 0xd0
	v_cndmask_b32_e32 v1, v3, v1, vcc
	buffer_load_dword v3, off, s[0:3], s33 offset:72 ; 4-byte Folded Reload
	buffer_load_dword v4, off, s[0:3], s33 offset:76 ; 4-byte Folded Reload
	v_add_u32_e32 v1, v0, v1
	s_waitcnt vmcnt(0)
	v_add_co_u32_e32 v6, vcc, v3, v10
	v_addc_co_u32_e32 v7, vcc, v4, v11, vcc
	ds_write_b64 v1, v[6:7] offset:584
	v_and_b32_e32 v1, 0x2000, v20
	v_cmp_ne_u32_e32 vcc, 0, v1
	s_and_saveexec_b64 s[28:29], vcc
	s_cbranch_execz .LBB2_2358
; %bb.2357:                             ;   in Loop: Header=BB2_2331 Depth=2
	ds_read_b64 v[6:7], v0 offset:872
	s_waitcnt lgkmcnt(0)
	v_add_co_u32_e32 v6, vcc, 1, v6
	v_addc_co_u32_e32 v7, vcc, 0, v7, vcc
	ds_write_b64 v0, v[6:7] offset:872
.LBB2_2358:                             ;   in Loop: Header=BB2_2331 Depth=2
	s_or_b64 exec, exec, s[28:29]
	v_mov_b32_e32 v51, v9
	v_mov_b32_e32 v50, v8
.LBB2_2359:                             ;   in Loop: Header=BB2_2331 Depth=2
	s_or_b64 exec, exec, s[40:41]
	s_and_saveexec_b64 s[28:29], s[12:13]
	s_cbranch_execz .LBB2_2378
; %bb.2360:                             ;   in Loop: Header=BB2_2331 Depth=2
	s_and_saveexec_b64 s[40:41], s[72:73]
	s_xor_b64 s[40:41], exec, s[40:41]
	s_cbranch_execz .LBB2_2375
; %bb.2361:                             ;   in Loop: Header=BB2_2331 Depth=2
	s_and_saveexec_b64 s[42:43], s[6:7]
	s_cbranch_execz .LBB2_2374
; %bb.2362:                             ;   in Loop: Header=BB2_2331 Depth=2
	s_mov_b64 s[46:47], exec
	v_mbcnt_lo_u32_b32 v1, s46, 0
	v_mbcnt_hi_u32_b32 v1, s47, v1
	v_cmp_eq_u32_e32 vcc, 0, v1
	s_waitcnt vmcnt(0) lgkmcnt(0)
	buffer_wbinvl1_vol
	s_and_saveexec_b64 s[44:45], vcc
	s_cbranch_execz .LBB2_2364
; %bb.2363:                             ;   in Loop: Header=BB2_2331 Depth=2
	s_bcnt1_i32_b64 s9, s[46:47]
	v_mov_b32_e32 v34, s9
	ds_add_u64 v0, v[34:35]
	s_trap 2
.LBB2_2364:                             ;   in Loop: Header=BB2_2331 Depth=2
	s_or_b64 exec, exec, s[44:45]
	s_trap 2
	ds_read_b64 v[6:7], v0
	s_waitcnt lgkmcnt(0)
	v_add_co_u32_e32 v32, vcc, v32, v17
	v_addc_co_u32_e32 v33, vcc, 0, v33, vcc
	v_cmp_lt_u64_e32 vcc, v[6:7], v[32:33]
	s_and_saveexec_b64 s[44:45], vcc
	s_cbranch_execz .LBB2_2373
; %bb.2365:                             ;   in Loop: Header=BB2_2331 Depth=2
	s_mov_b32 s9, 0
	s_mov_b64 s[46:47], 0
                                        ; implicit-def: $sgpr38_sgpr39
                                        ; implicit-def: $sgpr48_sgpr49
	s_branch .LBB2_2367
.LBB2_2366:                             ;   in Loop: Header=BB2_2367 Depth=3
	s_or_b64 exec, exec, s[52:53]
	s_and_b64 vcc, exec, vcc
	s_or_b64 s[46:47], vcc, s[46:47]
	s_andn2_b64 vcc, s[38:39], exec
	s_and_b64 s[38:39], s[48:49], exec
	s_or_b64 s[38:39], vcc, s[38:39]
	s_andn2_b64 exec, exec, s[46:47]
	s_cbranch_execz .LBB2_2371
.LBB2_2367:                             ;   Parent Loop BB2_47 Depth=1
                                        ;     Parent Loop BB2_2331 Depth=2
                                        ; =>    This Inner Loop Header: Depth=3
	s_add_i32 s9, s9, 1
	s_cmpk_lg_i32 s9, 0x2710
	s_cselect_b64 s[50:51], -1, 0
	s_and_b64 vcc, exec, s[50:51]
	s_cbranch_vccz .LBB2_2369
; %bb.2368:                             ;   in Loop: Header=BB2_2367 Depth=3
	s_mov_b64 vcc, -1
	s_or_b64 s[48:49], s[48:49], exec
	s_and_saveexec_b64 s[52:53], s[50:51]
	s_cbranch_execz .LBB2_2366
	s_branch .LBB2_2370
.LBB2_2369:                             ;   in Loop: Header=BB2_2367 Depth=3
	s_trap 2
	ds_read_b64 v[6:7], v0
	s_andn2_b64 s[50:51], s[50:51], exec
	s_mov_b32 s9, 0
	s_waitcnt lgkmcnt(0)
	flat_load_dword v1, v[6:7] glc
	s_waitcnt vmcnt(0) lgkmcnt(0)
	buffer_wbinvl1_vol
	v_cmp_eq_u32_e32 vcc, 0, v1
	s_and_b64 vcc, vcc, exec
	s_or_b64 s[50:51], s[50:51], vcc
	s_mov_b64 vcc, -1
	s_or_b64 s[48:49], s[48:49], exec
	s_and_saveexec_b64 s[52:53], s[50:51]
	s_cbranch_execz .LBB2_2366
.LBB2_2370:                             ;   in Loop: Header=BB2_2367 Depth=3
	s_sleep 1
	s_trap 2
	ds_read_b64 v[6:7], v0
	s_waitcnt lgkmcnt(0)
	s_andn2_b64 s[48:49], s[48:49], exec
	v_cmp_ge_u64_e32 vcc, v[6:7], v[32:33]
	s_orn2_b64 vcc, vcc, exec
	s_branch .LBB2_2366
.LBB2_2371:                             ;   in Loop: Header=BB2_2331 Depth=2
	s_or_b64 exec, exec, s[46:47]
	s_and_saveexec_b64 s[46:47], s[38:39]
	s_xor_b64 s[46:47], exec, s[46:47]
	s_cbranch_execz .LBB2_2373
; %bb.2372:                             ;   in Loop: Header=BB2_2331 Depth=2
	v_mov_b32_e32 v1, 1
	ds_write_b32 v0, v1
	s_trap 2
.LBB2_2373:                             ;   in Loop: Header=BB2_2331 Depth=2
	s_or_b64 exec, exec, s[44:45]
	;;#ASMSTART
	s_wakeup
	;;#ASMEND
.LBB2_2374:                             ;   in Loop: Header=BB2_2331 Depth=2
	s_or_b64 exec, exec, s[42:43]
.LBB2_2375:                             ;   in Loop: Header=BB2_2331 Depth=2
	s_andn2_saveexec_b64 s[40:41], s[40:41]
	s_cbranch_execz .LBB2_2377
; %bb.2376:                             ;   in Loop: Header=BB2_2331 Depth=2
	s_waitcnt vmcnt(0) lgkmcnt(0)
	buffer_wbinvl1_vol
	s_barrier
.LBB2_2377:                             ;   in Loop: Header=BB2_2331 Depth=2
	s_or_b64 exec, exec, s[40:41]
.LBB2_2378:                             ;   in Loop: Header=BB2_2331 Depth=2
	s_or_b64 exec, exec, s[28:29]
	s_trap 2
	ds_read_b32 v1, v0
	v_and_b32_e32 v3, 0x4000, v20
	v_cmp_ne_u32_e32 vcc, 0, v3
	s_xor_b64 s[28:29], s[10:11], -1
	s_and_b64 s[40:41], s[28:29], vcc
	s_and_saveexec_b64 s[28:29], s[40:41]
	s_cbranch_execz .LBB2_2397
; %bb.2379:                             ;   in Loop: Header=BB2_2331 Depth=2
	s_and_saveexec_b64 s[40:41], s[72:73]
	s_xor_b64 s[40:41], exec, s[40:41]
	s_cbranch_execz .LBB2_2394
; %bb.2380:                             ;   in Loop: Header=BB2_2331 Depth=2
	s_and_saveexec_b64 s[42:43], s[6:7]
	s_cbranch_execz .LBB2_2393
; %bb.2381:                             ;   in Loop: Header=BB2_2331 Depth=2
	s_mov_b64 s[46:47], exec
	v_mbcnt_lo_u32_b32 v3, s46, 0
	v_mbcnt_hi_u32_b32 v3, s47, v3
	v_cmp_eq_u32_e32 vcc, 0, v3
	s_waitcnt vmcnt(0) lgkmcnt(0)
	buffer_wbinvl1_vol
	s_and_saveexec_b64 s[44:45], vcc
	s_cbranch_execz .LBB2_2383
; %bb.2382:                             ;   in Loop: Header=BB2_2331 Depth=2
	s_bcnt1_i32_b64 s9, s[46:47]
	v_mov_b32_e32 v34, s9
	ds_add_u64 v0, v[34:35]
	s_trap 2
.LBB2_2383:                             ;   in Loop: Header=BB2_2331 Depth=2
	s_or_b64 exec, exec, s[44:45]
	s_trap 2
	ds_read_b64 v[6:7], v0
	s_waitcnt lgkmcnt(0)
	v_add_co_u32_e32 v32, vcc, v32, v17
	v_addc_co_u32_e32 v33, vcc, 0, v33, vcc
	v_cmp_lt_u64_e32 vcc, v[6:7], v[32:33]
	s_and_saveexec_b64 s[44:45], vcc
	s_cbranch_execz .LBB2_2392
; %bb.2384:                             ;   in Loop: Header=BB2_2331 Depth=2
	s_mov_b32 s9, 0
	s_mov_b64 s[46:47], 0
                                        ; implicit-def: $sgpr38_sgpr39
                                        ; implicit-def: $sgpr48_sgpr49
	s_branch .LBB2_2386
.LBB2_2385:                             ;   in Loop: Header=BB2_2386 Depth=3
	s_or_b64 exec, exec, s[52:53]
	s_and_b64 vcc, exec, vcc
	s_or_b64 s[46:47], vcc, s[46:47]
	s_andn2_b64 vcc, s[38:39], exec
	s_and_b64 s[38:39], s[48:49], exec
	s_or_b64 s[38:39], vcc, s[38:39]
	s_andn2_b64 exec, exec, s[46:47]
	s_cbranch_execz .LBB2_2390
.LBB2_2386:                             ;   Parent Loop BB2_47 Depth=1
                                        ;     Parent Loop BB2_2331 Depth=2
                                        ; =>    This Inner Loop Header: Depth=3
	s_add_i32 s9, s9, 1
	s_cmpk_lg_i32 s9, 0x2710
	s_cselect_b64 s[50:51], -1, 0
	s_and_b64 vcc, exec, s[50:51]
	s_cbranch_vccz .LBB2_2388
; %bb.2387:                             ;   in Loop: Header=BB2_2386 Depth=3
	s_mov_b64 vcc, -1
	s_or_b64 s[48:49], s[48:49], exec
	s_and_saveexec_b64 s[52:53], s[50:51]
	s_cbranch_execz .LBB2_2385
	s_branch .LBB2_2389
.LBB2_2388:                             ;   in Loop: Header=BB2_2386 Depth=3
	s_trap 2
	ds_read_b64 v[6:7], v0
	s_andn2_b64 s[50:51], s[50:51], exec
	s_mov_b32 s9, 0
	s_waitcnt lgkmcnt(0)
	flat_load_dword v3, v[6:7] glc
	s_waitcnt vmcnt(0) lgkmcnt(0)
	buffer_wbinvl1_vol
	v_cmp_eq_u32_e32 vcc, 0, v3
	s_and_b64 vcc, vcc, exec
	s_or_b64 s[50:51], s[50:51], vcc
	s_mov_b64 vcc, -1
	s_or_b64 s[48:49], s[48:49], exec
	s_and_saveexec_b64 s[52:53], s[50:51]
	s_cbranch_execz .LBB2_2385
.LBB2_2389:                             ;   in Loop: Header=BB2_2386 Depth=3
	s_sleep 1
	s_trap 2
	ds_read_b64 v[6:7], v0
	s_waitcnt lgkmcnt(0)
	s_andn2_b64 s[48:49], s[48:49], exec
	v_cmp_ge_u64_e32 vcc, v[6:7], v[32:33]
	s_orn2_b64 vcc, vcc, exec
	s_branch .LBB2_2385
.LBB2_2390:                             ;   in Loop: Header=BB2_2331 Depth=2
	s_or_b64 exec, exec, s[46:47]
	s_and_saveexec_b64 s[46:47], s[38:39]
	s_xor_b64 s[46:47], exec, s[46:47]
	s_cbranch_execz .LBB2_2392
; %bb.2391:                             ;   in Loop: Header=BB2_2331 Depth=2
	v_mov_b32_e32 v3, 1
	ds_write_b32 v0, v3
	s_trap 2
.LBB2_2392:                             ;   in Loop: Header=BB2_2331 Depth=2
	s_or_b64 exec, exec, s[44:45]
	;;#ASMSTART
	s_wakeup
	;;#ASMEND
.LBB2_2393:                             ;   in Loop: Header=BB2_2331 Depth=2
	s_or_b64 exec, exec, s[42:43]
.LBB2_2394:                             ;   in Loop: Header=BB2_2331 Depth=2
	s_andn2_saveexec_b64 s[40:41], s[40:41]
	s_cbranch_execz .LBB2_2396
; %bb.2395:                             ;   in Loop: Header=BB2_2331 Depth=2
	s_waitcnt vmcnt(0) lgkmcnt(0)
	buffer_wbinvl1_vol
	s_barrier
.LBB2_2396:                             ;   in Loop: Header=BB2_2331 Depth=2
	s_or_b64 exec, exec, s[40:41]
.LBB2_2397:                             ;   in Loop: Header=BB2_2331 Depth=2
	s_or_b64 exec, exec, s[28:29]
	s_trap 2
	ds_read_b64 v[6:7], v0
	s_waitcnt lgkmcnt(0)
	buffer_store_dword v6, off, s[0:3], s33 offset:156 ; 4-byte Folded Spill
	s_nop 0
	buffer_store_dword v7, off, s[0:3], s33 offset:160 ; 4-byte Folded Spill
	v_cmp_eq_u64_e32 vcc, 0, v[6:7]
	s_cbranch_vccnz .LBB2_2406
; %bb.2398:                             ;   in Loop: Header=BB2_2331 Depth=2
	s_trap 2
	ds_read_b64 v[6:7], v0
	s_waitcnt lgkmcnt(0)
	buffer_store_dword v6, off, s[0:3], s33 offset:172 ; 4-byte Folded Spill
	s_nop 0
	buffer_store_dword v7, off, s[0:3], s33 offset:176 ; 4-byte Folded Spill
	v_cmp_eq_u64_e32 vcc, 0, v[6:7]
	s_cbranch_vccnz .LBB2_2406
; %bb.2399:                             ;   in Loop: Header=BB2_2331 Depth=2
	v_cmp_eq_u32_e32 vcc, 0, v1
	v_cndmask_b32_e32 v1, 0, v54, vcc
	buffer_store_dword v1, off, s[0:3], s33 offset:152 ; 4-byte Folded Spill
	s_trap 2
	ds_read_b64 v[44:45], v0
	s_mov_b64 s[28:29], -1
	s_waitcnt lgkmcnt(0)
	v_cmp_ne_u64_e32 vcc, 0, v[44:45]
	v_readfirstlane_b32 s70, v44
	s_cbranch_vccz .LBB2_4273
; %bb.2400:                             ;   in Loop: Header=BB2_2331 Depth=2
	s_and_saveexec_b64 s[40:41], s[24:25]
	s_cbranch_execz .LBB2_2402
; %bb.2401:                             ;   in Loop: Header=BB2_2331 Depth=2
	ds_read_b32 v1, v0 offset:720
	s_waitcnt lgkmcnt(0)
	v_and_b32_e32 v1, 15, v1
	v_cmp_eq_u32_e32 vcc, 0, v1
	s_orn2_b64 s[28:29], vcc, exec
.LBB2_2402:                             ;   in Loop: Header=BB2_2331 Depth=2
	s_or_b64 exec, exec, s[40:41]
	s_and_saveexec_b64 s[40:41], s[24:25]
	s_cbranch_execz .LBB2_2404
; %bb.2403:                             ;   in Loop: Header=BB2_2331 Depth=2
	ds_read_b32 v1, v0 offset:784
	s_waitcnt lgkmcnt(0)
	v_and_b32_e32 v1, 15, v1
	v_cmp_eq_u32_e32 vcc, 0, v1
	s_and_b64 s[42:43], s[28:29], vcc
	s_andn2_b64 s[28:29], s[28:29], exec
	s_and_b64 s[42:43], s[42:43], exec
	s_or_b64 s[28:29], s[28:29], s[42:43]
.LBB2_2404:                             ;   in Loop: Header=BB2_2331 Depth=2
	s_or_b64 exec, exec, s[40:41]
	buffer_load_dword v7, off, s[0:3], s33 offset:152 ; 4-byte Folded Reload
	buffer_load_dword v16, off, s[0:3], s33 offset:128 ; 4-byte Folded Reload
	s_xor_b64 s[28:29], s[28:29], -1
	v_cndmask_b32_e64 v1, 0, 1, s[28:29]
	s_mov_b64 s[40:41], -1
	v_mov_b32_e32 v6, 0
	v_cmp_ne_u32_e32 vcc, 0, v1
	s_cbranch_vccz .LBB2_2407
; %bb.2405:                             ;   in Loop: Header=BB2_2331 Depth=2
	s_and_saveexec_b64 s[44:45], s[40:41]
	s_cbranch_execz .LBB2_4272
	s_branch .LBB2_3830
.LBB2_2406:                             ;   in Loop: Header=BB2_2331 Depth=2
	s_mov_b64 s[28:29], 0
	s_and_saveexec_b64 s[40:41], s[12:13]
	s_cbranch_execnz .LBB2_6141
	s_branch .LBB2_6159
.LBB2_2407:                             ;   in Loop: Header=BB2_2331 Depth=2
	buffer_load_dword v1, off, s[0:3], s33 offset:140 ; 4-byte Folded Reload
	buffer_load_dword v4, off, s[0:3], s33 offset:152 ; 4-byte Folded Reload
	s_waitcnt vmcnt(0)
	v_sub_u32_e32 v37, v4, v1
	v_ashrrev_i32_e32 v1, 31, v4
	v_lshrrev_b32_e32 v1, 22, v1
	v_add_u32_e32 v1, v4, v1
	v_ashrrev_i32_e32 v3, 10, v1
	v_and_b32_e32 v9, 0xfffffc00, v1
	buffer_load_dword v1, off, s[0:3], s33 offset:144 ; 4-byte Folded Reload
	v_sub_u32_e32 v4, v4, v9
	v_cmp_lt_i32_e64 s[28:29], 15, v4
	s_waitcnt vmcnt(0)
	v_sub_u32_e32 v1, v3, v1
	v_addc_co_u32_e64 v53, vcc, 0, v1, s[28:29]
	v_cmp_lt_i32_e32 vcc, 15, v37
	s_and_saveexec_b64 s[38:39], vcc
	s_cbranch_execz .LBB2_3117
; %bb.2408:                             ;   in Loop: Header=BB2_2331 Depth=2
	buffer_store_dword v4, off, s[0:3], s33 offset:216 ; 4-byte Folded Spill
	buffer_store_dword v9, off, s[0:3], s33 offset:212 ; 4-byte Folded Spill
	buffer_load_dword v6, off, s[0:3], s33 offset:172 ; 4-byte Folded Reload
	buffer_load_dword v7, off, s[0:3], s33 offset:176 ; 4-byte Folded Reload
	;; [unrolled: 1-line block ×3, first 2 shown]
	s_trap 2
	s_bitcmp1_b32 s70, 0
	s_mov_b64 s[48:49], 0
	s_cselect_b64 s[50:51], -1, 0
	s_waitcnt vmcnt(0)
	v_add_co_u32_e32 v40, vcc, v6, v1
	v_addc_co_u32_e32 v41, vcc, 0, v7, vcc
	ds_read_b64 v[6:7], v0
	buffer_load_dword v8, off, s[0:3], s33 offset:156 ; 4-byte Folded Reload
	buffer_load_dword v9, off, s[0:3], s33 offset:160 ; 4-byte Folded Reload
	v_add_co_u32_e32 v61, vcc, v44, v1
	v_addc_co_u32_e32 v38, vcc, 0, v45, vcc
	s_waitcnt vmcnt(1)
	v_add_co_u32_e32 v46, vcc, v8, v1
	s_waitcnt vmcnt(0)
	v_addc_co_u32_e32 v47, vcc, 0, v9, vcc
	s_waitcnt lgkmcnt(0)
	v_add_co_u32_e32 v55, vcc, v6, v1
	v_addc_co_u32_e32 v56, vcc, 0, v7, vcc
.LBB2_2409:                             ;   Parent Loop BB2_47 Depth=1
                                        ;     Parent Loop BB2_2331 Depth=2
                                        ; =>    This Loop Header: Depth=3
                                        ;         Child Loop BB2_3066 Depth 4
	global_load_dwordx4 v[8:11], v[46:47], off glc slc
	global_load_dwordx4 v[12:15], v[55:56], off glc slc
	s_mov_b64 s[44:45], -1
	s_waitcnt vmcnt(1)
	v_cmp_ne_u16_sdwa s[42:43], v8, v35 src0_sel:BYTE_0 src1_sel:DWORD
	s_waitcnt vmcnt(0)
	v_and_b32_e32 v1, 7, v12
	v_ffbh_u32_e32 v1, v1
	v_and_b32_e32 v3, 0x7f, v12
	v_min_u32_e32 v1, 32, v1
	v_cmp_eq_u32_e64 s[40:41], s97, v3
	v_cmp_gt_u32_e32 vcc, 8, v3
	v_subrev_u32_e32 v3, 28, v1
	v_cndmask_b32_e32 v3, 0, v3, vcc
	v_lshlrev_b64 v[6:7], v3, v[12:13]
	v_bfe_u32 v4, v12, 3, 4
	v_sub_u32_e32 v1, 29, v1
	v_cndmask_b32_e32 v1, v4, v1, vcc
	v_lshlrev_b32_e32 v3, 20, v6
	v_lshlrev_b32_e32 v4, 24, v12
	v_and_b32_e32 v3, 0x700000, v3
	v_and_b32_e32 v4, 0x80000000, v4
	v_lshl_add_u32 v1, v1, 23, v48
	v_or3_b32 v1, v4, v1, v3
	s_and_b64 vcc, exec, s[50:51]
                                        ; implicit-def: $vgpr7
	s_cbranch_vccz .LBB2_2423
; %bb.2410:                             ;   in Loop: Header=BB2_2409 Depth=3
	v_mov_b32_e32 v6, 0
	s_and_saveexec_b64 s[44:45], s[42:43]
	s_cbranch_execz .LBB2_2416
; %bb.2411:                             ;   in Loop: Header=BB2_2409 Depth=3
	v_cmp_ne_u16_sdwa vcc, v8, s59 src0_sel:BYTE_0 src1_sel:DWORD
	v_bfrev_b32_e32 v6, 1
	s_and_saveexec_b64 s[46:47], vcc
	s_cbranch_execz .LBB2_2415
; %bb.2412:                             ;   in Loop: Header=BB2_2409 Depth=3
	v_and_b32_e32 v7, 0x7f, v8
	v_cmp_ne_u32_e32 vcc, s97, v7
	v_mov_b32_e32 v6, 0x7f800001
	s_and_saveexec_b64 s[52:53], vcc
	s_cbranch_execz .LBB2_2414
; %bb.2413:                             ;   in Loop: Header=BB2_2409 Depth=3
	v_and_b32_e32 v3, 7, v8
	v_ffbh_u32_e32 v3, v3
	v_min_u32_e32 v3, 32, v3
	v_lshrrev_b32_e32 v4, 3, v7
	v_cmp_gt_u32_e32 vcc, 8, v7
	v_subrev_u32_e32 v6, 28, v3
	v_sub_u32_e32 v3, 29, v3
	v_cndmask_b32_e32 v3, v4, v3, vcc
	v_cndmask_b32_e32 v4, 0, v6, vcc
	v_lshlrev_b64 v[6:7], v4, v[8:9]
	v_lshl_add_u32 v3, v3, 23, v48
	v_lshlrev_b32_e32 v4, 20, v6
	v_lshlrev_b32_e32 v6, 24, v8
	v_and_b32_e32 v4, 0x700000, v4
	v_and_b32_e32 v6, 0x80000000, v6
	v_or3_b32 v6, v6, v3, v4
.LBB2_2414:                             ;   in Loop: Header=BB2_2409 Depth=3
	s_or_b64 exec, exec, s[52:53]
.LBB2_2415:                             ;   in Loop: Header=BB2_2409 Depth=3
	s_or_b64 exec, exec, s[46:47]
.LBB2_2416:                             ;   in Loop: Header=BB2_2409 Depth=3
	s_or_b64 exec, exec, s[44:45]
	v_cmp_gt_i16_sdwa s[46:47], v12, s97 src0_sel:BYTE_0 src1_sel:DWORD
	s_mov_b64 s[44:45], 0
	s_and_saveexec_b64 vcc, s[46:47]
	s_xor_b64 s[46:47], exec, vcc
	s_cbranch_execz .LBB2_3068
; %bb.2417:                             ;   in Loop: Header=BB2_2409 Depth=3
	v_cmp_eq_u16_sdwa s[52:53], v12, s59 src0_sel:BYTE_0 src1_sel:DWORD
	s_mov_b64 s[44:45], -1
	s_and_saveexec_b64 vcc, s[52:53]
; %bb.2418:                             ;   in Loop: Header=BB2_2409 Depth=3
	s_xor_b64 s[44:45], exec, -1
; %bb.2419:                             ;   in Loop: Header=BB2_2409 Depth=3
	s_or_b64 exec, exec, vcc
	s_and_b64 s[44:45], s[44:45], exec
	s_or_saveexec_b64 s[46:47], s[46:47]
	v_bfrev_b32_e32 v7, 1
	s_xor_b64 exec, exec, s[46:47]
	s_cbranch_execnz .LBB2_3069
.LBB2_2420:                             ;   in Loop: Header=BB2_2409 Depth=3
	s_or_b64 exec, exec, s[46:47]
	s_and_saveexec_b64 s[46:47], s[44:45]
.LBB2_2421:                             ;   in Loop: Header=BB2_2409 Depth=3
	v_cndmask_b32_e64 v7, v1, v49, s[40:41]
.LBB2_2422:                             ;   in Loop: Header=BB2_2409 Depth=3
	s_or_b64 exec, exec, s[46:47]
	v_max_f32_e32 v3, v7, v7
	v_max_f32_e32 v4, v6, v6
	v_max_f32_e32 v7, v4, v3
	s_mov_b64 s[44:45], 0
.LBB2_2423:                             ;   in Loop: Header=BB2_2409 Depth=3
	s_and_b64 vcc, exec, s[44:45]
	s_cbranch_vccz .LBB2_2437
; %bb.2424:                             ;   in Loop: Header=BB2_2409 Depth=3
	v_mov_b32_e32 v6, 0
	s_and_saveexec_b64 s[44:45], s[42:43]
	s_cbranch_execz .LBB2_2430
; %bb.2425:                             ;   in Loop: Header=BB2_2409 Depth=3
	v_cmp_ne_u16_sdwa s[46:47], v8, s59 src0_sel:BYTE_0 src1_sel:DWORD
	v_bfrev_b32_e32 v6, 1
	s_and_saveexec_b64 s[42:43], s[46:47]
	s_cbranch_execz .LBB2_2429
; %bb.2426:                             ;   in Loop: Header=BB2_2409 Depth=3
	v_and_b32_e32 v7, 0x7f, v8
	v_cmp_ne_u32_e32 vcc, s97, v7
	v_mov_b32_e32 v6, 0x7f800001
	s_and_saveexec_b64 s[46:47], vcc
	s_cbranch_execz .LBB2_2428
; %bb.2427:                             ;   in Loop: Header=BB2_2409 Depth=3
	v_and_b32_e32 v3, 7, v8
	v_ffbh_u32_e32 v3, v3
	v_min_u32_e32 v3, 32, v3
	v_lshrrev_b32_e32 v4, 3, v7
	v_cmp_gt_u32_e32 vcc, 8, v7
	v_subrev_u32_e32 v6, 28, v3
	v_sub_u32_e32 v3, 29, v3
	v_cndmask_b32_e32 v3, v4, v3, vcc
	v_cndmask_b32_e32 v4, 0, v6, vcc
	v_lshlrev_b64 v[6:7], v4, v[8:9]
	v_lshl_add_u32 v3, v3, 23, v48
	v_lshlrev_b32_e32 v4, 20, v6
	v_lshlrev_b32_e32 v6, 24, v8
	v_and_b32_e32 v4, 0x700000, v4
	v_and_b32_e32 v6, 0x80000000, v6
	v_or3_b32 v6, v6, v3, v4
.LBB2_2428:                             ;   in Loop: Header=BB2_2409 Depth=3
	s_or_b64 exec, exec, s[46:47]
.LBB2_2429:                             ;   in Loop: Header=BB2_2409 Depth=3
	s_or_b64 exec, exec, s[42:43]
.LBB2_2430:                             ;   in Loop: Header=BB2_2409 Depth=3
	s_or_b64 exec, exec, s[44:45]
	v_cmp_gt_i16_sdwa s[44:45], v12, s97 src0_sel:BYTE_0 src1_sel:DWORD
	s_mov_b64 s[42:43], 0
	s_and_saveexec_b64 s[46:47], s[44:45]
	s_xor_b64 s[44:45], exec, s[46:47]
	s_cbranch_execz .LBB2_3070
; %bb.2431:                             ;   in Loop: Header=BB2_2409 Depth=3
	v_cmp_eq_u16_sdwa vcc, v12, s59 src0_sel:BYTE_0 src1_sel:DWORD
	s_mov_b64 s[42:43], -1
	s_and_saveexec_b64 s[46:47], vcc
; %bb.2432:                             ;   in Loop: Header=BB2_2409 Depth=3
	s_xor_b64 s[42:43], exec, -1
; %bb.2433:                             ;   in Loop: Header=BB2_2409 Depth=3
	s_or_b64 exec, exec, s[46:47]
	s_and_b64 s[42:43], s[42:43], exec
	s_or_saveexec_b64 s[44:45], s[44:45]
	v_bfrev_b32_e32 v7, 1
	s_xor_b64 exec, exec, s[44:45]
	s_cbranch_execnz .LBB2_3071
.LBB2_2434:                             ;   in Loop: Header=BB2_2409 Depth=3
	s_or_b64 exec, exec, s[44:45]
	s_and_saveexec_b64 s[44:45], s[42:43]
.LBB2_2435:                             ;   in Loop: Header=BB2_2409 Depth=3
	v_cndmask_b32_e64 v7, v1, v49, s[40:41]
.LBB2_2436:                             ;   in Loop: Header=BB2_2409 Depth=3
	s_or_b64 exec, exec, s[44:45]
	v_max_f32_e32 v1, v7, v7
	v_max_f32_e32 v3, v6, v6
	v_min_f32_e32 v7, v3, v1
.LBB2_2437:                             ;   in Loop: Header=BB2_2409 Depth=3
	v_and_b32_e32 v34, 0x7f800000, v7
	v_cmp_ne_u64_e32 vcc, s[90:91], v[34:35]
                                        ; implicit-def: $vgpr6
	s_and_saveexec_b64 s[40:41], vcc
	s_xor_b64 s[42:43], exec, s[40:41]
	s_cbranch_execz .LBB2_2451
; %bb.2438:                             ;   in Loop: Header=BB2_2409 Depth=3
	v_and_b32_e32 v34, 0x7fffffff, v7
	v_cmp_gt_u64_e32 vcc, s[92:93], v[34:35]
	v_and_b32_sdwa v1, v7, s59 dst_sel:DWORD dst_unused:UNUSED_PAD src0_sel:BYTE_3 src1_sel:DWORD
                                        ; implicit-def: $vgpr6
	s_and_saveexec_b64 s[40:41], vcc
	s_xor_b64 s[44:45], exec, s[40:41]
	s_cbranch_execz .LBB2_2448
; %bb.2439:                             ;   in Loop: Header=BB2_2409 Depth=3
	v_mov_b32_e32 v6, 0
	v_cmp_ne_u32_e32 vcc, 0, v7
	s_and_saveexec_b64 s[46:47], vcc
	s_cbranch_execz .LBB2_2447
; %bb.2440:                             ;   in Loop: Header=BB2_2409 Depth=3
	v_bfe_u32 v6, v7, 23, 8
	v_cmp_gt_u32_e64 s[40:41], s56, v6
	v_sub_u32_e32 v4, 0x79, v6
	v_and_b32_e32 v3, 0x7fffff, v7
	v_cmp_eq_u32_e32 vcc, 0, v6
	v_cndmask_b32_e64 v4, 0, v4, s[40:41]
	v_mov_b32_e32 v7, 0x78
	v_or_b32_e32 v16, 0x800000, v3
	v_cndmask_b32_e32 v7, v4, v7, vcc
	v_cndmask_b32_e32 v34, v16, v3, vcc
	v_add_u32_e32 v3, 20, v7
	v_lshlrev_b64 v[24:25], v3, -1
	v_add_u32_e32 v3, 19, v7
	v_lshlrev_b64 v[26:27], v3, 1
	v_lshrrev_b64 v[57:58], v7, v[34:35]
	v_bfi_b32 v25, v25, 0, 0
	v_bfi_b32 v24, v24, 0, v34
	v_cmp_eq_u64_e64 s[40:41], v[24:25], v[26:27]
	v_mov_b32_e32 v59, v58
	v_mov_b32_e32 v58, v57
	s_and_saveexec_b64 s[52:53], s[40:41]
; %bb.2441:                             ;   in Loop: Header=BB2_2409 Depth=3
	v_bfe_u32 v3, v57, 20, 1
	v_add_co_u32_e64 v3, s[40:41], v57, v3
	v_add_co_u32_e64 v58, s[40:41], -1, v3
; %bb.2442:                             ;   in Loop: Header=BB2_2409 Depth=3
	s_or_b64 exec, exec, s[52:53]
	v_add_u32_e32 v3, 0xffffff81, v6
	v_cndmask_b32_e32 v3, v3, v52, vcc
	v_lshrrev_b32_e32 v4, 23, v57
	v_add3_u32 v16, v7, v3, v4
	v_add_u32_e32 v7, 6, v16
	v_and_b32_e32 v3, 0xfffff, v58
	v_add_u32_e32 v34, v3, v57
	v_cmp_ne_u32_e32 vcc, 0, v7
                                        ; implicit-def: $vgpr57_vgpr58
                                        ; implicit-def: $vgpr6
	s_and_saveexec_b64 s[40:41], vcc
	s_xor_b64 s[40:41], exec, s[40:41]
; %bb.2443:                             ;   in Loop: Header=BB2_2409 Depth=3
	v_cmp_lt_u64_e32 vcc, s[94:95], v[34:35]
	v_add_u32_e32 v3, 7, v16
	v_cndmask_b32_e32 v6, v7, v3, vcc
	v_cndmask_b32_e64 v3, 0, 1, vcc
	v_lshrrev_b64 v[57:58], v3, v[34:35]
; %bb.2444:                             ;   in Loop: Header=BB2_2409 Depth=3
	s_andn2_saveexec_b64 s[40:41], s[40:41]
; %bb.2445:                             ;   in Loop: Header=BB2_2409 Depth=3
	v_mov_b32_e32 v58, v35
	v_bfe_u32 v6, v34, 23, 1
	v_mov_b32_e32 v57, v34
; %bb.2446:                             ;   in Loop: Header=BB2_2409 Depth=3
	s_or_b64 exec, exec, s[40:41]
	v_lshrrev_b64 v[24:25], 20, v[57:58]
	v_cmp_gt_i32_e32 vcc, 16, v6
	v_cndmask_b32_e32 v25, 0, v25, vcc
	v_cndmask_b32_e32 v24, 7, v24, vcc
	v_min_i32_e32 v3, 15, v6
	v_cmp_eq_u64_e64 s[40:41], 0, v[24:25]
	v_lshlrev_b32_e32 v3, 3, v3
	v_cmp_eq_u32_e32 vcc, 0, v6
	v_and_b32_e32 v3, 0xf8, v3
	v_and_or_b32 v3, v24, 7, v3
	s_and_b64 s[40:41], vcc, s[40:41]
	v_cndmask_b32_e64 v3, v3, 0, s[40:41]
	v_or_b32_e32 v6, v3, v1
.LBB2_2447:                             ;   in Loop: Header=BB2_2409 Depth=3
	s_or_b64 exec, exec, s[46:47]
                                        ; implicit-def: $vgpr1
.LBB2_2448:                             ;   in Loop: Header=BB2_2409 Depth=3
	s_andn2_saveexec_b64 s[40:41], s[44:45]
; %bb.2449:                             ;   in Loop: Header=BB2_2409 Depth=3
	v_or_b32_e32 v6, 0x7e, v1
; %bb.2450:                             ;   in Loop: Header=BB2_2409 Depth=3
	s_or_b64 exec, exec, s[40:41]
                                        ; implicit-def: $vgpr7
.LBB2_2451:                             ;   in Loop: Header=BB2_2409 Depth=3
	s_andn2_saveexec_b64 s[40:41], s[42:43]
; %bb.2452:                             ;   in Loop: Header=BB2_2409 Depth=3
	v_or_b32_sdwa v6, v7, s97 dst_sel:DWORD dst_unused:UNUSED_PAD src0_sel:BYTE_3 src1_sel:DWORD
; %bb.2453:                             ;   in Loop: Header=BB2_2409 Depth=3
	s_or_b64 exec, exec, s[40:41]
	v_lshrrev_b16_e32 v34, 8, v12
	v_and_b32_e32 v1, 7, v34
	v_and_b32_e32 v3, 0x7f, v34
	v_cmp_eq_u32_e64 s[40:41], s97, v3
	v_cmp_gt_u32_e32 vcc, 8, v3
	v_ffbh_u32_e32 v3, v1
	v_min_u32_e32 v3, 32, v3
	v_subrev_u32_e32 v7, 28, v3
	v_lshlrev_b64 v[24:25], v7, v[34:35]
	v_bfe_u32 v4, v34, 3, 4
	v_sub_u32_e32 v3, 29, v3
	v_and_b32_e32 v7, 7, v24
	v_cndmask_b32_e32 v3, v4, v3, vcc
	v_cndmask_b32_e32 v1, v1, v7, vcc
	v_lshlrev_b32_e32 v4, 24, v34
	v_lshlrev_b32_e32 v1, 20, v1
	v_and_b32_e32 v4, 0x80000000, v4
	v_lshl_add_u32 v3, v3, 23, v48
	v_lshrrev_b16_e32 v30, 8, v8
	v_or3_b32 v1, v4, v3, v1
	v_cmp_ne_u16_e64 s[42:43], 0, v30
	s_mov_b64 s[44:45], -1
	s_and_b64 vcc, exec, s[50:51]
                                        ; implicit-def: $vgpr16
	s_cbranch_vccz .LBB2_2467
; %bb.2454:                             ;   in Loop: Header=BB2_2409 Depth=3
	v_mov_b32_e32 v7, 0
	s_and_saveexec_b64 s[44:45], s[42:43]
	s_cbranch_execz .LBB2_2460
; %bb.2455:                             ;   in Loop: Header=BB2_2409 Depth=3
	v_cmp_ne_u16_e32 vcc, s59, v30
	v_bfrev_b32_e32 v7, 1
	s_and_saveexec_b64 s[46:47], vcc
	s_cbranch_execz .LBB2_2459
; %bb.2456:                             ;   in Loop: Header=BB2_2409 Depth=3
	v_and_b32_e32 v16, 0x7f, v30
	v_cmp_ne_u32_e32 vcc, s97, v16
	v_mov_b32_e32 v7, 0x7f800001
	s_and_saveexec_b64 s[52:53], vcc
	s_cbranch_execz .LBB2_2458
; %bb.2457:                             ;   in Loop: Header=BB2_2409 Depth=3
	v_and_b32_e32 v3, 7, v30
	v_ffbh_u32_e32 v7, v3
	v_min_u32_e32 v7, 32, v7
	v_lshrrev_b32_e32 v4, 3, v16
	v_cmp_gt_u32_e32 vcc, 8, v16
	v_subrev_u32_e32 v16, 28, v7
	v_lshlrev_b64 v[24:25], v16, v[30:31]
	v_sub_u32_e32 v7, 29, v7
	v_and_b32_e32 v16, 7, v24
	v_cndmask_b32_e32 v4, v4, v7, vcc
	v_cndmask_b32_e32 v3, v3, v16, vcc
	v_lshlrev_b32_e32 v7, 16, v8
	v_lshlrev_b32_e32 v3, 20, v3
	v_and_b32_e32 v7, 0x80000000, v7
	v_lshl_add_u32 v4, v4, 23, v48
	v_or3_b32 v7, v7, v4, v3
.LBB2_2458:                             ;   in Loop: Header=BB2_2409 Depth=3
	s_or_b64 exec, exec, s[52:53]
.LBB2_2459:                             ;   in Loop: Header=BB2_2409 Depth=3
	s_or_b64 exec, exec, s[46:47]
.LBB2_2460:                             ;   in Loop: Header=BB2_2409 Depth=3
	s_or_b64 exec, exec, s[44:45]
	v_cmp_lt_i16_e32 vcc, s97, v34
	s_mov_b64 s[44:45], 0
	s_and_saveexec_b64 s[46:47], vcc
	s_xor_b64 s[46:47], exec, s[46:47]
	s_cbranch_execz .LBB2_3072
; %bb.2461:                             ;   in Loop: Header=BB2_2409 Depth=3
	v_cmp_eq_u16_e32 vcc, s59, v34
	s_mov_b64 s[44:45], -1
	s_and_saveexec_b64 s[52:53], vcc
; %bb.2462:                             ;   in Loop: Header=BB2_2409 Depth=3
	s_xor_b64 s[44:45], exec, -1
; %bb.2463:                             ;   in Loop: Header=BB2_2409 Depth=3
	s_or_b64 exec, exec, s[52:53]
	s_and_b64 s[44:45], s[44:45], exec
	s_or_saveexec_b64 s[46:47], s[46:47]
	v_bfrev_b32_e32 v16, 1
	s_xor_b64 exec, exec, s[46:47]
	s_cbranch_execnz .LBB2_3073
.LBB2_2464:                             ;   in Loop: Header=BB2_2409 Depth=3
	s_or_b64 exec, exec, s[46:47]
	s_and_saveexec_b64 s[46:47], s[44:45]
.LBB2_2465:                             ;   in Loop: Header=BB2_2409 Depth=3
	v_cndmask_b32_e64 v16, v1, v49, s[40:41]
.LBB2_2466:                             ;   in Loop: Header=BB2_2409 Depth=3
	s_or_b64 exec, exec, s[46:47]
	v_max_f32_e32 v3, v16, v16
	v_max_f32_e32 v4, v7, v7
	;; [unrolled: 1-line block ×3, first 2 shown]
	s_mov_b64 s[44:45], 0
.LBB2_2467:                             ;   in Loop: Header=BB2_2409 Depth=3
	s_and_b64 vcc, exec, s[44:45]
	s_cbranch_vccz .LBB2_2481
; %bb.2468:                             ;   in Loop: Header=BB2_2409 Depth=3
	v_mov_b32_e32 v7, 0
	s_and_saveexec_b64 s[44:45], s[42:43]
	s_cbranch_execz .LBB2_2474
; %bb.2469:                             ;   in Loop: Header=BB2_2409 Depth=3
	v_cmp_ne_u16_e32 vcc, s59, v30
	v_bfrev_b32_e32 v7, 1
	s_and_saveexec_b64 s[42:43], vcc
	s_cbranch_execz .LBB2_2473
; %bb.2470:                             ;   in Loop: Header=BB2_2409 Depth=3
	v_and_b32_e32 v16, 0x7f, v30
	v_cmp_ne_u32_e32 vcc, s97, v16
	v_mov_b32_e32 v7, 0x7f800001
	s_and_saveexec_b64 s[46:47], vcc
	s_cbranch_execz .LBB2_2472
; %bb.2471:                             ;   in Loop: Header=BB2_2409 Depth=3
	v_and_b32_e32 v3, 7, v30
	v_ffbh_u32_e32 v7, v3
	v_min_u32_e32 v7, 32, v7
	v_lshrrev_b32_e32 v4, 3, v16
	v_cmp_gt_u32_e32 vcc, 8, v16
	v_subrev_u32_e32 v16, 28, v7
	v_lshlrev_b64 v[24:25], v16, v[30:31]
	v_sub_u32_e32 v7, 29, v7
	v_and_b32_e32 v16, 7, v24
	v_cndmask_b32_e32 v4, v4, v7, vcc
	v_cndmask_b32_e32 v3, v3, v16, vcc
	v_lshlrev_b32_e32 v7, 16, v8
	v_lshlrev_b32_e32 v3, 20, v3
	v_and_b32_e32 v7, 0x80000000, v7
	v_lshl_add_u32 v4, v4, 23, v48
	v_or3_b32 v7, v7, v4, v3
.LBB2_2472:                             ;   in Loop: Header=BB2_2409 Depth=3
	s_or_b64 exec, exec, s[46:47]
.LBB2_2473:                             ;   in Loop: Header=BB2_2409 Depth=3
	s_or_b64 exec, exec, s[42:43]
.LBB2_2474:                             ;   in Loop: Header=BB2_2409 Depth=3
	s_or_b64 exec, exec, s[44:45]
	v_cmp_lt_i16_e32 vcc, s97, v34
	s_mov_b64 s[42:43], 0
	s_and_saveexec_b64 s[44:45], vcc
	s_xor_b64 s[44:45], exec, s[44:45]
	s_cbranch_execz .LBB2_3074
; %bb.2475:                             ;   in Loop: Header=BB2_2409 Depth=3
	v_cmp_eq_u16_e32 vcc, s59, v34
	s_mov_b64 s[42:43], -1
	s_and_saveexec_b64 s[46:47], vcc
; %bb.2476:                             ;   in Loop: Header=BB2_2409 Depth=3
	s_xor_b64 s[42:43], exec, -1
; %bb.2477:                             ;   in Loop: Header=BB2_2409 Depth=3
	s_or_b64 exec, exec, s[46:47]
	s_and_b64 s[42:43], s[42:43], exec
	s_or_saveexec_b64 s[44:45], s[44:45]
	v_bfrev_b32_e32 v16, 1
	s_xor_b64 exec, exec, s[44:45]
	s_cbranch_execnz .LBB2_3075
.LBB2_2478:                             ;   in Loop: Header=BB2_2409 Depth=3
	s_or_b64 exec, exec, s[44:45]
	s_and_saveexec_b64 s[44:45], s[42:43]
.LBB2_2479:                             ;   in Loop: Header=BB2_2409 Depth=3
	v_cndmask_b32_e64 v16, v1, v49, s[40:41]
.LBB2_2480:                             ;   in Loop: Header=BB2_2409 Depth=3
	s_or_b64 exec, exec, s[44:45]
	v_max_f32_e32 v1, v16, v16
	v_max_f32_e32 v3, v7, v7
	v_min_f32_e32 v16, v3, v1
.LBB2_2481:                             ;   in Loop: Header=BB2_2409 Depth=3
	v_and_b32_e32 v34, 0x7f800000, v16
	v_cmp_ne_u64_e32 vcc, s[90:91], v[34:35]
                                        ; implicit-def: $vgpr7
	s_and_saveexec_b64 s[40:41], vcc
	s_xor_b64 s[42:43], exec, s[40:41]
	s_cbranch_execz .LBB2_2495
; %bb.2482:                             ;   in Loop: Header=BB2_2409 Depth=3
	v_and_b32_e32 v34, 0x7fffffff, v16
	v_cmp_gt_u64_e32 vcc, s[92:93], v[34:35]
	v_and_b32_sdwa v1, v16, s59 dst_sel:DWORD dst_unused:UNUSED_PAD src0_sel:BYTE_3 src1_sel:DWORD
                                        ; implicit-def: $vgpr7
	s_and_saveexec_b64 s[40:41], vcc
	s_xor_b64 s[44:45], exec, s[40:41]
	s_cbranch_execz .LBB2_2492
; %bb.2483:                             ;   in Loop: Header=BB2_2409 Depth=3
	v_mov_b32_e32 v7, 0
	v_cmp_ne_u32_e32 vcc, 0, v16
	s_and_saveexec_b64 s[46:47], vcc
	s_cbranch_execz .LBB2_2491
; %bb.2484:                             ;   in Loop: Header=BB2_2409 Depth=3
	v_bfe_u32 v7, v16, 23, 8
	v_cmp_gt_u32_e64 s[40:41], s56, v7
	v_sub_u32_e32 v4, 0x79, v7
	v_and_b32_e32 v3, 0x7fffff, v16
	v_cmp_eq_u32_e32 vcc, 0, v7
	v_cndmask_b32_e64 v4, 0, v4, s[40:41]
	v_mov_b32_e32 v16, 0x78
	v_or_b32_e32 v21, 0x800000, v3
	v_cndmask_b32_e32 v16, v4, v16, vcc
	v_cndmask_b32_e32 v34, v21, v3, vcc
	v_add_u32_e32 v3, 20, v16
	v_lshlrev_b64 v[24:25], v3, -1
	v_add_u32_e32 v3, 19, v16
	v_lshlrev_b64 v[26:27], v3, 1
	v_lshrrev_b64 v[57:58], v16, v[34:35]
	v_bfi_b32 v25, v25, 0, 0
	v_bfi_b32 v24, v24, 0, v34
	v_cmp_eq_u64_e64 s[40:41], v[24:25], v[26:27]
	v_mov_b32_e32 v59, v58
	v_mov_b32_e32 v58, v57
	s_and_saveexec_b64 s[52:53], s[40:41]
; %bb.2485:                             ;   in Loop: Header=BB2_2409 Depth=3
	v_bfe_u32 v3, v57, 20, 1
	v_add_co_u32_e64 v3, s[40:41], v57, v3
	v_add_co_u32_e64 v58, s[40:41], -1, v3
; %bb.2486:                             ;   in Loop: Header=BB2_2409 Depth=3
	s_or_b64 exec, exec, s[52:53]
	v_add_u32_e32 v3, 0xffffff81, v7
	v_cndmask_b32_e32 v3, v3, v52, vcc
	v_lshrrev_b32_e32 v4, 23, v57
	v_add3_u32 v21, v16, v3, v4
	v_add_u32_e32 v16, 6, v21
	v_and_b32_e32 v3, 0xfffff, v58
	v_add_u32_e32 v34, v3, v57
	v_cmp_ne_u32_e32 vcc, 0, v16
                                        ; implicit-def: $vgpr57_vgpr58
                                        ; implicit-def: $vgpr7
	s_and_saveexec_b64 s[40:41], vcc
	s_xor_b64 s[40:41], exec, s[40:41]
; %bb.2487:                             ;   in Loop: Header=BB2_2409 Depth=3
	v_cmp_lt_u64_e32 vcc, s[94:95], v[34:35]
	v_add_u32_e32 v3, 7, v21
	v_cndmask_b32_e32 v7, v16, v3, vcc
	v_cndmask_b32_e64 v3, 0, 1, vcc
	v_lshrrev_b64 v[57:58], v3, v[34:35]
; %bb.2488:                             ;   in Loop: Header=BB2_2409 Depth=3
	s_andn2_saveexec_b64 s[40:41], s[40:41]
; %bb.2489:                             ;   in Loop: Header=BB2_2409 Depth=3
	v_mov_b32_e32 v58, v35
	v_bfe_u32 v7, v34, 23, 1
	v_mov_b32_e32 v57, v34
; %bb.2490:                             ;   in Loop: Header=BB2_2409 Depth=3
	s_or_b64 exec, exec, s[40:41]
	v_lshrrev_b64 v[24:25], 20, v[57:58]
	v_cmp_gt_i32_e32 vcc, 16, v7
	v_cndmask_b32_e32 v25, 0, v25, vcc
	v_cndmask_b32_e32 v24, 7, v24, vcc
	v_min_i32_e32 v3, 15, v7
	v_cmp_eq_u64_e64 s[40:41], 0, v[24:25]
	v_lshlrev_b32_e32 v3, 3, v3
	v_cmp_eq_u32_e32 vcc, 0, v7
	v_and_b32_e32 v3, 0xf8, v3
	v_and_or_b32 v3, v24, 7, v3
	s_and_b64 s[40:41], vcc, s[40:41]
	v_cndmask_b32_e64 v3, v3, 0, s[40:41]
	v_or_b32_e32 v7, v3, v1
.LBB2_2491:                             ;   in Loop: Header=BB2_2409 Depth=3
	s_or_b64 exec, exec, s[46:47]
                                        ; implicit-def: $vgpr1
.LBB2_2492:                             ;   in Loop: Header=BB2_2409 Depth=3
	s_andn2_saveexec_b64 s[40:41], s[44:45]
; %bb.2493:                             ;   in Loop: Header=BB2_2409 Depth=3
	v_or_b32_e32 v7, 0x7e, v1
; %bb.2494:                             ;   in Loop: Header=BB2_2409 Depth=3
	s_or_b64 exec, exec, s[40:41]
                                        ; implicit-def: $vgpr16
.LBB2_2495:                             ;   in Loop: Header=BB2_2409 Depth=3
	s_andn2_saveexec_b64 s[40:41], s[42:43]
; %bb.2496:                             ;   in Loop: Header=BB2_2409 Depth=3
	v_or_b32_sdwa v7, v16, s97 dst_sel:DWORD dst_unused:UNUSED_PAD src0_sel:BYTE_3 src1_sel:DWORD
; %bb.2497:                             ;   in Loop: Header=BB2_2409 Depth=3
	s_or_b64 exec, exec, s[40:41]
	v_bfe_u32 v1, v12, 16, 3
	v_bfe_u32 v3, v12, 16, 7
	v_cmp_eq_u32_e64 s[40:41], s97, v3
	v_cmp_gt_u32_e32 vcc, 8, v3
	v_ffbh_u32_e32 v3, v1
	v_min_u32_e32 v3, 32, v3
	v_lshrrev_b32_e32 v30, 16, v12
	v_subrev_u32_e32 v16, 28, v3
	v_lshlrev_b64 v[24:25], v16, v[30:31]
	v_bfe_u32 v4, v30, 3, 4
	v_sub_u32_e32 v3, 29, v3
	v_and_b32_e32 v16, 7, v24
	v_cndmask_b32_e32 v3, v4, v3, vcc
	v_cndmask_b32_e32 v1, v1, v16, vcc
	v_lshlrev_b32_e32 v4, 8, v12
	v_lshlrev_b32_e32 v1, 20, v1
	v_and_b32_e32 v4, 0x80000000, v4
	v_lshl_add_u32 v3, v3, 23, v48
	v_lshrrev_b32_e32 v34, 16, v8
	v_or3_b32 v1, v4, v3, v1
	v_cmp_ne_u16_sdwa s[42:43], v34, v35 src0_sel:BYTE_0 src1_sel:DWORD
	s_mov_b64 s[44:45], -1
	s_and_b64 vcc, exec, s[50:51]
                                        ; implicit-def: $vgpr21
	s_cbranch_vccz .LBB2_2511
; %bb.2498:                             ;   in Loop: Header=BB2_2409 Depth=3
	v_mov_b32_e32 v16, 0
	s_and_saveexec_b64 s[44:45], s[42:43]
	s_cbranch_execz .LBB2_2504
; %bb.2499:                             ;   in Loop: Header=BB2_2409 Depth=3
	v_cmp_ne_u16_sdwa vcc, v34, s59 src0_sel:BYTE_0 src1_sel:DWORD
	v_bfrev_b32_e32 v16, 1
	s_and_saveexec_b64 s[46:47], vcc
	s_cbranch_execz .LBB2_2503
; %bb.2500:                             ;   in Loop: Header=BB2_2409 Depth=3
	v_bfe_u32 v21, v8, 16, 7
	v_cmp_ne_u32_e32 vcc, s97, v21
	v_mov_b32_e32 v16, 0x7f800001
	s_and_saveexec_b64 s[52:53], vcc
	s_cbranch_execz .LBB2_2502
; %bb.2501:                             ;   in Loop: Header=BB2_2409 Depth=3
	v_and_b32_e32 v3, 7, v34
	v_ffbh_u32_e32 v16, v3
	v_min_u32_e32 v16, 32, v16
	v_lshrrev_b32_e32 v4, 3, v21
	v_cmp_gt_u32_e32 vcc, 8, v21
	v_subrev_u32_e32 v21, 28, v16
	v_lshlrev_b64 v[24:25], v21, v[34:35]
	v_sub_u32_e32 v16, 29, v16
	v_and_b32_e32 v21, 7, v24
	v_cndmask_b32_e32 v4, v4, v16, vcc
	v_cndmask_b32_e32 v3, v3, v21, vcc
	v_lshlrev_b32_e32 v16, 24, v34
	v_lshlrev_b32_e32 v3, 20, v3
	v_and_b32_e32 v16, 0x80000000, v16
	v_lshl_add_u32 v4, v4, 23, v48
	v_or3_b32 v16, v16, v4, v3
.LBB2_2502:                             ;   in Loop: Header=BB2_2409 Depth=3
	s_or_b64 exec, exec, s[52:53]
.LBB2_2503:                             ;   in Loop: Header=BB2_2409 Depth=3
	s_or_b64 exec, exec, s[46:47]
.LBB2_2504:                             ;   in Loop: Header=BB2_2409 Depth=3
	s_or_b64 exec, exec, s[44:45]
	v_cmp_gt_i16_sdwa s[46:47], v30, s97 src0_sel:BYTE_0 src1_sel:DWORD
	s_mov_b64 s[44:45], 0
	s_and_saveexec_b64 vcc, s[46:47]
	s_xor_b64 s[46:47], exec, vcc
	s_cbranch_execz .LBB2_3076
; %bb.2505:                             ;   in Loop: Header=BB2_2409 Depth=3
	v_cmp_eq_u16_sdwa s[52:53], v30, s59 src0_sel:BYTE_0 src1_sel:DWORD
	s_mov_b64 s[44:45], -1
	s_and_saveexec_b64 vcc, s[52:53]
; %bb.2506:                             ;   in Loop: Header=BB2_2409 Depth=3
	s_xor_b64 s[44:45], exec, -1
; %bb.2507:                             ;   in Loop: Header=BB2_2409 Depth=3
	s_or_b64 exec, exec, vcc
	s_and_b64 s[44:45], s[44:45], exec
	s_or_saveexec_b64 s[46:47], s[46:47]
	v_bfrev_b32_e32 v21, 1
	s_xor_b64 exec, exec, s[46:47]
	s_cbranch_execnz .LBB2_3077
.LBB2_2508:                             ;   in Loop: Header=BB2_2409 Depth=3
	s_or_b64 exec, exec, s[46:47]
	s_and_saveexec_b64 s[46:47], s[44:45]
.LBB2_2509:                             ;   in Loop: Header=BB2_2409 Depth=3
	v_cndmask_b32_e64 v21, v1, v49, s[40:41]
.LBB2_2510:                             ;   in Loop: Header=BB2_2409 Depth=3
	s_or_b64 exec, exec, s[46:47]
	v_max_f32_e32 v3, v21, v21
	v_max_f32_e32 v4, v16, v16
	;; [unrolled: 1-line block ×3, first 2 shown]
	s_mov_b64 s[44:45], 0
.LBB2_2511:                             ;   in Loop: Header=BB2_2409 Depth=3
	s_and_b64 vcc, exec, s[44:45]
	s_cbranch_vccz .LBB2_2525
; %bb.2512:                             ;   in Loop: Header=BB2_2409 Depth=3
	v_mov_b32_e32 v16, 0
	s_and_saveexec_b64 s[44:45], s[42:43]
	s_cbranch_execz .LBB2_2518
; %bb.2513:                             ;   in Loop: Header=BB2_2409 Depth=3
	v_cmp_ne_u16_sdwa s[46:47], v34, s59 src0_sel:BYTE_0 src1_sel:DWORD
	v_bfrev_b32_e32 v16, 1
	s_and_saveexec_b64 s[42:43], s[46:47]
	s_cbranch_execz .LBB2_2517
; %bb.2514:                             ;   in Loop: Header=BB2_2409 Depth=3
	v_bfe_u32 v21, v8, 16, 7
	v_cmp_ne_u32_e32 vcc, s97, v21
	v_mov_b32_e32 v16, 0x7f800001
	s_and_saveexec_b64 s[46:47], vcc
	s_cbranch_execz .LBB2_2516
; %bb.2515:                             ;   in Loop: Header=BB2_2409 Depth=3
	v_and_b32_e32 v3, 7, v34
	v_ffbh_u32_e32 v16, v3
	v_min_u32_e32 v16, 32, v16
	v_lshrrev_b32_e32 v4, 3, v21
	v_cmp_gt_u32_e32 vcc, 8, v21
	v_subrev_u32_e32 v21, 28, v16
	v_lshlrev_b64 v[24:25], v21, v[34:35]
	v_sub_u32_e32 v16, 29, v16
	v_and_b32_e32 v21, 7, v24
	v_cndmask_b32_e32 v4, v4, v16, vcc
	v_cndmask_b32_e32 v3, v3, v21, vcc
	v_lshlrev_b32_e32 v16, 24, v34
	v_lshlrev_b32_e32 v3, 20, v3
	v_and_b32_e32 v16, 0x80000000, v16
	v_lshl_add_u32 v4, v4, 23, v48
	v_or3_b32 v16, v16, v4, v3
.LBB2_2516:                             ;   in Loop: Header=BB2_2409 Depth=3
	s_or_b64 exec, exec, s[46:47]
.LBB2_2517:                             ;   in Loop: Header=BB2_2409 Depth=3
	s_or_b64 exec, exec, s[42:43]
.LBB2_2518:                             ;   in Loop: Header=BB2_2409 Depth=3
	s_or_b64 exec, exec, s[44:45]
	v_cmp_gt_i16_sdwa s[44:45], v30, s97 src0_sel:BYTE_0 src1_sel:DWORD
	s_mov_b64 s[42:43], 0
	s_and_saveexec_b64 s[46:47], s[44:45]
	s_xor_b64 s[44:45], exec, s[46:47]
	s_cbranch_execz .LBB2_3078
; %bb.2519:                             ;   in Loop: Header=BB2_2409 Depth=3
	v_cmp_eq_u16_sdwa vcc, v30, s59 src0_sel:BYTE_0 src1_sel:DWORD
	s_mov_b64 s[42:43], -1
	s_and_saveexec_b64 s[46:47], vcc
; %bb.2520:                             ;   in Loop: Header=BB2_2409 Depth=3
	s_xor_b64 s[42:43], exec, -1
; %bb.2521:                             ;   in Loop: Header=BB2_2409 Depth=3
	s_or_b64 exec, exec, s[46:47]
	s_and_b64 s[42:43], s[42:43], exec
                                        ; implicit-def: $vgpr30
	s_or_saveexec_b64 s[44:45], s[44:45]
	v_bfrev_b32_e32 v21, 1
	s_xor_b64 exec, exec, s[44:45]
	s_cbranch_execnz .LBB2_3079
.LBB2_2522:                             ;   in Loop: Header=BB2_2409 Depth=3
	s_or_b64 exec, exec, s[44:45]
	s_and_saveexec_b64 s[44:45], s[42:43]
.LBB2_2523:                             ;   in Loop: Header=BB2_2409 Depth=3
	v_cndmask_b32_e64 v21, v1, v49, s[40:41]
.LBB2_2524:                             ;   in Loop: Header=BB2_2409 Depth=3
	s_or_b64 exec, exec, s[44:45]
	v_max_f32_e32 v1, v21, v21
	v_max_f32_e32 v3, v16, v16
	v_min_f32_e32 v21, v3, v1
.LBB2_2525:                             ;   in Loop: Header=BB2_2409 Depth=3
	v_and_b32_e32 v34, 0x7f800000, v21
	v_cmp_ne_u64_e32 vcc, s[90:91], v[34:35]
                                        ; implicit-def: $vgpr16
	s_and_saveexec_b64 s[40:41], vcc
	s_xor_b64 s[42:43], exec, s[40:41]
	s_cbranch_execz .LBB2_2539
; %bb.2526:                             ;   in Loop: Header=BB2_2409 Depth=3
	v_and_b32_e32 v34, 0x7fffffff, v21
	v_cmp_gt_u64_e32 vcc, s[92:93], v[34:35]
	v_and_b32_sdwa v1, v21, s59 dst_sel:DWORD dst_unused:UNUSED_PAD src0_sel:BYTE_3 src1_sel:DWORD
                                        ; implicit-def: $vgpr16
	s_and_saveexec_b64 s[40:41], vcc
	s_xor_b64 s[44:45], exec, s[40:41]
	s_cbranch_execz .LBB2_2536
; %bb.2527:                             ;   in Loop: Header=BB2_2409 Depth=3
	v_mov_b32_e32 v16, 0
	v_cmp_ne_u32_e32 vcc, 0, v21
	s_and_saveexec_b64 s[46:47], vcc
	s_cbranch_execz .LBB2_2535
; %bb.2528:                             ;   in Loop: Header=BB2_2409 Depth=3
	v_bfe_u32 v16, v21, 23, 8
	v_cmp_gt_u32_e64 s[40:41], s56, v16
	v_sub_u32_e32 v4, 0x79, v16
	v_and_b32_e32 v3, 0x7fffff, v21
	v_cmp_eq_u32_e32 vcc, 0, v16
	v_cndmask_b32_e64 v4, 0, v4, s[40:41]
	v_mov_b32_e32 v21, 0x78
	v_or_b32_e32 v24, 0x800000, v3
	v_cndmask_b32_e32 v21, v4, v21, vcc
	v_cndmask_b32_e32 v34, v24, v3, vcc
	v_add_u32_e32 v3, 20, v21
	v_lshlrev_b64 v[24:25], v3, -1
	v_add_u32_e32 v3, 19, v21
	v_lshlrev_b64 v[26:27], v3, 1
	v_lshrrev_b64 v[57:58], v21, v[34:35]
	v_bfi_b32 v25, v25, 0, 0
	v_bfi_b32 v24, v24, 0, v34
	v_cmp_eq_u64_e64 s[40:41], v[24:25], v[26:27]
	v_mov_b32_e32 v59, v58
	v_mov_b32_e32 v58, v57
	s_and_saveexec_b64 s[52:53], s[40:41]
; %bb.2529:                             ;   in Loop: Header=BB2_2409 Depth=3
	v_bfe_u32 v3, v57, 20, 1
	v_add_co_u32_e64 v3, s[40:41], v57, v3
	v_add_co_u32_e64 v58, s[40:41], -1, v3
; %bb.2530:                             ;   in Loop: Header=BB2_2409 Depth=3
	s_or_b64 exec, exec, s[52:53]
	v_add_u32_e32 v3, 0xffffff81, v16
	v_cndmask_b32_e32 v3, v3, v52, vcc
	v_lshrrev_b32_e32 v4, 23, v57
	v_add3_u32 v24, v21, v3, v4
	v_add_u32_e32 v21, 6, v24
	v_and_b32_e32 v3, 0xfffff, v58
	v_add_u32_e32 v34, v3, v57
	v_cmp_ne_u32_e32 vcc, 0, v21
                                        ; implicit-def: $vgpr57_vgpr58
                                        ; implicit-def: $vgpr16
	s_and_saveexec_b64 s[40:41], vcc
	s_xor_b64 s[40:41], exec, s[40:41]
; %bb.2531:                             ;   in Loop: Header=BB2_2409 Depth=3
	v_cmp_lt_u64_e32 vcc, s[94:95], v[34:35]
	v_add_u32_e32 v3, 7, v24
	v_cndmask_b32_e32 v16, v21, v3, vcc
	v_cndmask_b32_e64 v3, 0, 1, vcc
	v_lshrrev_b64 v[57:58], v3, v[34:35]
; %bb.2532:                             ;   in Loop: Header=BB2_2409 Depth=3
	s_andn2_saveexec_b64 s[40:41], s[40:41]
; %bb.2533:                             ;   in Loop: Header=BB2_2409 Depth=3
	v_mov_b32_e32 v58, v35
	v_bfe_u32 v16, v34, 23, 1
	v_mov_b32_e32 v57, v34
; %bb.2534:                             ;   in Loop: Header=BB2_2409 Depth=3
	s_or_b64 exec, exec, s[40:41]
	v_lshrrev_b64 v[24:25], 20, v[57:58]
	v_cmp_gt_i32_e32 vcc, 16, v16
	v_cndmask_b32_e32 v25, 0, v25, vcc
	v_cndmask_b32_e32 v24, 7, v24, vcc
	v_min_i32_e32 v3, 15, v16
	v_cmp_eq_u64_e64 s[40:41], 0, v[24:25]
	v_lshlrev_b32_e32 v3, 3, v3
	v_cmp_eq_u32_e32 vcc, 0, v16
	v_and_b32_e32 v3, 0xf8, v3
	v_and_or_b32 v3, v24, 7, v3
	s_and_b64 s[40:41], vcc, s[40:41]
	v_cndmask_b32_e64 v3, v3, 0, s[40:41]
	v_or_b32_e32 v16, v3, v1
.LBB2_2535:                             ;   in Loop: Header=BB2_2409 Depth=3
	s_or_b64 exec, exec, s[46:47]
                                        ; implicit-def: $vgpr1
.LBB2_2536:                             ;   in Loop: Header=BB2_2409 Depth=3
	s_andn2_saveexec_b64 s[40:41], s[44:45]
; %bb.2537:                             ;   in Loop: Header=BB2_2409 Depth=3
	v_or_b32_e32 v16, 0x7e, v1
; %bb.2538:                             ;   in Loop: Header=BB2_2409 Depth=3
	s_or_b64 exec, exec, s[40:41]
                                        ; implicit-def: $vgpr21
.LBB2_2539:                             ;   in Loop: Header=BB2_2409 Depth=3
	s_andn2_saveexec_b64 s[40:41], s[42:43]
; %bb.2540:                             ;   in Loop: Header=BB2_2409 Depth=3
	v_or_b32_sdwa v16, v21, s97 dst_sel:DWORD dst_unused:UNUSED_PAD src0_sel:BYTE_3 src1_sel:DWORD
; %bb.2541:                             ;   in Loop: Header=BB2_2409 Depth=3
	s_or_b64 exec, exec, s[40:41]
	v_bfe_u32 v3, v12, 24, 3
	v_bfe_u32 v4, v12, 24, 7
	v_cmp_eq_u32_e64 s[44:45], s97, v4
	v_cmp_gt_u32_e32 vcc, 8, v4
	v_ffbh_u32_e32 v4, v3
	v_min_u32_e32 v4, 32, v4
	v_lshrrev_b32_e32 v1, 24, v12
	v_subrev_u32_e32 v24, 28, v4
	v_lshlrev_b64 v[24:25], v24, v[1:2]
	v_bfe_u32 v21, v1, 3, 4
	v_cmp_eq_u32_e64 s[42:43], s59, v1
	v_sub_u32_e32 v1, 29, v4
	v_and_b32_e32 v4, 7, v24
	v_cndmask_b32_e32 v1, v21, v1, vcc
	v_cndmask_b32_e32 v3, v3, v4, vcc
	v_lshlrev_b32_e32 v3, 20, v3
	v_and_b32_e32 v4, 0x80000000, v12
	v_lshl_add_u32 v1, v1, 23, v48
	v_lshrrev_b32_e32 v30, 24, v8
	v_cmp_gt_u32_e64 s[40:41], s61, v12
	v_or3_b32 v1, v4, v1, v3
	v_cmp_lt_u32_e64 s[46:47], s63, v8
	s_mov_b64 s[52:53], -1
	s_and_b64 vcc, exec, s[50:51]
                                        ; implicit-def: $vgpr24
	s_cbranch_vccz .LBB2_2549
; %bb.2542:                             ;   in Loop: Header=BB2_2409 Depth=3
	v_mov_b32_e32 v21, 0
	s_and_saveexec_b64 s[52:53], s[46:47]
	s_cbranch_execz .LBB2_2548
; %bb.2543:                             ;   in Loop: Header=BB2_2409 Depth=3
	v_cmp_ne_u32_e32 vcc, s59, v30
	v_bfrev_b32_e32 v21, 1
	s_and_saveexec_b64 s[54:55], vcc
	s_cbranch_execz .LBB2_2547
; %bb.2544:                             ;   in Loop: Header=BB2_2409 Depth=3
	v_bfe_u32 v24, v8, 24, 7
	v_cmp_ne_u32_e32 vcc, s97, v24
	v_mov_b32_e32 v21, 0x7f800001
	s_and_saveexec_b64 s[64:65], vcc
	s_cbranch_execz .LBB2_2546
; %bb.2545:                             ;   in Loop: Header=BB2_2409 Depth=3
	v_and_b32_e32 v3, 7, v30
	v_ffbh_u32_e32 v21, v3
	v_min_u32_e32 v21, 32, v21
	v_lshrrev_b32_e32 v4, 3, v24
	v_cmp_gt_u32_e32 vcc, 8, v24
	v_subrev_u32_e32 v24, 28, v21
	v_lshlrev_b64 v[24:25], v24, v[30:31]
	v_sub_u32_e32 v21, 29, v21
	v_and_b32_e32 v24, 7, v24
	v_cndmask_b32_e32 v4, v4, v21, vcc
	v_cndmask_b32_e32 v3, v3, v24, vcc
	v_lshlrev_b32_e32 v21, 24, v30
	v_lshlrev_b32_e32 v3, 20, v3
	v_and_b32_e32 v21, 0x80000000, v21
	v_lshl_add_u32 v4, v4, 23, v48
	v_or3_b32 v21, v21, v4, v3
.LBB2_2546:                             ;   in Loop: Header=BB2_2409 Depth=3
	s_or_b64 exec, exec, s[64:65]
.LBB2_2547:                             ;   in Loop: Header=BB2_2409 Depth=3
	s_or_b64 exec, exec, s[54:55]
.LBB2_2548:                             ;   in Loop: Header=BB2_2409 Depth=3
	s_or_b64 exec, exec, s[52:53]
	v_cndmask_b32_e64 v3, v1, v49, s[44:45]
	v_cndmask_b32_e64 v3, v3, v0, s[42:43]
	;; [unrolled: 1-line block ×3, first 2 shown]
	v_max_f32_e32 v3, v3, v3
	v_max_f32_e32 v4, v21, v21
	;; [unrolled: 1-line block ×3, first 2 shown]
	s_mov_b64 s[52:53], 0
.LBB2_2549:                             ;   in Loop: Header=BB2_2409 Depth=3
	s_and_b64 vcc, exec, s[52:53]
	s_cbranch_vccz .LBB2_2557
; %bb.2550:                             ;   in Loop: Header=BB2_2409 Depth=3
	v_mov_b32_e32 v21, 0
	s_and_saveexec_b64 s[52:53], s[46:47]
	s_cbranch_execz .LBB2_2556
; %bb.2551:                             ;   in Loop: Header=BB2_2409 Depth=3
	v_cmp_ne_u32_e32 vcc, s59, v30
	v_bfrev_b32_e32 v21, 1
	s_and_saveexec_b64 s[46:47], vcc
	s_cbranch_execz .LBB2_2555
; %bb.2552:                             ;   in Loop: Header=BB2_2409 Depth=3
	v_bfe_u32 v24, v8, 24, 7
	v_cmp_ne_u32_e32 vcc, s97, v24
	v_mov_b32_e32 v21, 0x7f800001
	s_and_saveexec_b64 s[54:55], vcc
	s_cbranch_execz .LBB2_2554
; %bb.2553:                             ;   in Loop: Header=BB2_2409 Depth=3
	v_and_b32_e32 v3, 7, v30
	v_ffbh_u32_e32 v21, v3
	v_min_u32_e32 v21, 32, v21
	v_lshrrev_b32_e32 v4, 3, v24
	v_cmp_gt_u32_e32 vcc, 8, v24
	v_subrev_u32_e32 v24, 28, v21
	v_lshlrev_b64 v[24:25], v24, v[30:31]
	v_sub_u32_e32 v21, 29, v21
	v_and_b32_e32 v24, 7, v24
	v_cndmask_b32_e32 v4, v4, v21, vcc
	v_cndmask_b32_e32 v3, v3, v24, vcc
	v_lshlrev_b32_e32 v21, 24, v30
	v_lshlrev_b32_e32 v3, 20, v3
	v_and_b32_e32 v21, 0x80000000, v21
	v_lshl_add_u32 v4, v4, 23, v48
	v_or3_b32 v21, v21, v4, v3
.LBB2_2554:                             ;   in Loop: Header=BB2_2409 Depth=3
	s_or_b64 exec, exec, s[54:55]
.LBB2_2555:                             ;   in Loop: Header=BB2_2409 Depth=3
	s_or_b64 exec, exec, s[46:47]
.LBB2_2556:                             ;   in Loop: Header=BB2_2409 Depth=3
	s_or_b64 exec, exec, s[52:53]
	v_cndmask_b32_e64 v1, v1, v49, s[44:45]
	v_cndmask_b32_e64 v1, v1, v0, s[42:43]
	;; [unrolled: 1-line block ×3, first 2 shown]
	v_max_f32_e32 v1, v1, v1
	v_max_f32_e32 v3, v21, v21
	v_min_f32_e32 v24, v3, v1
.LBB2_2557:                             ;   in Loop: Header=BB2_2409 Depth=3
	v_and_b32_e32 v34, 0x7f800000, v24
	v_cmp_ne_u64_e32 vcc, s[90:91], v[34:35]
                                        ; implicit-def: $vgpr21
	s_and_saveexec_b64 s[40:41], vcc
	s_xor_b64 s[42:43], exec, s[40:41]
	s_cbranch_execz .LBB2_2571
; %bb.2558:                             ;   in Loop: Header=BB2_2409 Depth=3
	v_and_b32_e32 v34, 0x7fffffff, v24
	v_cmp_gt_u64_e32 vcc, s[92:93], v[34:35]
	v_and_b32_sdwa v1, v24, s59 dst_sel:DWORD dst_unused:UNUSED_PAD src0_sel:BYTE_3 src1_sel:DWORD
                                        ; implicit-def: $vgpr21
	s_and_saveexec_b64 s[40:41], vcc
	s_xor_b64 s[44:45], exec, s[40:41]
	s_cbranch_execz .LBB2_2568
; %bb.2559:                             ;   in Loop: Header=BB2_2409 Depth=3
	v_mov_b32_e32 v21, 0
	v_cmp_ne_u32_e32 vcc, 0, v24
	s_and_saveexec_b64 s[46:47], vcc
	s_cbranch_execz .LBB2_2567
; %bb.2560:                             ;   in Loop: Header=BB2_2409 Depth=3
	v_bfe_u32 v21, v24, 23, 8
	v_cmp_gt_u32_e64 s[40:41], s56, v21
	v_sub_u32_e32 v4, 0x79, v21
	v_and_b32_e32 v3, 0x7fffff, v24
	v_cmp_eq_u32_e32 vcc, 0, v21
	v_cndmask_b32_e64 v4, 0, v4, s[40:41]
	v_mov_b32_e32 v24, 0x78
	v_or_b32_e32 v25, 0x800000, v3
	v_cndmask_b32_e32 v24, v4, v24, vcc
	v_cndmask_b32_e32 v34, v25, v3, vcc
	v_add_u32_e32 v3, 20, v24
	v_lshlrev_b64 v[25:26], v3, -1
	v_add_u32_e32 v3, 19, v24
	v_lshlrev_b64 v[30:31], v3, 1
	v_lshrrev_b64 v[57:58], v24, v[34:35]
	v_bfi_b32 v26, v26, 0, 0
	v_bfi_b32 v25, v25, 0, v34
	v_cmp_eq_u64_e64 s[40:41], v[25:26], v[30:31]
	v_mov_b32_e32 v59, v58
	v_mov_b32_e32 v58, v57
	s_and_saveexec_b64 s[52:53], s[40:41]
; %bb.2561:                             ;   in Loop: Header=BB2_2409 Depth=3
	v_bfe_u32 v3, v57, 20, 1
	v_add_co_u32_e64 v3, s[40:41], v57, v3
	v_add_co_u32_e64 v58, s[40:41], -1, v3
; %bb.2562:                             ;   in Loop: Header=BB2_2409 Depth=3
	s_or_b64 exec, exec, s[52:53]
	v_add_u32_e32 v3, 0xffffff81, v21
	v_cndmask_b32_e32 v3, v3, v52, vcc
	v_lshrrev_b32_e32 v4, 23, v57
	v_add3_u32 v25, v24, v3, v4
	v_add_u32_e32 v24, 6, v25
	v_and_b32_e32 v3, 0xfffff, v58
	v_add_u32_e32 v34, v3, v57
	v_cmp_ne_u32_e32 vcc, 0, v24
                                        ; implicit-def: $vgpr57_vgpr58
                                        ; implicit-def: $vgpr21
	s_and_saveexec_b64 s[40:41], vcc
	s_xor_b64 s[40:41], exec, s[40:41]
; %bb.2563:                             ;   in Loop: Header=BB2_2409 Depth=3
	v_cmp_lt_u64_e32 vcc, s[94:95], v[34:35]
	v_add_u32_e32 v3, 7, v25
	v_cndmask_b32_e32 v21, v24, v3, vcc
	v_cndmask_b32_e64 v3, 0, 1, vcc
	v_lshrrev_b64 v[57:58], v3, v[34:35]
; %bb.2564:                             ;   in Loop: Header=BB2_2409 Depth=3
	s_andn2_saveexec_b64 s[40:41], s[40:41]
; %bb.2565:                             ;   in Loop: Header=BB2_2409 Depth=3
	v_mov_b32_e32 v58, v35
	v_bfe_u32 v21, v34, 23, 1
	v_mov_b32_e32 v57, v34
; %bb.2566:                             ;   in Loop: Header=BB2_2409 Depth=3
	s_or_b64 exec, exec, s[40:41]
	v_lshrrev_b64 v[24:25], 20, v[57:58]
	v_cmp_gt_i32_e32 vcc, 16, v21
	v_cndmask_b32_e32 v25, 0, v25, vcc
	v_cndmask_b32_e32 v24, 7, v24, vcc
	v_min_i32_e32 v3, 15, v21
	v_cmp_eq_u64_e64 s[40:41], 0, v[24:25]
	v_lshlrev_b32_e32 v3, 3, v3
	v_cmp_eq_u32_e32 vcc, 0, v21
	v_and_b32_e32 v3, 0xf8, v3
	v_and_or_b32 v3, v24, 7, v3
	s_and_b64 s[40:41], vcc, s[40:41]
	v_cndmask_b32_e64 v3, v3, 0, s[40:41]
	v_or_b32_e32 v21, v3, v1
.LBB2_2567:                             ;   in Loop: Header=BB2_2409 Depth=3
	s_or_b64 exec, exec, s[46:47]
                                        ; implicit-def: $vgpr1
.LBB2_2568:                             ;   in Loop: Header=BB2_2409 Depth=3
	s_andn2_saveexec_b64 s[40:41], s[44:45]
; %bb.2569:                             ;   in Loop: Header=BB2_2409 Depth=3
	v_or_b32_e32 v21, 0x7e, v1
; %bb.2570:                             ;   in Loop: Header=BB2_2409 Depth=3
	s_or_b64 exec, exec, s[40:41]
                                        ; implicit-def: $vgpr24
.LBB2_2571:                             ;   in Loop: Header=BB2_2409 Depth=3
	s_andn2_saveexec_b64 s[40:41], s[42:43]
; %bb.2572:                             ;   in Loop: Header=BB2_2409 Depth=3
	v_or_b32_sdwa v21, v24, s97 dst_sel:DWORD dst_unused:UNUSED_PAD src0_sel:BYTE_3 src1_sel:DWORD
; %bb.2573:                             ;   in Loop: Header=BB2_2409 Depth=3
	s_or_b64 exec, exec, s[40:41]
	v_and_b32_e32 v1, 7, v13
	v_ffbh_u32_e32 v1, v1
	v_and_b32_e32 v3, 0x7f, v13
	v_min_u32_e32 v1, 32, v1
	v_cmp_eq_u32_e64 s[40:41], s97, v3
	v_cmp_gt_u32_e32 vcc, 8, v3
	v_subrev_u32_e32 v3, 28, v1
	v_mov_b32_e32 v34, v13
	v_cndmask_b32_e32 v3, 0, v3, vcc
	v_lshlrev_b64 v[24:25], v3, v[34:35]
	v_bfe_u32 v4, v13, 3, 4
	v_sub_u32_e32 v1, 29, v1
	v_cndmask_b32_e32 v1, v4, v1, vcc
	v_lshlrev_b32_e32 v3, 20, v24
	v_lshlrev_b32_e32 v4, 24, v13
	v_and_b32_e32 v3, 0x700000, v3
	v_and_b32_e32 v4, 0x80000000, v4
	v_lshl_add_u32 v1, v1, 23, v48
	v_or3_b32 v1, v4, v1, v3
	v_mov_b32_e32 v57, v9
	v_mov_b32_e32 v58, v35
	v_cmp_ne_u16_sdwa s[42:43], v9, v35 src0_sel:BYTE_0 src1_sel:DWORD
	s_mov_b64 s[44:45], -1
	s_and_b64 vcc, exec, s[50:51]
                                        ; implicit-def: $vgpr24
	s_cbranch_vccz .LBB2_2587
; %bb.2574:                             ;   in Loop: Header=BB2_2409 Depth=3
	v_mov_b32_e32 v24, 0
	s_and_saveexec_b64 s[44:45], s[42:43]
	s_cbranch_execz .LBB2_2580
; %bb.2575:                             ;   in Loop: Header=BB2_2409 Depth=3
	v_cmp_ne_u16_sdwa vcc, v9, s59 src0_sel:BYTE_0 src1_sel:DWORD
	v_bfrev_b32_e32 v24, 1
	s_and_saveexec_b64 s[46:47], vcc
	s_cbranch_execz .LBB2_2579
; %bb.2576:                             ;   in Loop: Header=BB2_2409 Depth=3
	v_and_b32_e32 v25, 0x7f, v9
	v_cmp_ne_u32_e32 vcc, s97, v25
	v_mov_b32_e32 v24, 0x7f800001
	s_and_saveexec_b64 s[52:53], vcc
	s_cbranch_execz .LBB2_2578
; %bb.2577:                             ;   in Loop: Header=BB2_2409 Depth=3
	v_and_b32_e32 v3, 7, v9
	v_ffbh_u32_e32 v3, v3
	v_min_u32_e32 v3, 32, v3
	v_lshrrev_b32_e32 v4, 3, v25
	v_cmp_gt_u32_e32 vcc, 8, v25
	v_subrev_u32_e32 v24, 28, v3
	v_sub_u32_e32 v3, 29, v3
	v_cndmask_b32_e32 v3, v4, v3, vcc
	v_cndmask_b32_e32 v4, 0, v24, vcc
	v_lshlrev_b64 v[24:25], v4, v[57:58]
	v_lshl_add_u32 v3, v3, 23, v48
	v_lshlrev_b32_e32 v4, 20, v24
	v_lshlrev_b32_e32 v24, 24, v57
	v_and_b32_e32 v4, 0x700000, v4
	v_and_b32_e32 v24, 0x80000000, v24
	v_or3_b32 v24, v24, v3, v4
.LBB2_2578:                             ;   in Loop: Header=BB2_2409 Depth=3
	s_or_b64 exec, exec, s[52:53]
.LBB2_2579:                             ;   in Loop: Header=BB2_2409 Depth=3
	s_or_b64 exec, exec, s[46:47]
.LBB2_2580:                             ;   in Loop: Header=BB2_2409 Depth=3
	s_or_b64 exec, exec, s[44:45]
	v_cmp_gt_i16_sdwa s[46:47], v13, s97 src0_sel:BYTE_0 src1_sel:DWORD
	s_mov_b64 s[44:45], 0
	s_and_saveexec_b64 vcc, s[46:47]
	s_xor_b64 s[46:47], exec, vcc
	s_cbranch_execz .LBB2_3080
; %bb.2581:                             ;   in Loop: Header=BB2_2409 Depth=3
	v_cmp_eq_u16_sdwa s[52:53], v13, s59 src0_sel:BYTE_0 src1_sel:DWORD
	s_mov_b64 s[44:45], -1
	s_and_saveexec_b64 vcc, s[52:53]
; %bb.2582:                             ;   in Loop: Header=BB2_2409 Depth=3
	s_xor_b64 s[44:45], exec, -1
; %bb.2583:                             ;   in Loop: Header=BB2_2409 Depth=3
	s_or_b64 exec, exec, vcc
	s_and_b64 s[44:45], s[44:45], exec
	s_or_saveexec_b64 s[46:47], s[46:47]
	v_bfrev_b32_e32 v25, 1
	s_xor_b64 exec, exec, s[46:47]
	s_cbranch_execnz .LBB2_3081
.LBB2_2584:                             ;   in Loop: Header=BB2_2409 Depth=3
	s_or_b64 exec, exec, s[46:47]
	s_and_saveexec_b64 s[46:47], s[44:45]
.LBB2_2585:                             ;   in Loop: Header=BB2_2409 Depth=3
	v_cndmask_b32_e64 v25, v1, v49, s[40:41]
.LBB2_2586:                             ;   in Loop: Header=BB2_2409 Depth=3
	s_or_b64 exec, exec, s[46:47]
	v_max_f32_e32 v3, v25, v25
	v_max_f32_e32 v4, v24, v24
	;; [unrolled: 1-line block ×3, first 2 shown]
	s_mov_b64 s[44:45], 0
.LBB2_2587:                             ;   in Loop: Header=BB2_2409 Depth=3
	s_and_b64 vcc, exec, s[44:45]
	s_cbranch_vccz .LBB2_2601
; %bb.2588:                             ;   in Loop: Header=BB2_2409 Depth=3
	v_mov_b32_e32 v24, 0
	s_and_saveexec_b64 s[44:45], s[42:43]
	s_cbranch_execz .LBB2_2594
; %bb.2589:                             ;   in Loop: Header=BB2_2409 Depth=3
	v_cmp_ne_u16_sdwa s[46:47], v9, s59 src0_sel:BYTE_0 src1_sel:DWORD
	v_bfrev_b32_e32 v24, 1
	s_and_saveexec_b64 s[42:43], s[46:47]
	s_cbranch_execz .LBB2_2593
; %bb.2590:                             ;   in Loop: Header=BB2_2409 Depth=3
	v_and_b32_e32 v25, 0x7f, v9
	v_cmp_ne_u32_e32 vcc, s97, v25
	v_mov_b32_e32 v24, 0x7f800001
	s_and_saveexec_b64 s[46:47], vcc
	s_cbranch_execz .LBB2_2592
; %bb.2591:                             ;   in Loop: Header=BB2_2409 Depth=3
	v_and_b32_e32 v3, 7, v9
	v_ffbh_u32_e32 v3, v3
	v_min_u32_e32 v3, 32, v3
	v_lshrrev_b32_e32 v4, 3, v25
	v_cmp_gt_u32_e32 vcc, 8, v25
	v_subrev_u32_e32 v24, 28, v3
	v_sub_u32_e32 v3, 29, v3
	v_cndmask_b32_e32 v3, v4, v3, vcc
	v_cndmask_b32_e32 v4, 0, v24, vcc
	v_lshlrev_b64 v[24:25], v4, v[57:58]
	v_lshl_add_u32 v3, v3, 23, v48
	v_lshlrev_b32_e32 v4, 20, v24
	v_lshlrev_b32_e32 v24, 24, v57
	v_and_b32_e32 v4, 0x700000, v4
	v_and_b32_e32 v24, 0x80000000, v24
	v_or3_b32 v24, v24, v3, v4
.LBB2_2592:                             ;   in Loop: Header=BB2_2409 Depth=3
	s_or_b64 exec, exec, s[46:47]
.LBB2_2593:                             ;   in Loop: Header=BB2_2409 Depth=3
	s_or_b64 exec, exec, s[42:43]
.LBB2_2594:                             ;   in Loop: Header=BB2_2409 Depth=3
	s_or_b64 exec, exec, s[44:45]
	v_cmp_gt_i16_sdwa s[44:45], v13, s97 src0_sel:BYTE_0 src1_sel:DWORD
	s_mov_b64 s[42:43], 0
	s_and_saveexec_b64 s[46:47], s[44:45]
	s_xor_b64 s[44:45], exec, s[46:47]
	s_cbranch_execz .LBB2_3082
; %bb.2595:                             ;   in Loop: Header=BB2_2409 Depth=3
	v_cmp_eq_u16_sdwa vcc, v13, s59 src0_sel:BYTE_0 src1_sel:DWORD
	s_mov_b64 s[42:43], -1
	s_and_saveexec_b64 s[46:47], vcc
; %bb.2596:                             ;   in Loop: Header=BB2_2409 Depth=3
	s_xor_b64 s[42:43], exec, -1
; %bb.2597:                             ;   in Loop: Header=BB2_2409 Depth=3
	s_or_b64 exec, exec, s[46:47]
	s_and_b64 s[42:43], s[42:43], exec
	s_or_saveexec_b64 s[44:45], s[44:45]
	v_bfrev_b32_e32 v25, 1
	s_xor_b64 exec, exec, s[44:45]
	s_cbranch_execnz .LBB2_3083
.LBB2_2598:                             ;   in Loop: Header=BB2_2409 Depth=3
	s_or_b64 exec, exec, s[44:45]
	s_and_saveexec_b64 s[44:45], s[42:43]
.LBB2_2599:                             ;   in Loop: Header=BB2_2409 Depth=3
	v_cndmask_b32_e64 v25, v1, v49, s[40:41]
.LBB2_2600:                             ;   in Loop: Header=BB2_2409 Depth=3
	s_or_b64 exec, exec, s[44:45]
	v_max_f32_e32 v1, v25, v25
	v_max_f32_e32 v3, v24, v24
	v_min_f32_e32 v24, v3, v1
.LBB2_2601:                             ;   in Loop: Header=BB2_2409 Depth=3
	v_and_b32_e32 v25, 0x7f800000, v24
	v_mov_b32_e32 v26, v35
	v_cmp_ne_u64_e32 vcc, s[90:91], v[25:26]
                                        ; implicit-def: $vgpr26
	s_and_saveexec_b64 s[40:41], vcc
	s_xor_b64 s[42:43], exec, s[40:41]
	s_cbranch_execz .LBB2_2615
; %bb.2602:                             ;   in Loop: Header=BB2_2409 Depth=3
	v_and_b32_e32 v25, 0x7fffffff, v24
	v_mov_b32_e32 v26, v35
	v_cmp_gt_u64_e32 vcc, s[92:93], v[25:26]
	v_and_b32_sdwa v1, v24, s59 dst_sel:DWORD dst_unused:UNUSED_PAD src0_sel:BYTE_3 src1_sel:DWORD
                                        ; implicit-def: $vgpr26
	s_and_saveexec_b64 s[40:41], vcc
	s_xor_b64 s[44:45], exec, s[40:41]
	s_cbranch_execz .LBB2_2612
; %bb.2603:                             ;   in Loop: Header=BB2_2409 Depth=3
	v_mov_b32_e32 v26, 0
	v_cmp_ne_u32_e32 vcc, 0, v24
	s_and_saveexec_b64 s[46:47], vcc
	s_cbranch_execz .LBB2_2611
; %bb.2604:                             ;   in Loop: Header=BB2_2409 Depth=3
	v_and_b32_e32 v3, 0x7fffff, v24
	v_bfe_u32 v24, v24, 23, 8
	v_cmp_gt_u32_e64 s[40:41], s56, v24
	v_sub_u32_e32 v4, 0x79, v24
	v_cmp_eq_u32_e32 vcc, 0, v24
	v_cndmask_b32_e64 v4, 0, v4, s[40:41]
	v_mov_b32_e32 v25, 0x78
	v_or_b32_e32 v26, 0x800000, v3
	v_cndmask_b32_e32 v25, v4, v25, vcc
	v_cndmask_b32_e32 v26, v26, v3, vcc
	v_add_u32_e32 v3, 20, v25
	v_lshlrev_b64 v[30:31], v3, -1
	v_add_u32_e32 v3, 19, v25
	v_lshlrev_b64 v[58:59], v3, 1
	v_mov_b32_e32 v27, v35
	v_bfi_b32 v31, v31, 0, 0
	v_bfi_b32 v30, v30, 0, v26
	v_cmp_eq_u64_e64 s[40:41], v[30:31], v[58:59]
	v_lshrrev_b64 v[58:59], v25, v[26:27]
	v_mov_b32_e32 v60, v59
	v_mov_b32_e32 v59, v58
	s_and_saveexec_b64 s[52:53], s[40:41]
; %bb.2605:                             ;   in Loop: Header=BB2_2409 Depth=3
	v_bfe_u32 v3, v58, 20, 1
	v_add_co_u32_e64 v3, s[40:41], v58, v3
	v_add_co_u32_e64 v59, s[40:41], -1, v3
; %bb.2606:                             ;   in Loop: Header=BB2_2409 Depth=3
	s_or_b64 exec, exec, s[52:53]
	v_add_u32_e32 v3, 0xffffff81, v24
	v_cndmask_b32_e32 v3, v3, v52, vcc
	v_lshrrev_b32_e32 v4, 23, v58
	v_add3_u32 v26, v25, v3, v4
	v_add_u32_e32 v25, 6, v26
	v_and_b32_e32 v3, 0xfffff, v59
	v_add_u32_e32 v58, v3, v58
	v_mov_b32_e32 v59, v35
	v_cmp_ne_u32_e32 vcc, 0, v25
                                        ; implicit-def: $vgpr24
	s_and_saveexec_b64 s[40:41], vcc
	s_xor_b64 s[40:41], exec, s[40:41]
; %bb.2607:                             ;   in Loop: Header=BB2_2409 Depth=3
	v_cmp_lt_u64_e32 vcc, s[94:95], v[58:59]
	v_add_u32_e32 v3, 7, v26
	v_cndmask_b32_e32 v24, v25, v3, vcc
	v_cndmask_b32_e64 v3, 0, 1, vcc
	v_lshrrev_b64 v[58:59], v3, v[58:59]
; %bb.2608:                             ;   in Loop: Header=BB2_2409 Depth=3
	s_andn2_saveexec_b64 s[40:41], s[40:41]
; %bb.2609:                             ;   in Loop: Header=BB2_2409 Depth=3
	v_bfe_u32 v24, v58, 23, 1
; %bb.2610:                             ;   in Loop: Header=BB2_2409 Depth=3
	s_or_b64 exec, exec, s[40:41]
	v_lshrrev_b64 v[25:26], 20, v[58:59]
	v_cmp_gt_i32_e32 vcc, 16, v24
	v_cndmask_b32_e32 v26, 0, v26, vcc
	v_cndmask_b32_e32 v25, 7, v25, vcc
	v_min_i32_e32 v3, 15, v24
	v_cmp_eq_u64_e64 s[40:41], 0, v[25:26]
	v_lshlrev_b32_e32 v3, 3, v3
	v_cmp_eq_u32_e32 vcc, 0, v24
	v_and_b32_e32 v3, 0xf8, v3
	v_and_or_b32 v3, v25, 7, v3
	s_and_b64 s[40:41], vcc, s[40:41]
	v_cndmask_b32_e64 v3, v3, 0, s[40:41]
	v_or_b32_e32 v26, v3, v1
.LBB2_2611:                             ;   in Loop: Header=BB2_2409 Depth=3
	s_or_b64 exec, exec, s[46:47]
                                        ; implicit-def: $vgpr1
.LBB2_2612:                             ;   in Loop: Header=BB2_2409 Depth=3
	s_andn2_saveexec_b64 s[40:41], s[44:45]
; %bb.2613:                             ;   in Loop: Header=BB2_2409 Depth=3
	v_or_b32_e32 v26, 0x7e, v1
; %bb.2614:                             ;   in Loop: Header=BB2_2409 Depth=3
	s_or_b64 exec, exec, s[40:41]
                                        ; implicit-def: $vgpr24
.LBB2_2615:                             ;   in Loop: Header=BB2_2409 Depth=3
	s_andn2_saveexec_b64 s[40:41], s[42:43]
; %bb.2616:                             ;   in Loop: Header=BB2_2409 Depth=3
	v_or_b32_sdwa v26, v24, s97 dst_sel:DWORD dst_unused:UNUSED_PAD src0_sel:BYTE_3 src1_sel:DWORD
; %bb.2617:                             ;   in Loop: Header=BB2_2409 Depth=3
	s_or_b64 exec, exec, s[40:41]
	v_lshrrev_b16_e32 v34, 8, v34
	v_and_b32_e32 v1, 7, v34
	v_and_b32_e32 v3, 0x7f, v34
	v_cmp_eq_u32_e64 s[40:41], s97, v3
	v_cmp_gt_u32_e32 vcc, 8, v3
	v_ffbh_u32_e32 v3, v1
	v_min_u32_e32 v3, 32, v3
	v_subrev_u32_e32 v24, 28, v3
	v_lshlrev_b64 v[24:25], v24, v[34:35]
	v_bfe_u32 v4, v34, 3, 4
	v_sub_u32_e32 v3, 29, v3
	v_and_b32_e32 v24, 7, v24
	v_cndmask_b32_e32 v3, v4, v3, vcc
	v_cndmask_b32_e32 v1, v1, v24, vcc
	v_lshlrev_b32_e32 v4, 24, v34
	v_lshrrev_b16_e32 v30, 8, v57
	v_lshlrev_b32_e32 v1, 20, v1
	v_and_b32_e32 v4, 0x80000000, v4
	v_lshl_add_u32 v3, v3, 23, v48
	v_or3_b32 v1, v4, v3, v1
	v_cmp_ne_u16_e64 s[42:43], 0, v30
	s_mov_b64 s[44:45], -1
	s_and_b64 vcc, exec, s[50:51]
                                        ; implicit-def: $vgpr24
	s_cbranch_vccz .LBB2_2631
; %bb.2618:                             ;   in Loop: Header=BB2_2409 Depth=3
	v_mov_b32_e32 v24, 0
	s_and_saveexec_b64 s[44:45], s[42:43]
	s_cbranch_execz .LBB2_2624
; %bb.2619:                             ;   in Loop: Header=BB2_2409 Depth=3
	v_cmp_ne_u16_e32 vcc, s59, v30
	v_bfrev_b32_e32 v24, 1
	s_and_saveexec_b64 s[46:47], vcc
	s_cbranch_execz .LBB2_2623
; %bb.2620:                             ;   in Loop: Header=BB2_2409 Depth=3
	v_and_b32_e32 v25, 0x7f, v30
	v_cmp_ne_u32_e32 vcc, s97, v25
	v_mov_b32_e32 v24, 0x7f800001
	s_and_saveexec_b64 s[52:53], vcc
	s_cbranch_execz .LBB2_2622
; %bb.2621:                             ;   in Loop: Header=BB2_2409 Depth=3
	v_and_b32_e32 v3, 7, v30
	v_ffbh_u32_e32 v24, v3
	v_min_u32_e32 v27, 32, v24
	v_subrev_u32_e32 v24, 28, v27
	v_lshrrev_b32_e32 v4, 3, v25
	v_cmp_gt_u32_e32 vcc, 8, v25
	v_lshlrev_b64 v[24:25], v24, v[30:31]
	v_sub_u32_e32 v25, 29, v27
	v_and_b32_e32 v24, 7, v24
	v_cndmask_b32_e32 v4, v4, v25, vcc
	v_cndmask_b32_e32 v3, v3, v24, vcc
	v_lshlrev_b32_e32 v24, 16, v57
	v_lshlrev_b32_e32 v3, 20, v3
	v_and_b32_e32 v24, 0x80000000, v24
	v_lshl_add_u32 v4, v4, 23, v48
	v_or3_b32 v24, v24, v4, v3
.LBB2_2622:                             ;   in Loop: Header=BB2_2409 Depth=3
	s_or_b64 exec, exec, s[52:53]
.LBB2_2623:                             ;   in Loop: Header=BB2_2409 Depth=3
	s_or_b64 exec, exec, s[46:47]
.LBB2_2624:                             ;   in Loop: Header=BB2_2409 Depth=3
	s_or_b64 exec, exec, s[44:45]
	v_cmp_lt_i16_e32 vcc, s97, v34
	s_mov_b64 s[44:45], 0
	s_and_saveexec_b64 s[46:47], vcc
	s_xor_b64 s[46:47], exec, s[46:47]
	s_cbranch_execz .LBB2_3084
; %bb.2625:                             ;   in Loop: Header=BB2_2409 Depth=3
	v_cmp_eq_u16_e32 vcc, s59, v34
	s_mov_b64 s[44:45], -1
	s_and_saveexec_b64 s[52:53], vcc
; %bb.2626:                             ;   in Loop: Header=BB2_2409 Depth=3
	s_xor_b64 s[44:45], exec, -1
; %bb.2627:                             ;   in Loop: Header=BB2_2409 Depth=3
	s_or_b64 exec, exec, s[52:53]
	s_and_b64 s[44:45], s[44:45], exec
	s_or_saveexec_b64 s[46:47], s[46:47]
	v_bfrev_b32_e32 v25, 1
	s_xor_b64 exec, exec, s[46:47]
	s_cbranch_execnz .LBB2_3085
.LBB2_2628:                             ;   in Loop: Header=BB2_2409 Depth=3
	s_or_b64 exec, exec, s[46:47]
	s_and_saveexec_b64 s[46:47], s[44:45]
.LBB2_2629:                             ;   in Loop: Header=BB2_2409 Depth=3
	v_cndmask_b32_e64 v25, v1, v49, s[40:41]
.LBB2_2630:                             ;   in Loop: Header=BB2_2409 Depth=3
	s_or_b64 exec, exec, s[46:47]
	v_max_f32_e32 v3, v25, v25
	v_max_f32_e32 v4, v24, v24
	v_max_f32_e32 v24, v4, v3
	s_mov_b64 s[44:45], 0
.LBB2_2631:                             ;   in Loop: Header=BB2_2409 Depth=3
	s_and_b64 vcc, exec, s[44:45]
	s_cbranch_vccz .LBB2_2645
; %bb.2632:                             ;   in Loop: Header=BB2_2409 Depth=3
	v_mov_b32_e32 v24, 0
	s_and_saveexec_b64 s[44:45], s[42:43]
	s_cbranch_execz .LBB2_2638
; %bb.2633:                             ;   in Loop: Header=BB2_2409 Depth=3
	v_cmp_ne_u16_e32 vcc, s59, v30
	v_bfrev_b32_e32 v24, 1
	s_and_saveexec_b64 s[42:43], vcc
	s_cbranch_execz .LBB2_2637
; %bb.2634:                             ;   in Loop: Header=BB2_2409 Depth=3
	v_and_b32_e32 v25, 0x7f, v30
	v_cmp_ne_u32_e32 vcc, s97, v25
	v_mov_b32_e32 v24, 0x7f800001
	s_and_saveexec_b64 s[46:47], vcc
	s_cbranch_execz .LBB2_2636
; %bb.2635:                             ;   in Loop: Header=BB2_2409 Depth=3
	v_and_b32_e32 v3, 7, v30
	v_ffbh_u32_e32 v24, v3
	v_min_u32_e32 v27, 32, v24
	v_subrev_u32_e32 v24, 28, v27
	v_lshrrev_b32_e32 v4, 3, v25
	v_cmp_gt_u32_e32 vcc, 8, v25
	v_lshlrev_b64 v[24:25], v24, v[30:31]
	v_sub_u32_e32 v25, 29, v27
	v_and_b32_e32 v24, 7, v24
	v_cndmask_b32_e32 v4, v4, v25, vcc
	v_cndmask_b32_e32 v3, v3, v24, vcc
	v_lshlrev_b32_e32 v24, 16, v57
	v_lshlrev_b32_e32 v3, 20, v3
	v_and_b32_e32 v24, 0x80000000, v24
	v_lshl_add_u32 v4, v4, 23, v48
	v_or3_b32 v24, v24, v4, v3
.LBB2_2636:                             ;   in Loop: Header=BB2_2409 Depth=3
	s_or_b64 exec, exec, s[46:47]
.LBB2_2637:                             ;   in Loop: Header=BB2_2409 Depth=3
	s_or_b64 exec, exec, s[42:43]
.LBB2_2638:                             ;   in Loop: Header=BB2_2409 Depth=3
	s_or_b64 exec, exec, s[44:45]
	v_cmp_lt_i16_e32 vcc, s97, v34
	s_mov_b64 s[42:43], 0
	s_and_saveexec_b64 s[44:45], vcc
	s_xor_b64 s[44:45], exec, s[44:45]
	s_cbranch_execz .LBB2_3086
; %bb.2639:                             ;   in Loop: Header=BB2_2409 Depth=3
	v_cmp_eq_u16_e32 vcc, s59, v34
	s_mov_b64 s[42:43], -1
	s_and_saveexec_b64 s[46:47], vcc
; %bb.2640:                             ;   in Loop: Header=BB2_2409 Depth=3
	s_xor_b64 s[42:43], exec, -1
; %bb.2641:                             ;   in Loop: Header=BB2_2409 Depth=3
	s_or_b64 exec, exec, s[46:47]
	s_and_b64 s[42:43], s[42:43], exec
	s_or_saveexec_b64 s[44:45], s[44:45]
	v_bfrev_b32_e32 v25, 1
	s_xor_b64 exec, exec, s[44:45]
	s_cbranch_execnz .LBB2_3087
.LBB2_2642:                             ;   in Loop: Header=BB2_2409 Depth=3
	s_or_b64 exec, exec, s[44:45]
	s_and_saveexec_b64 s[44:45], s[42:43]
.LBB2_2643:                             ;   in Loop: Header=BB2_2409 Depth=3
	v_cndmask_b32_e64 v25, v1, v49, s[40:41]
.LBB2_2644:                             ;   in Loop: Header=BB2_2409 Depth=3
	s_or_b64 exec, exec, s[44:45]
	v_max_f32_e32 v1, v25, v25
	v_max_f32_e32 v3, v24, v24
	v_min_f32_e32 v24, v3, v1
.LBB2_2645:                             ;   in Loop: Header=BB2_2409 Depth=3
	v_and_b32_e32 v34, 0x7f800000, v24
	v_cmp_ne_u64_e32 vcc, s[90:91], v[34:35]
                                        ; implicit-def: $vgpr27
	s_and_saveexec_b64 s[40:41], vcc
	s_xor_b64 s[42:43], exec, s[40:41]
	s_cbranch_execz .LBB2_2659
; %bb.2646:                             ;   in Loop: Header=BB2_2409 Depth=3
	v_and_b32_e32 v34, 0x7fffffff, v24
	v_cmp_gt_u64_e32 vcc, s[92:93], v[34:35]
	v_and_b32_sdwa v1, v24, s59 dst_sel:DWORD dst_unused:UNUSED_PAD src0_sel:BYTE_3 src1_sel:DWORD
                                        ; implicit-def: $vgpr27
	s_and_saveexec_b64 s[40:41], vcc
	s_xor_b64 s[44:45], exec, s[40:41]
	s_cbranch_execz .LBB2_2656
; %bb.2647:                             ;   in Loop: Header=BB2_2409 Depth=3
	v_mov_b32_e32 v27, 0
	v_cmp_ne_u32_e32 vcc, 0, v24
	s_and_saveexec_b64 s[46:47], vcc
	s_cbranch_execz .LBB2_2655
; %bb.2648:                             ;   in Loop: Header=BB2_2409 Depth=3
	v_and_b32_e32 v3, 0x7fffff, v24
	v_bfe_u32 v24, v24, 23, 8
	v_cmp_gt_u32_e64 s[40:41], s56, v24
	v_sub_u32_e32 v4, 0x79, v24
	v_cmp_eq_u32_e32 vcc, 0, v24
	v_cndmask_b32_e64 v4, 0, v4, s[40:41]
	v_mov_b32_e32 v25, 0x78
	v_or_b32_e32 v27, 0x800000, v3
	v_cndmask_b32_e32 v25, v4, v25, vcc
	v_cndmask_b32_e32 v34, v27, v3, vcc
	v_add_u32_e32 v3, 20, v25
	v_lshlrev_b64 v[30:31], v3, -1
	v_add_u32_e32 v3, 19, v25
	v_lshlrev_b64 v[57:58], v3, 1
	v_bfi_b32 v31, v31, 0, 0
	v_bfi_b32 v30, v30, 0, v34
	v_cmp_eq_u64_e64 s[40:41], v[30:31], v[57:58]
	v_lshrrev_b64 v[57:58], v25, v[34:35]
	v_mov_b32_e32 v59, v58
	v_mov_b32_e32 v58, v57
	s_and_saveexec_b64 s[52:53], s[40:41]
; %bb.2649:                             ;   in Loop: Header=BB2_2409 Depth=3
	v_bfe_u32 v3, v57, 20, 1
	v_add_co_u32_e64 v3, s[40:41], v57, v3
	v_add_co_u32_e64 v58, s[40:41], -1, v3
; %bb.2650:                             ;   in Loop: Header=BB2_2409 Depth=3
	s_or_b64 exec, exec, s[52:53]
	v_add_u32_e32 v3, 0xffffff81, v24
	v_cndmask_b32_e32 v3, v3, v52, vcc
	v_lshrrev_b32_e32 v4, 23, v57
	v_add3_u32 v27, v25, v3, v4
	v_add_u32_e32 v25, 6, v27
	v_and_b32_e32 v3, 0xfffff, v58
	v_add_u32_e32 v34, v3, v57
	v_cmp_ne_u32_e32 vcc, 0, v25
                                        ; implicit-def: $vgpr57_vgpr58
                                        ; implicit-def: $vgpr24
	s_and_saveexec_b64 s[40:41], vcc
	s_xor_b64 s[40:41], exec, s[40:41]
; %bb.2651:                             ;   in Loop: Header=BB2_2409 Depth=3
	v_cmp_lt_u64_e32 vcc, s[94:95], v[34:35]
	v_add_u32_e32 v3, 7, v27
	v_cndmask_b32_e32 v24, v25, v3, vcc
	v_cndmask_b32_e64 v3, 0, 1, vcc
	v_lshrrev_b64 v[57:58], v3, v[34:35]
; %bb.2652:                             ;   in Loop: Header=BB2_2409 Depth=3
	s_andn2_saveexec_b64 s[40:41], s[40:41]
; %bb.2653:                             ;   in Loop: Header=BB2_2409 Depth=3
	v_mov_b32_e32 v58, v35
	v_bfe_u32 v24, v34, 23, 1
	v_mov_b32_e32 v57, v34
; %bb.2654:                             ;   in Loop: Header=BB2_2409 Depth=3
	s_or_b64 exec, exec, s[40:41]
	v_lshrrev_b64 v[30:31], 20, v[57:58]
	v_cmp_gt_i32_e32 vcc, 16, v24
	v_cndmask_b32_e32 v31, 0, v31, vcc
	v_cndmask_b32_e32 v30, 7, v30, vcc
	v_min_i32_e32 v3, 15, v24
	v_cmp_eq_u64_e64 s[40:41], 0, v[30:31]
	v_lshlrev_b32_e32 v3, 3, v3
	v_cmp_eq_u32_e32 vcc, 0, v24
	v_and_b32_e32 v3, 0xf8, v3
	v_and_or_b32 v3, v30, 7, v3
	s_and_b64 s[40:41], vcc, s[40:41]
	v_cndmask_b32_e64 v3, v3, 0, s[40:41]
	v_or_b32_e32 v27, v3, v1
.LBB2_2655:                             ;   in Loop: Header=BB2_2409 Depth=3
	s_or_b64 exec, exec, s[46:47]
                                        ; implicit-def: $vgpr1
.LBB2_2656:                             ;   in Loop: Header=BB2_2409 Depth=3
	s_andn2_saveexec_b64 s[40:41], s[44:45]
; %bb.2657:                             ;   in Loop: Header=BB2_2409 Depth=3
	v_or_b32_e32 v27, 0x7e, v1
; %bb.2658:                             ;   in Loop: Header=BB2_2409 Depth=3
	s_or_b64 exec, exec, s[40:41]
                                        ; implicit-def: $vgpr24
.LBB2_2659:                             ;   in Loop: Header=BB2_2409 Depth=3
	s_andn2_saveexec_b64 s[40:41], s[42:43]
; %bb.2660:                             ;   in Loop: Header=BB2_2409 Depth=3
	v_or_b32_sdwa v27, v24, s97 dst_sel:DWORD dst_unused:UNUSED_PAD src0_sel:BYTE_3 src1_sel:DWORD
; %bb.2661:                             ;   in Loop: Header=BB2_2409 Depth=3
	s_or_b64 exec, exec, s[40:41]
	v_bfe_u32 v1, v13, 16, 3
	v_bfe_u32 v3, v13, 16, 7
	v_cmp_eq_u32_e64 s[40:41], s97, v3
	v_cmp_gt_u32_e32 vcc, 8, v3
	v_ffbh_u32_e32 v3, v1
	v_min_u32_e32 v3, 32, v3
	v_lshrrev_b32_e32 v30, 16, v13
	v_subrev_u32_e32 v24, 28, v3
	v_lshlrev_b64 v[24:25], v24, v[30:31]
	v_bfe_u32 v4, v30, 3, 4
	v_sub_u32_e32 v3, 29, v3
	v_and_b32_e32 v24, 7, v24
	v_cndmask_b32_e32 v3, v4, v3, vcc
	v_cndmask_b32_e32 v1, v1, v24, vcc
	v_lshlrev_b32_e32 v4, 8, v13
	v_lshlrev_b32_e32 v1, 20, v1
	v_and_b32_e32 v4, 0x80000000, v4
	v_lshl_add_u32 v3, v3, 23, v48
	v_lshrrev_b32_e32 v34, 16, v9
	v_or3_b32 v1, v4, v3, v1
	v_cmp_ne_u16_sdwa s[42:43], v34, v35 src0_sel:BYTE_0 src1_sel:DWORD
	s_mov_b64 s[44:45], -1
	s_and_b64 vcc, exec, s[50:51]
                                        ; implicit-def: $vgpr24
	s_cbranch_vccz .LBB2_2675
; %bb.2662:                             ;   in Loop: Header=BB2_2409 Depth=3
	v_mov_b32_e32 v24, 0
	s_and_saveexec_b64 s[44:45], s[42:43]
	s_cbranch_execz .LBB2_2668
; %bb.2663:                             ;   in Loop: Header=BB2_2409 Depth=3
	v_cmp_ne_u16_sdwa vcc, v34, s59 src0_sel:BYTE_0 src1_sel:DWORD
	v_bfrev_b32_e32 v24, 1
	s_and_saveexec_b64 s[46:47], vcc
	s_cbranch_execz .LBB2_2667
; %bb.2664:                             ;   in Loop: Header=BB2_2409 Depth=3
	v_bfe_u32 v25, v9, 16, 7
	v_cmp_ne_u32_e32 vcc, s97, v25
	v_mov_b32_e32 v24, 0x7f800001
	s_and_saveexec_b64 s[52:53], vcc
	s_cbranch_execz .LBB2_2666
; %bb.2665:                             ;   in Loop: Header=BB2_2409 Depth=3
	v_and_b32_e32 v3, 7, v34
	v_ffbh_u32_e32 v24, v3
	v_min_u32_e32 v31, 32, v24
	v_subrev_u32_e32 v24, 28, v31
	v_lshrrev_b32_e32 v4, 3, v25
	v_cmp_gt_u32_e32 vcc, 8, v25
	v_lshlrev_b64 v[24:25], v24, v[34:35]
	v_sub_u32_e32 v25, 29, v31
	v_and_b32_e32 v24, 7, v24
	v_cndmask_b32_e32 v4, v4, v25, vcc
	v_cndmask_b32_e32 v3, v3, v24, vcc
	v_lshlrev_b32_e32 v24, 24, v34
	v_lshlrev_b32_e32 v3, 20, v3
	v_and_b32_e32 v24, 0x80000000, v24
	v_lshl_add_u32 v4, v4, 23, v48
	v_or3_b32 v24, v24, v4, v3
.LBB2_2666:                             ;   in Loop: Header=BB2_2409 Depth=3
	s_or_b64 exec, exec, s[52:53]
.LBB2_2667:                             ;   in Loop: Header=BB2_2409 Depth=3
	s_or_b64 exec, exec, s[46:47]
.LBB2_2668:                             ;   in Loop: Header=BB2_2409 Depth=3
	s_or_b64 exec, exec, s[44:45]
	v_cmp_gt_i16_sdwa s[46:47], v30, s97 src0_sel:BYTE_0 src1_sel:DWORD
	s_mov_b64 s[44:45], 0
	s_and_saveexec_b64 vcc, s[46:47]
	s_xor_b64 s[46:47], exec, vcc
	s_cbranch_execz .LBB2_3088
; %bb.2669:                             ;   in Loop: Header=BB2_2409 Depth=3
	v_cmp_eq_u16_sdwa s[52:53], v30, s59 src0_sel:BYTE_0 src1_sel:DWORD
	s_mov_b64 s[44:45], -1
	s_and_saveexec_b64 vcc, s[52:53]
; %bb.2670:                             ;   in Loop: Header=BB2_2409 Depth=3
	s_xor_b64 s[44:45], exec, -1
; %bb.2671:                             ;   in Loop: Header=BB2_2409 Depth=3
	s_or_b64 exec, exec, vcc
	s_and_b64 s[44:45], s[44:45], exec
	s_or_saveexec_b64 s[46:47], s[46:47]
	v_bfrev_b32_e32 v25, 1
	s_xor_b64 exec, exec, s[46:47]
	s_cbranch_execnz .LBB2_3089
.LBB2_2672:                             ;   in Loop: Header=BB2_2409 Depth=3
	s_or_b64 exec, exec, s[46:47]
	s_and_saveexec_b64 s[46:47], s[44:45]
.LBB2_2673:                             ;   in Loop: Header=BB2_2409 Depth=3
	v_cndmask_b32_e64 v25, v1, v49, s[40:41]
.LBB2_2674:                             ;   in Loop: Header=BB2_2409 Depth=3
	s_or_b64 exec, exec, s[46:47]
	v_max_f32_e32 v3, v25, v25
	v_max_f32_e32 v4, v24, v24
	;; [unrolled: 1-line block ×3, first 2 shown]
	s_mov_b64 s[44:45], 0
.LBB2_2675:                             ;   in Loop: Header=BB2_2409 Depth=3
	s_and_b64 vcc, exec, s[44:45]
	s_cbranch_vccz .LBB2_2689
; %bb.2676:                             ;   in Loop: Header=BB2_2409 Depth=3
	v_mov_b32_e32 v24, 0
	s_and_saveexec_b64 s[44:45], s[42:43]
	s_cbranch_execz .LBB2_2682
; %bb.2677:                             ;   in Loop: Header=BB2_2409 Depth=3
	v_cmp_ne_u16_sdwa s[46:47], v34, s59 src0_sel:BYTE_0 src1_sel:DWORD
	v_bfrev_b32_e32 v24, 1
	s_and_saveexec_b64 s[42:43], s[46:47]
	s_cbranch_execz .LBB2_2681
; %bb.2678:                             ;   in Loop: Header=BB2_2409 Depth=3
	v_bfe_u32 v25, v9, 16, 7
	v_cmp_ne_u32_e32 vcc, s97, v25
	v_mov_b32_e32 v24, 0x7f800001
	s_and_saveexec_b64 s[46:47], vcc
	s_cbranch_execz .LBB2_2680
; %bb.2679:                             ;   in Loop: Header=BB2_2409 Depth=3
	v_and_b32_e32 v3, 7, v34
	v_ffbh_u32_e32 v24, v3
	v_min_u32_e32 v31, 32, v24
	v_subrev_u32_e32 v24, 28, v31
	v_lshrrev_b32_e32 v4, 3, v25
	v_cmp_gt_u32_e32 vcc, 8, v25
	v_lshlrev_b64 v[24:25], v24, v[34:35]
	v_sub_u32_e32 v25, 29, v31
	v_and_b32_e32 v24, 7, v24
	v_cndmask_b32_e32 v4, v4, v25, vcc
	v_cndmask_b32_e32 v3, v3, v24, vcc
	v_lshlrev_b32_e32 v24, 24, v34
	v_lshlrev_b32_e32 v3, 20, v3
	v_and_b32_e32 v24, 0x80000000, v24
	v_lshl_add_u32 v4, v4, 23, v48
	v_or3_b32 v24, v24, v4, v3
.LBB2_2680:                             ;   in Loop: Header=BB2_2409 Depth=3
	s_or_b64 exec, exec, s[46:47]
.LBB2_2681:                             ;   in Loop: Header=BB2_2409 Depth=3
	s_or_b64 exec, exec, s[42:43]
.LBB2_2682:                             ;   in Loop: Header=BB2_2409 Depth=3
	s_or_b64 exec, exec, s[44:45]
	v_cmp_gt_i16_sdwa s[44:45], v30, s97 src0_sel:BYTE_0 src1_sel:DWORD
	s_mov_b64 s[42:43], 0
	s_and_saveexec_b64 s[46:47], s[44:45]
	s_xor_b64 s[44:45], exec, s[46:47]
	s_cbranch_execz .LBB2_3090
; %bb.2683:                             ;   in Loop: Header=BB2_2409 Depth=3
	v_cmp_eq_u16_sdwa vcc, v30, s59 src0_sel:BYTE_0 src1_sel:DWORD
	s_mov_b64 s[42:43], -1
	s_and_saveexec_b64 s[46:47], vcc
; %bb.2684:                             ;   in Loop: Header=BB2_2409 Depth=3
	s_xor_b64 s[42:43], exec, -1
; %bb.2685:                             ;   in Loop: Header=BB2_2409 Depth=3
	s_or_b64 exec, exec, s[46:47]
	s_and_b64 s[42:43], s[42:43], exec
                                        ; implicit-def: $vgpr30
	s_or_saveexec_b64 s[44:45], s[44:45]
	v_bfrev_b32_e32 v25, 1
	s_xor_b64 exec, exec, s[44:45]
	s_cbranch_execnz .LBB2_3091
.LBB2_2686:                             ;   in Loop: Header=BB2_2409 Depth=3
	s_or_b64 exec, exec, s[44:45]
	s_and_saveexec_b64 s[44:45], s[42:43]
.LBB2_2687:                             ;   in Loop: Header=BB2_2409 Depth=3
	v_cndmask_b32_e64 v25, v1, v49, s[40:41]
.LBB2_2688:                             ;   in Loop: Header=BB2_2409 Depth=3
	s_or_b64 exec, exec, s[44:45]
	v_max_f32_e32 v1, v25, v25
	v_max_f32_e32 v3, v24, v24
	v_min_f32_e32 v24, v3, v1
.LBB2_2689:                             ;   in Loop: Header=BB2_2409 Depth=3
	v_and_b32_e32 v34, 0x7f800000, v24
	v_cmp_ne_u64_e32 vcc, s[90:91], v[34:35]
                                        ; implicit-def: $vgpr31
	s_and_saveexec_b64 s[40:41], vcc
	s_xor_b64 s[42:43], exec, s[40:41]
	s_cbranch_execz .LBB2_2703
; %bb.2690:                             ;   in Loop: Header=BB2_2409 Depth=3
	v_and_b32_e32 v34, 0x7fffffff, v24
	v_cmp_gt_u64_e32 vcc, s[92:93], v[34:35]
	v_and_b32_sdwa v1, v24, s59 dst_sel:DWORD dst_unused:UNUSED_PAD src0_sel:BYTE_3 src1_sel:DWORD
                                        ; implicit-def: $vgpr31
	s_and_saveexec_b64 s[40:41], vcc
	s_xor_b64 s[44:45], exec, s[40:41]
	s_cbranch_execz .LBB2_2700
; %bb.2691:                             ;   in Loop: Header=BB2_2409 Depth=3
	v_mov_b32_e32 v31, 0
	v_cmp_ne_u32_e32 vcc, 0, v24
	s_and_saveexec_b64 s[46:47], vcc
	s_cbranch_execz .LBB2_2699
; %bb.2692:                             ;   in Loop: Header=BB2_2409 Depth=3
	v_and_b32_e32 v3, 0x7fffff, v24
	v_bfe_u32 v24, v24, 23, 8
	v_cmp_gt_u32_e64 s[40:41], s56, v24
	v_sub_u32_e32 v4, 0x79, v24
	v_cmp_eq_u32_e32 vcc, 0, v24
	v_cndmask_b32_e64 v4, 0, v4, s[40:41]
	v_mov_b32_e32 v25, 0x78
	v_or_b32_e32 v30, 0x800000, v3
	v_cndmask_b32_e32 v25, v4, v25, vcc
	v_cndmask_b32_e32 v34, v30, v3, vcc
	v_add_u32_e32 v3, 20, v25
	v_lshlrev_b64 v[30:31], v3, -1
	v_add_u32_e32 v3, 19, v25
	v_lshlrev_b64 v[57:58], v3, 1
	v_bfi_b32 v31, v31, 0, 0
	v_bfi_b32 v30, v30, 0, v34
	v_cmp_eq_u64_e64 s[40:41], v[30:31], v[57:58]
	v_lshrrev_b64 v[57:58], v25, v[34:35]
	v_mov_b32_e32 v59, v58
	v_mov_b32_e32 v58, v57
	s_and_saveexec_b64 s[52:53], s[40:41]
; %bb.2693:                             ;   in Loop: Header=BB2_2409 Depth=3
	v_bfe_u32 v3, v57, 20, 1
	v_add_co_u32_e64 v3, s[40:41], v57, v3
	v_add_co_u32_e64 v58, s[40:41], -1, v3
; %bb.2694:                             ;   in Loop: Header=BB2_2409 Depth=3
	s_or_b64 exec, exec, s[52:53]
	v_add_u32_e32 v3, 0xffffff81, v24
	v_cndmask_b32_e32 v3, v3, v52, vcc
	v_lshrrev_b32_e32 v4, 23, v57
	v_add3_u32 v30, v25, v3, v4
	v_add_u32_e32 v25, 6, v30
	v_and_b32_e32 v3, 0xfffff, v58
	v_add_u32_e32 v34, v3, v57
	v_cmp_ne_u32_e32 vcc, 0, v25
                                        ; implicit-def: $vgpr57_vgpr58
                                        ; implicit-def: $vgpr24
	s_and_saveexec_b64 s[40:41], vcc
	s_xor_b64 s[40:41], exec, s[40:41]
; %bb.2695:                             ;   in Loop: Header=BB2_2409 Depth=3
	v_cmp_lt_u64_e32 vcc, s[94:95], v[34:35]
	v_add_u32_e32 v3, 7, v30
	v_cndmask_b32_e32 v24, v25, v3, vcc
	v_cndmask_b32_e64 v3, 0, 1, vcc
	v_lshrrev_b64 v[57:58], v3, v[34:35]
; %bb.2696:                             ;   in Loop: Header=BB2_2409 Depth=3
	s_andn2_saveexec_b64 s[40:41], s[40:41]
; %bb.2697:                             ;   in Loop: Header=BB2_2409 Depth=3
	v_mov_b32_e32 v58, v35
	v_bfe_u32 v24, v34, 23, 1
	v_mov_b32_e32 v57, v34
; %bb.2698:                             ;   in Loop: Header=BB2_2409 Depth=3
	s_or_b64 exec, exec, s[40:41]
	v_lshrrev_b64 v[30:31], 20, v[57:58]
	v_cmp_gt_i32_e32 vcc, 16, v24
	v_cndmask_b32_e32 v31, 0, v31, vcc
	v_cndmask_b32_e32 v30, 7, v30, vcc
	v_min_i32_e32 v3, 15, v24
	v_cmp_eq_u64_e64 s[40:41], 0, v[30:31]
	v_lshlrev_b32_e32 v3, 3, v3
	v_cmp_eq_u32_e32 vcc, 0, v24
	v_and_b32_e32 v3, 0xf8, v3
	v_and_or_b32 v3, v30, 7, v3
	s_and_b64 s[40:41], vcc, s[40:41]
	v_cndmask_b32_e64 v3, v3, 0, s[40:41]
	v_or_b32_e32 v31, v3, v1
.LBB2_2699:                             ;   in Loop: Header=BB2_2409 Depth=3
	s_or_b64 exec, exec, s[46:47]
                                        ; implicit-def: $vgpr1
.LBB2_2700:                             ;   in Loop: Header=BB2_2409 Depth=3
	s_andn2_saveexec_b64 s[40:41], s[44:45]
; %bb.2701:                             ;   in Loop: Header=BB2_2409 Depth=3
	v_or_b32_e32 v31, 0x7e, v1
; %bb.2702:                             ;   in Loop: Header=BB2_2409 Depth=3
	s_or_b64 exec, exec, s[40:41]
                                        ; implicit-def: $vgpr24
.LBB2_2703:                             ;   in Loop: Header=BB2_2409 Depth=3
	s_andn2_saveexec_b64 s[40:41], s[42:43]
; %bb.2704:                             ;   in Loop: Header=BB2_2409 Depth=3
	v_or_b32_sdwa v31, v24, s97 dst_sel:DWORD dst_unused:UNUSED_PAD src0_sel:BYTE_3 src1_sel:DWORD
; %bb.2705:                             ;   in Loop: Header=BB2_2409 Depth=3
	s_or_b64 exec, exec, s[40:41]
	v_bfe_u32 v3, v13, 24, 3
	v_bfe_u32 v4, v13, 24, 7
	v_cmp_eq_u32_e64 s[44:45], s97, v4
	v_cmp_gt_u32_e32 vcc, 8, v4
	v_ffbh_u32_e32 v4, v3
	v_min_u32_e32 v4, 32, v4
	v_lshrrev_b32_e32 v1, 24, v13
	v_subrev_u32_e32 v24, 28, v4
	v_lshlrev_b64 v[24:25], v24, v[1:2]
	v_cmp_gt_u64_e64 s[40:41], s[60:61], v[12:13]
	v_bfe_u32 v12, v1, 3, 4
	v_cmp_eq_u32_e64 s[42:43], s59, v1
	v_sub_u32_e32 v1, 29, v4
	v_and_b32_e32 v4, 7, v24
	v_cndmask_b32_e32 v1, v12, v1, vcc
	v_cndmask_b32_e32 v3, v3, v4, vcc
	v_lshlrev_b32_e32 v3, 20, v3
	v_and_b32_e32 v4, 0x80000000, v13
	v_lshl_add_u32 v1, v1, 23, v48
	v_cmp_lt_u64_e64 s[46:47], s[62:63], v[8:9]
	v_lshrrev_b32_e32 v30, 24, v9
	v_or3_b32 v1, v4, v1, v3
	s_mov_b64 s[52:53], -1
	s_and_b64 vcc, exec, s[50:51]
                                        ; implicit-def: $vgpr8
	s_cbranch_vccz .LBB2_2713
; %bb.2706:                             ;   in Loop: Header=BB2_2409 Depth=3
	v_mov_b32_e32 v8, 0
	s_and_saveexec_b64 s[52:53], s[46:47]
	s_cbranch_execz .LBB2_2712
; %bb.2707:                             ;   in Loop: Header=BB2_2409 Depth=3
	v_cmp_ne_u32_e32 vcc, s59, v30
	v_bfrev_b32_e32 v8, 1
	s_and_saveexec_b64 s[54:55], vcc
	s_cbranch_execz .LBB2_2711
; %bb.2708:                             ;   in Loop: Header=BB2_2409 Depth=3
	v_bfe_u32 v12, v9, 24, 7
	v_cmp_ne_u32_e32 vcc, s97, v12
	v_mov_b32_e32 v8, 0x7f800001
	s_and_saveexec_b64 s[64:65], vcc
	s_cbranch_execz .LBB2_2710
; %bb.2709:                             ;   in Loop: Header=BB2_2409 Depth=3
	v_and_b32_e32 v3, 7, v30
	v_ffbh_u32_e32 v8, v3
	v_min_u32_e32 v8, 32, v8
	v_lshrrev_b32_e32 v4, 3, v12
	v_cmp_gt_u32_e32 vcc, 8, v12
	v_subrev_u32_e32 v12, 28, v8
	v_lshlrev_b64 v[12:13], v12, v[30:31]
	v_sub_u32_e32 v8, 29, v8
	v_and_b32_e32 v12, 7, v12
	v_cndmask_b32_e32 v4, v4, v8, vcc
	v_cndmask_b32_e32 v3, v3, v12, vcc
	v_lshlrev_b32_e32 v8, 24, v30
	v_lshlrev_b32_e32 v3, 20, v3
	v_and_b32_e32 v8, 0x80000000, v8
	v_lshl_add_u32 v4, v4, 23, v48
	v_or3_b32 v8, v8, v4, v3
.LBB2_2710:                             ;   in Loop: Header=BB2_2409 Depth=3
	s_or_b64 exec, exec, s[64:65]
.LBB2_2711:                             ;   in Loop: Header=BB2_2409 Depth=3
	s_or_b64 exec, exec, s[54:55]
.LBB2_2712:                             ;   in Loop: Header=BB2_2409 Depth=3
	s_or_b64 exec, exec, s[52:53]
	v_cndmask_b32_e64 v3, v1, v49, s[44:45]
	v_cndmask_b32_e64 v3, v3, v0, s[42:43]
	;; [unrolled: 1-line block ×3, first 2 shown]
	v_max_f32_e32 v3, v3, v3
	v_max_f32_e32 v4, v8, v8
	;; [unrolled: 1-line block ×3, first 2 shown]
	s_mov_b64 s[52:53], 0
.LBB2_2713:                             ;   in Loop: Header=BB2_2409 Depth=3
	s_and_b64 vcc, exec, s[52:53]
	s_cbranch_vccz .LBB2_2721
; %bb.2714:                             ;   in Loop: Header=BB2_2409 Depth=3
	v_mov_b32_e32 v8, 0
	s_and_saveexec_b64 s[52:53], s[46:47]
	s_cbranch_execz .LBB2_2720
; %bb.2715:                             ;   in Loop: Header=BB2_2409 Depth=3
	v_cmp_ne_u32_e32 vcc, s59, v30
	v_bfrev_b32_e32 v8, 1
	s_and_saveexec_b64 s[46:47], vcc
	s_cbranch_execz .LBB2_2719
; %bb.2716:                             ;   in Loop: Header=BB2_2409 Depth=3
	v_bfe_u32 v9, v9, 24, 7
	v_cmp_ne_u32_e32 vcc, s97, v9
	v_mov_b32_e32 v8, 0x7f800001
	s_and_saveexec_b64 s[54:55], vcc
	s_cbranch_execz .LBB2_2718
; %bb.2717:                             ;   in Loop: Header=BB2_2409 Depth=3
	v_and_b32_e32 v3, 7, v30
	v_ffbh_u32_e32 v8, v3
	v_min_u32_e32 v12, 32, v8
	v_subrev_u32_e32 v8, 28, v12
	v_lshrrev_b32_e32 v4, 3, v9
	v_cmp_gt_u32_e32 vcc, 8, v9
	v_lshlrev_b64 v[8:9], v8, v[30:31]
	v_sub_u32_e32 v9, 29, v12
	v_and_b32_e32 v8, 7, v8
	v_cndmask_b32_e32 v4, v4, v9, vcc
	v_cndmask_b32_e32 v3, v3, v8, vcc
	v_lshlrev_b32_e32 v8, 24, v30
	v_lshlrev_b32_e32 v3, 20, v3
	v_and_b32_e32 v8, 0x80000000, v8
	v_lshl_add_u32 v4, v4, 23, v48
	v_or3_b32 v8, v8, v4, v3
.LBB2_2718:                             ;   in Loop: Header=BB2_2409 Depth=3
	s_or_b64 exec, exec, s[54:55]
.LBB2_2719:                             ;   in Loop: Header=BB2_2409 Depth=3
	s_or_b64 exec, exec, s[46:47]
.LBB2_2720:                             ;   in Loop: Header=BB2_2409 Depth=3
	s_or_b64 exec, exec, s[52:53]
	v_cndmask_b32_e64 v1, v1, v49, s[44:45]
	v_cndmask_b32_e64 v1, v1, v0, s[42:43]
	;; [unrolled: 1-line block ×3, first 2 shown]
	v_max_f32_e32 v1, v1, v1
	v_max_f32_e32 v3, v8, v8
	v_min_f32_e32 v8, v3, v1
.LBB2_2721:                             ;   in Loop: Header=BB2_2409 Depth=3
	v_and_b32_e32 v34, 0x7f800000, v8
	v_cmp_ne_u64_e32 vcc, s[90:91], v[34:35]
                                        ; implicit-def: $vgpr30
	s_and_saveexec_b64 s[40:41], vcc
	s_xor_b64 s[42:43], exec, s[40:41]
	s_cbranch_execz .LBB2_2735
; %bb.2722:                             ;   in Loop: Header=BB2_2409 Depth=3
	v_and_b32_e32 v34, 0x7fffffff, v8
	v_cmp_gt_u64_e32 vcc, s[92:93], v[34:35]
	v_and_b32_sdwa v1, v8, s59 dst_sel:DWORD dst_unused:UNUSED_PAD src0_sel:BYTE_3 src1_sel:DWORD
                                        ; implicit-def: $vgpr30
	s_and_saveexec_b64 s[40:41], vcc
	s_xor_b64 s[44:45], exec, s[40:41]
	s_cbranch_execz .LBB2_2732
; %bb.2723:                             ;   in Loop: Header=BB2_2409 Depth=3
	v_mov_b32_e32 v30, 0
	v_cmp_ne_u32_e32 vcc, 0, v8
	s_and_saveexec_b64 s[46:47], vcc
	s_cbranch_execz .LBB2_2731
; %bb.2724:                             ;   in Loop: Header=BB2_2409 Depth=3
	v_bfe_u32 v24, v8, 23, 8
	v_cmp_gt_u32_e64 s[40:41], s56, v24
	v_sub_u32_e32 v4, 0x79, v24
	v_and_b32_e32 v3, 0x7fffff, v8
	v_cmp_eq_u32_e32 vcc, 0, v24
	v_cndmask_b32_e64 v4, 0, v4, s[40:41]
	v_mov_b32_e32 v9, 0x78
	v_or_b32_e32 v8, 0x800000, v3
	v_cndmask_b32_e32 v25, v4, v9, vcc
	v_cndmask_b32_e32 v34, v8, v3, vcc
	v_add_u32_e32 v3, 20, v25
	v_lshlrev_b64 v[8:9], v3, -1
	v_add_u32_e32 v3, 19, v25
	v_lshlrev_b64 v[12:13], v3, 1
	v_bfi_b32 v9, v9, 0, 0
	v_bfi_b32 v8, v8, 0, v34
	v_cmp_eq_u64_e64 s[40:41], v[8:9], v[12:13]
	v_lshrrev_b64 v[8:9], v25, v[34:35]
	v_mov_b32_e32 v13, v9
	v_mov_b32_e32 v12, v8
	s_and_saveexec_b64 s[52:53], s[40:41]
; %bb.2725:                             ;   in Loop: Header=BB2_2409 Depth=3
	v_bfe_u32 v3, v8, 20, 1
	v_add_co_u32_e64 v3, s[40:41], v8, v3
	v_add_co_u32_e64 v12, s[40:41], -1, v3
; %bb.2726:                             ;   in Loop: Header=BB2_2409 Depth=3
	s_or_b64 exec, exec, s[52:53]
	v_add_u32_e32 v3, 0xffffff81, v24
	v_cndmask_b32_e32 v3, v3, v52, vcc
	v_lshrrev_b32_e32 v4, 23, v8
	v_add3_u32 v24, v25, v3, v4
	v_add_u32_e32 v13, 6, v24
	v_and_b32_e32 v3, 0xfffff, v12
	v_add_u32_e32 v34, v3, v8
	v_cmp_ne_u32_e32 vcc, 0, v13
                                        ; implicit-def: $vgpr8_vgpr9
                                        ; implicit-def: $vgpr12
	s_and_saveexec_b64 s[40:41], vcc
	s_xor_b64 s[40:41], exec, s[40:41]
; %bb.2727:                             ;   in Loop: Header=BB2_2409 Depth=3
	v_cmp_lt_u64_e32 vcc, s[94:95], v[34:35]
	v_add_u32_e32 v3, 7, v24
	v_cndmask_b32_e32 v12, v13, v3, vcc
	v_cndmask_b32_e64 v3, 0, 1, vcc
	v_lshrrev_b64 v[8:9], v3, v[34:35]
; %bb.2728:                             ;   in Loop: Header=BB2_2409 Depth=3
	s_andn2_saveexec_b64 s[40:41], s[40:41]
; %bb.2729:                             ;   in Loop: Header=BB2_2409 Depth=3
	v_mov_b32_e32 v8, v34
	v_bfe_u32 v12, v34, 23, 1
	v_mov_b32_e32 v9, v35
; %bb.2730:                             ;   in Loop: Header=BB2_2409 Depth=3
	s_or_b64 exec, exec, s[40:41]
	v_lshrrev_b64 v[8:9], 20, v[8:9]
	v_cmp_gt_i32_e32 vcc, 16, v12
	v_cndmask_b32_e32 v9, 0, v9, vcc
	v_cndmask_b32_e32 v8, 7, v8, vcc
	v_min_i32_e32 v3, 15, v12
	v_cmp_eq_u64_e64 s[40:41], 0, v[8:9]
	v_lshlrev_b32_e32 v3, 3, v3
	v_cmp_eq_u32_e32 vcc, 0, v12
	v_and_b32_e32 v3, 0xf8, v3
	v_and_or_b32 v3, v8, 7, v3
	s_and_b64 s[40:41], vcc, s[40:41]
	v_cndmask_b32_e64 v3, v3, 0, s[40:41]
	v_or_b32_e32 v30, v3, v1
.LBB2_2731:                             ;   in Loop: Header=BB2_2409 Depth=3
	s_or_b64 exec, exec, s[46:47]
                                        ; implicit-def: $vgpr1
.LBB2_2732:                             ;   in Loop: Header=BB2_2409 Depth=3
	s_andn2_saveexec_b64 s[40:41], s[44:45]
; %bb.2733:                             ;   in Loop: Header=BB2_2409 Depth=3
	v_or_b32_e32 v30, 0x7e, v1
; %bb.2734:                             ;   in Loop: Header=BB2_2409 Depth=3
	s_or_b64 exec, exec, s[40:41]
                                        ; implicit-def: $vgpr8
.LBB2_2735:                             ;   in Loop: Header=BB2_2409 Depth=3
	s_andn2_saveexec_b64 s[40:41], s[42:43]
; %bb.2736:                             ;   in Loop: Header=BB2_2409 Depth=3
	v_or_b32_sdwa v30, v8, s97 dst_sel:DWORD dst_unused:UNUSED_PAD src0_sel:BYTE_3 src1_sel:DWORD
; %bb.2737:                             ;   in Loop: Header=BB2_2409 Depth=3
	s_or_b64 exec, exec, s[40:41]
	v_and_b32_e32 v1, 7, v14
	v_ffbh_u32_e32 v1, v1
	v_and_b32_e32 v3, 0x7f, v14
	v_min_u32_e32 v1, 32, v1
	v_cmp_eq_u32_e64 s[40:41], s97, v3
	v_cmp_gt_u32_e32 vcc, 8, v3
	v_subrev_u32_e32 v3, 28, v1
	v_cndmask_b32_e32 v3, 0, v3, vcc
	v_lshlrev_b64 v[8:9], v3, v[14:15]
	v_bfe_u32 v4, v14, 3, 4
	v_sub_u32_e32 v1, 29, v1
	v_cndmask_b32_e32 v1, v4, v1, vcc
	v_lshlrev_b32_e32 v3, 20, v8
	v_lshlrev_b32_e32 v4, 24, v14
	v_and_b32_e32 v3, 0x700000, v3
	v_and_b32_e32 v4, 0x80000000, v4
	v_lshl_add_u32 v1, v1, 23, v48
	v_or3_b32 v1, v4, v1, v3
	v_cmp_ne_u16_sdwa s[42:43], v10, v35 src0_sel:BYTE_0 src1_sel:DWORD
	s_mov_b64 s[44:45], -1
	s_and_b64 vcc, exec, s[50:51]
                                        ; implicit-def: $vgpr8
	s_cbranch_vccz .LBB2_2751
; %bb.2738:                             ;   in Loop: Header=BB2_2409 Depth=3
	v_mov_b32_e32 v8, 0
	s_and_saveexec_b64 s[44:45], s[42:43]
	s_cbranch_execz .LBB2_2744
; %bb.2739:                             ;   in Loop: Header=BB2_2409 Depth=3
	v_cmp_ne_u16_sdwa vcc, v10, s59 src0_sel:BYTE_0 src1_sel:DWORD
	v_bfrev_b32_e32 v8, 1
	s_and_saveexec_b64 s[46:47], vcc
	s_cbranch_execz .LBB2_2743
; %bb.2740:                             ;   in Loop: Header=BB2_2409 Depth=3
	v_and_b32_e32 v9, 0x7f, v10
	v_cmp_ne_u32_e32 vcc, s97, v9
	v_mov_b32_e32 v8, 0x7f800001
	s_and_saveexec_b64 s[52:53], vcc
	s_cbranch_execz .LBB2_2742
; %bb.2741:                             ;   in Loop: Header=BB2_2409 Depth=3
	v_and_b32_e32 v3, 7, v10
	v_ffbh_u32_e32 v3, v3
	v_min_u32_e32 v3, 32, v3
	v_lshrrev_b32_e32 v4, 3, v9
	v_cmp_gt_u32_e32 vcc, 8, v9
	v_subrev_u32_e32 v8, 28, v3
	v_sub_u32_e32 v3, 29, v3
	v_cndmask_b32_e32 v3, v4, v3, vcc
	v_cndmask_b32_e32 v4, 0, v8, vcc
	v_lshlrev_b64 v[8:9], v4, v[10:11]
	v_lshl_add_u32 v3, v3, 23, v48
	v_lshlrev_b32_e32 v4, 20, v8
	v_lshlrev_b32_e32 v8, 24, v10
	v_and_b32_e32 v4, 0x700000, v4
	v_and_b32_e32 v8, 0x80000000, v8
	v_or3_b32 v8, v8, v3, v4
.LBB2_2742:                             ;   in Loop: Header=BB2_2409 Depth=3
	s_or_b64 exec, exec, s[52:53]
.LBB2_2743:                             ;   in Loop: Header=BB2_2409 Depth=3
	s_or_b64 exec, exec, s[46:47]
.LBB2_2744:                             ;   in Loop: Header=BB2_2409 Depth=3
	s_or_b64 exec, exec, s[44:45]
	v_cmp_gt_i16_sdwa s[46:47], v14, s97 src0_sel:BYTE_0 src1_sel:DWORD
	s_mov_b64 s[44:45], 0
	s_and_saveexec_b64 vcc, s[46:47]
	s_xor_b64 s[46:47], exec, vcc
	s_cbranch_execz .LBB2_3092
; %bb.2745:                             ;   in Loop: Header=BB2_2409 Depth=3
	v_cmp_eq_u16_sdwa s[52:53], v14, s59 src0_sel:BYTE_0 src1_sel:DWORD
	s_mov_b64 s[44:45], -1
	s_and_saveexec_b64 vcc, s[52:53]
; %bb.2746:                             ;   in Loop: Header=BB2_2409 Depth=3
	s_xor_b64 s[44:45], exec, -1
; %bb.2747:                             ;   in Loop: Header=BB2_2409 Depth=3
	s_or_b64 exec, exec, vcc
	s_and_b64 s[44:45], s[44:45], exec
	s_or_saveexec_b64 s[46:47], s[46:47]
	v_bfrev_b32_e32 v9, 1
	s_xor_b64 exec, exec, s[46:47]
	s_cbranch_execnz .LBB2_3093
.LBB2_2748:                             ;   in Loop: Header=BB2_2409 Depth=3
	s_or_b64 exec, exec, s[46:47]
	s_and_saveexec_b64 s[46:47], s[44:45]
.LBB2_2749:                             ;   in Loop: Header=BB2_2409 Depth=3
	v_cndmask_b32_e64 v9, v1, v49, s[40:41]
.LBB2_2750:                             ;   in Loop: Header=BB2_2409 Depth=3
	s_or_b64 exec, exec, s[46:47]
	v_max_f32_e32 v3, v9, v9
	v_max_f32_e32 v4, v8, v8
	;; [unrolled: 1-line block ×3, first 2 shown]
	s_mov_b64 s[44:45], 0
.LBB2_2751:                             ;   in Loop: Header=BB2_2409 Depth=3
	s_and_b64 vcc, exec, s[44:45]
	s_cbranch_vccz .LBB2_2765
; %bb.2752:                             ;   in Loop: Header=BB2_2409 Depth=3
	v_mov_b32_e32 v8, 0
	s_and_saveexec_b64 s[44:45], s[42:43]
	s_cbranch_execz .LBB2_2758
; %bb.2753:                             ;   in Loop: Header=BB2_2409 Depth=3
	v_cmp_ne_u16_sdwa s[46:47], v10, s59 src0_sel:BYTE_0 src1_sel:DWORD
	v_bfrev_b32_e32 v8, 1
	s_and_saveexec_b64 s[42:43], s[46:47]
	s_cbranch_execz .LBB2_2757
; %bb.2754:                             ;   in Loop: Header=BB2_2409 Depth=3
	v_and_b32_e32 v9, 0x7f, v10
	v_cmp_ne_u32_e32 vcc, s97, v9
	v_mov_b32_e32 v8, 0x7f800001
	s_and_saveexec_b64 s[46:47], vcc
	s_cbranch_execz .LBB2_2756
; %bb.2755:                             ;   in Loop: Header=BB2_2409 Depth=3
	v_and_b32_e32 v3, 7, v10
	v_ffbh_u32_e32 v3, v3
	v_min_u32_e32 v3, 32, v3
	v_lshrrev_b32_e32 v4, 3, v9
	v_cmp_gt_u32_e32 vcc, 8, v9
	v_subrev_u32_e32 v8, 28, v3
	v_sub_u32_e32 v3, 29, v3
	v_cndmask_b32_e32 v3, v4, v3, vcc
	v_cndmask_b32_e32 v4, 0, v8, vcc
	v_lshlrev_b64 v[8:9], v4, v[10:11]
	v_lshl_add_u32 v3, v3, 23, v48
	v_lshlrev_b32_e32 v4, 20, v8
	v_lshlrev_b32_e32 v8, 24, v10
	v_and_b32_e32 v4, 0x700000, v4
	v_and_b32_e32 v8, 0x80000000, v8
	v_or3_b32 v8, v8, v3, v4
.LBB2_2756:                             ;   in Loop: Header=BB2_2409 Depth=3
	s_or_b64 exec, exec, s[46:47]
.LBB2_2757:                             ;   in Loop: Header=BB2_2409 Depth=3
	s_or_b64 exec, exec, s[42:43]
.LBB2_2758:                             ;   in Loop: Header=BB2_2409 Depth=3
	s_or_b64 exec, exec, s[44:45]
	v_cmp_gt_i16_sdwa s[44:45], v14, s97 src0_sel:BYTE_0 src1_sel:DWORD
	s_mov_b64 s[42:43], 0
	s_and_saveexec_b64 s[46:47], s[44:45]
	s_xor_b64 s[44:45], exec, s[46:47]
	s_cbranch_execz .LBB2_3094
; %bb.2759:                             ;   in Loop: Header=BB2_2409 Depth=3
	v_cmp_eq_u16_sdwa vcc, v14, s59 src0_sel:BYTE_0 src1_sel:DWORD
	s_mov_b64 s[42:43], -1
	s_and_saveexec_b64 s[46:47], vcc
; %bb.2760:                             ;   in Loop: Header=BB2_2409 Depth=3
	s_xor_b64 s[42:43], exec, -1
; %bb.2761:                             ;   in Loop: Header=BB2_2409 Depth=3
	s_or_b64 exec, exec, s[46:47]
	s_and_b64 s[42:43], s[42:43], exec
	s_or_saveexec_b64 s[44:45], s[44:45]
	v_bfrev_b32_e32 v9, 1
	s_xor_b64 exec, exec, s[44:45]
	s_cbranch_execnz .LBB2_3095
.LBB2_2762:                             ;   in Loop: Header=BB2_2409 Depth=3
	s_or_b64 exec, exec, s[44:45]
	s_and_saveexec_b64 s[44:45], s[42:43]
.LBB2_2763:                             ;   in Loop: Header=BB2_2409 Depth=3
	v_cndmask_b32_e64 v9, v1, v49, s[40:41]
.LBB2_2764:                             ;   in Loop: Header=BB2_2409 Depth=3
	s_or_b64 exec, exec, s[44:45]
	v_max_f32_e32 v1, v9, v9
	v_max_f32_e32 v3, v8, v8
	v_min_f32_e32 v8, v3, v1
.LBB2_2765:                             ;   in Loop: Header=BB2_2409 Depth=3
	v_and_b32_e32 v34, 0x7f800000, v8
	v_cmp_ne_u64_e32 vcc, s[90:91], v[34:35]
                                        ; implicit-def: $vgpr36
	s_and_saveexec_b64 s[40:41], vcc
	s_xor_b64 s[42:43], exec, s[40:41]
	s_cbranch_execz .LBB2_2779
; %bb.2766:                             ;   in Loop: Header=BB2_2409 Depth=3
	v_and_b32_e32 v34, 0x7fffffff, v8
	v_cmp_gt_u64_e32 vcc, s[92:93], v[34:35]
	v_and_b32_sdwa v1, v8, s59 dst_sel:DWORD dst_unused:UNUSED_PAD src0_sel:BYTE_3 src1_sel:DWORD
                                        ; implicit-def: $vgpr36
	s_and_saveexec_b64 s[40:41], vcc
	s_xor_b64 s[44:45], exec, s[40:41]
	s_cbranch_execz .LBB2_2776
; %bb.2767:                             ;   in Loop: Header=BB2_2409 Depth=3
	v_mov_b32_e32 v36, 0
	v_cmp_ne_u32_e32 vcc, 0, v8
	s_and_saveexec_b64 s[46:47], vcc
	s_cbranch_execz .LBB2_2775
; %bb.2768:                             ;   in Loop: Header=BB2_2409 Depth=3
	v_bfe_u32 v24, v8, 23, 8
	v_cmp_gt_u32_e64 s[40:41], s56, v24
	v_sub_u32_e32 v4, 0x79, v24
	v_and_b32_e32 v3, 0x7fffff, v8
	v_cmp_eq_u32_e32 vcc, 0, v24
	v_cndmask_b32_e64 v4, 0, v4, s[40:41]
	v_mov_b32_e32 v9, 0x78
	v_or_b32_e32 v8, 0x800000, v3
	v_cndmask_b32_e32 v25, v4, v9, vcc
	v_cndmask_b32_e32 v34, v8, v3, vcc
	v_add_u32_e32 v3, 20, v25
	v_lshlrev_b64 v[8:9], v3, -1
	v_add_u32_e32 v3, 19, v25
	v_lshlrev_b64 v[12:13], v3, 1
	v_bfi_b32 v9, v9, 0, 0
	v_bfi_b32 v8, v8, 0, v34
	v_cmp_eq_u64_e64 s[40:41], v[8:9], v[12:13]
	v_lshrrev_b64 v[8:9], v25, v[34:35]
	v_mov_b32_e32 v13, v9
	v_mov_b32_e32 v12, v8
	s_and_saveexec_b64 s[52:53], s[40:41]
; %bb.2769:                             ;   in Loop: Header=BB2_2409 Depth=3
	v_bfe_u32 v3, v8, 20, 1
	v_add_co_u32_e64 v3, s[40:41], v8, v3
	v_add_co_u32_e64 v12, s[40:41], -1, v3
; %bb.2770:                             ;   in Loop: Header=BB2_2409 Depth=3
	s_or_b64 exec, exec, s[52:53]
	v_add_u32_e32 v3, 0xffffff81, v24
	v_cndmask_b32_e32 v3, v3, v52, vcc
	v_lshrrev_b32_e32 v4, 23, v8
	v_add3_u32 v24, v25, v3, v4
	v_add_u32_e32 v13, 6, v24
	v_and_b32_e32 v3, 0xfffff, v12
	v_add_u32_e32 v34, v3, v8
	v_cmp_ne_u32_e32 vcc, 0, v13
                                        ; implicit-def: $vgpr8_vgpr9
                                        ; implicit-def: $vgpr12
	s_and_saveexec_b64 s[40:41], vcc
	s_xor_b64 s[40:41], exec, s[40:41]
; %bb.2771:                             ;   in Loop: Header=BB2_2409 Depth=3
	v_cmp_lt_u64_e32 vcc, s[94:95], v[34:35]
	v_add_u32_e32 v3, 7, v24
	v_cndmask_b32_e32 v12, v13, v3, vcc
	v_cndmask_b32_e64 v3, 0, 1, vcc
	v_lshrrev_b64 v[8:9], v3, v[34:35]
; %bb.2772:                             ;   in Loop: Header=BB2_2409 Depth=3
	s_andn2_saveexec_b64 s[40:41], s[40:41]
; %bb.2773:                             ;   in Loop: Header=BB2_2409 Depth=3
	v_mov_b32_e32 v8, v34
	v_bfe_u32 v12, v34, 23, 1
	v_mov_b32_e32 v9, v35
; %bb.2774:                             ;   in Loop: Header=BB2_2409 Depth=3
	s_or_b64 exec, exec, s[40:41]
	v_lshrrev_b64 v[8:9], 20, v[8:9]
	v_cmp_gt_i32_e32 vcc, 16, v12
	v_cndmask_b32_e32 v9, 0, v9, vcc
	v_cndmask_b32_e32 v8, 7, v8, vcc
	v_min_i32_e32 v3, 15, v12
	v_cmp_eq_u64_e64 s[40:41], 0, v[8:9]
	v_lshlrev_b32_e32 v3, 3, v3
	v_cmp_eq_u32_e32 vcc, 0, v12
	v_and_b32_e32 v3, 0xf8, v3
	v_and_or_b32 v3, v8, 7, v3
	s_and_b64 s[40:41], vcc, s[40:41]
	v_cndmask_b32_e64 v3, v3, 0, s[40:41]
	v_or_b32_e32 v36, v3, v1
.LBB2_2775:                             ;   in Loop: Header=BB2_2409 Depth=3
	s_or_b64 exec, exec, s[46:47]
                                        ; implicit-def: $vgpr1
.LBB2_2776:                             ;   in Loop: Header=BB2_2409 Depth=3
	s_andn2_saveexec_b64 s[40:41], s[44:45]
; %bb.2777:                             ;   in Loop: Header=BB2_2409 Depth=3
	v_or_b32_e32 v36, 0x7e, v1
; %bb.2778:                             ;   in Loop: Header=BB2_2409 Depth=3
	s_or_b64 exec, exec, s[40:41]
                                        ; implicit-def: $vgpr8
.LBB2_2779:                             ;   in Loop: Header=BB2_2409 Depth=3
	s_andn2_saveexec_b64 s[40:41], s[42:43]
; %bb.2780:                             ;   in Loop: Header=BB2_2409 Depth=3
	v_or_b32_sdwa v36, v8, s97 dst_sel:DWORD dst_unused:UNUSED_PAD src0_sel:BYTE_3 src1_sel:DWORD
; %bb.2781:                             ;   in Loop: Header=BB2_2409 Depth=3
	s_or_b64 exec, exec, s[40:41]
	v_lshrrev_b16_e32 v34, 8, v14
	v_and_b32_e32 v1, 7, v34
	v_and_b32_e32 v3, 0x7f, v34
	v_cmp_eq_u32_e64 s[40:41], s97, v3
	v_cmp_gt_u32_e32 vcc, 8, v3
	v_ffbh_u32_e32 v3, v1
	v_min_u32_e32 v3, 32, v3
	v_subrev_u32_e32 v9, 28, v3
	v_lshlrev_b64 v[12:13], v9, v[34:35]
	v_bfe_u32 v4, v34, 3, 4
	v_sub_u32_e32 v3, 29, v3
	v_and_b32_e32 v9, 7, v12
	v_cndmask_b32_e32 v3, v4, v3, vcc
	v_cndmask_b32_e32 v1, v1, v9, vcc
	v_lshlrev_b32_e32 v4, 24, v34
	v_lshrrev_b16_e32 v8, 8, v10
	v_lshlrev_b32_e32 v1, 20, v1
	v_and_b32_e32 v4, 0x80000000, v4
	v_lshl_add_u32 v3, v3, 23, v48
	v_or3_b32 v1, v4, v3, v1
	v_cmp_ne_u16_e64 s[42:43], 0, v8
	s_mov_b64 s[44:45], -1
	s_and_b64 vcc, exec, s[50:51]
                                        ; implicit-def: $vgpr9
	s_cbranch_vccz .LBB2_2795
; %bb.2782:                             ;   in Loop: Header=BB2_2409 Depth=3
	v_mov_b32_e32 v9, 0
	s_and_saveexec_b64 s[44:45], s[42:43]
	s_cbranch_execz .LBB2_2788
; %bb.2783:                             ;   in Loop: Header=BB2_2409 Depth=3
	v_cmp_ne_u16_e32 vcc, s59, v8
	v_bfrev_b32_e32 v9, 1
	s_and_saveexec_b64 s[46:47], vcc
	s_cbranch_execz .LBB2_2787
; %bb.2784:                             ;   in Loop: Header=BB2_2409 Depth=3
	v_and_b32_e32 v12, 0x7f, v8
	v_cmp_ne_u32_e32 vcc, s97, v12
	v_mov_b32_e32 v9, 0x7f800001
	s_and_saveexec_b64 s[52:53], vcc
	s_cbranch_execz .LBB2_2786
; %bb.2785:                             ;   in Loop: Header=BB2_2409 Depth=3
	v_and_b32_e32 v3, 7, v8
	v_ffbh_u32_e32 v9, v3
	v_min_u32_e32 v9, 32, v9
	v_lshrrev_b32_e32 v4, 3, v12
	v_cmp_gt_u32_e32 vcc, 8, v12
	v_subrev_u32_e32 v12, 28, v9
	v_lshlrev_b64 v[12:13], v12, v[8:9]
	v_sub_u32_e32 v9, 29, v9
	v_and_b32_e32 v12, 7, v12
	v_cndmask_b32_e32 v4, v4, v9, vcc
	v_cndmask_b32_e32 v3, v3, v12, vcc
	v_lshlrev_b32_e32 v9, 16, v10
	v_lshlrev_b32_e32 v3, 20, v3
	v_and_b32_e32 v9, 0x80000000, v9
	v_lshl_add_u32 v4, v4, 23, v48
	v_or3_b32 v9, v9, v4, v3
.LBB2_2786:                             ;   in Loop: Header=BB2_2409 Depth=3
	s_or_b64 exec, exec, s[52:53]
.LBB2_2787:                             ;   in Loop: Header=BB2_2409 Depth=3
	s_or_b64 exec, exec, s[46:47]
.LBB2_2788:                             ;   in Loop: Header=BB2_2409 Depth=3
	s_or_b64 exec, exec, s[44:45]
	v_cmp_lt_i16_e32 vcc, s97, v34
	s_mov_b64 s[44:45], 0
	s_and_saveexec_b64 s[46:47], vcc
	s_xor_b64 s[46:47], exec, s[46:47]
	s_cbranch_execz .LBB2_3096
; %bb.2789:                             ;   in Loop: Header=BB2_2409 Depth=3
	v_cmp_eq_u16_e32 vcc, s59, v34
	s_mov_b64 s[44:45], -1
	s_and_saveexec_b64 s[52:53], vcc
; %bb.2790:                             ;   in Loop: Header=BB2_2409 Depth=3
	s_xor_b64 s[44:45], exec, -1
; %bb.2791:                             ;   in Loop: Header=BB2_2409 Depth=3
	s_or_b64 exec, exec, s[52:53]
	s_and_b64 s[44:45], s[44:45], exec
	s_or_saveexec_b64 s[46:47], s[46:47]
	v_bfrev_b32_e32 v12, 1
	s_xor_b64 exec, exec, s[46:47]
	s_cbranch_execnz .LBB2_3097
.LBB2_2792:                             ;   in Loop: Header=BB2_2409 Depth=3
	s_or_b64 exec, exec, s[46:47]
	s_and_saveexec_b64 s[46:47], s[44:45]
.LBB2_2793:                             ;   in Loop: Header=BB2_2409 Depth=3
	v_cndmask_b32_e64 v12, v1, v49, s[40:41]
.LBB2_2794:                             ;   in Loop: Header=BB2_2409 Depth=3
	s_or_b64 exec, exec, s[46:47]
	v_max_f32_e32 v3, v12, v12
	v_max_f32_e32 v4, v9, v9
	;; [unrolled: 1-line block ×3, first 2 shown]
	s_mov_b64 s[44:45], 0
.LBB2_2795:                             ;   in Loop: Header=BB2_2409 Depth=3
	s_and_b64 vcc, exec, s[44:45]
	s_cbranch_vccz .LBB2_2809
; %bb.2796:                             ;   in Loop: Header=BB2_2409 Depth=3
	v_mov_b32_e32 v9, 0
	s_and_saveexec_b64 s[44:45], s[42:43]
	s_cbranch_execz .LBB2_2802
; %bb.2797:                             ;   in Loop: Header=BB2_2409 Depth=3
	v_cmp_ne_u16_e32 vcc, s59, v8
	v_bfrev_b32_e32 v9, 1
	s_and_saveexec_b64 s[42:43], vcc
	s_cbranch_execz .LBB2_2801
; %bb.2798:                             ;   in Loop: Header=BB2_2409 Depth=3
	v_and_b32_e32 v12, 0x7f, v8
	v_cmp_ne_u32_e32 vcc, s97, v12
	v_mov_b32_e32 v9, 0x7f800001
	s_and_saveexec_b64 s[46:47], vcc
	s_cbranch_execz .LBB2_2800
; %bb.2799:                             ;   in Loop: Header=BB2_2409 Depth=3
	v_and_b32_e32 v3, 7, v8
	v_ffbh_u32_e32 v9, v3
	v_lshrrev_b32_e32 v4, 3, v12
	v_cmp_gt_u32_e32 vcc, 8, v12
	v_min_u32_e32 v12, 32, v9
	v_subrev_u32_e32 v9, 28, v12
	v_lshlrev_b64 v[8:9], v9, v[8:9]
	v_sub_u32_e32 v9, 29, v12
	v_and_b32_e32 v8, 7, v8
	v_cndmask_b32_e32 v4, v4, v9, vcc
	v_cndmask_b32_e32 v3, v3, v8, vcc
	v_lshlrev_b32_e32 v8, 16, v10
	v_lshlrev_b32_e32 v3, 20, v3
	v_and_b32_e32 v8, 0x80000000, v8
	v_lshl_add_u32 v4, v4, 23, v48
	v_or3_b32 v9, v8, v4, v3
.LBB2_2800:                             ;   in Loop: Header=BB2_2409 Depth=3
	s_or_b64 exec, exec, s[46:47]
.LBB2_2801:                             ;   in Loop: Header=BB2_2409 Depth=3
	s_or_b64 exec, exec, s[42:43]
.LBB2_2802:                             ;   in Loop: Header=BB2_2409 Depth=3
	s_or_b64 exec, exec, s[44:45]
	v_cmp_lt_i16_e32 vcc, s97, v34
	s_mov_b64 s[42:43], 0
	s_and_saveexec_b64 s[44:45], vcc
	s_xor_b64 s[44:45], exec, s[44:45]
	s_cbranch_execz .LBB2_3098
; %bb.2803:                             ;   in Loop: Header=BB2_2409 Depth=3
	v_cmp_eq_u16_e32 vcc, s59, v34
	s_mov_b64 s[42:43], -1
	s_and_saveexec_b64 s[46:47], vcc
; %bb.2804:                             ;   in Loop: Header=BB2_2409 Depth=3
	s_xor_b64 s[42:43], exec, -1
; %bb.2805:                             ;   in Loop: Header=BB2_2409 Depth=3
	s_or_b64 exec, exec, s[46:47]
	s_and_b64 s[42:43], s[42:43], exec
	s_or_saveexec_b64 s[44:45], s[44:45]
	v_bfrev_b32_e32 v8, 1
	s_xor_b64 exec, exec, s[44:45]
	s_cbranch_execnz .LBB2_3099
.LBB2_2806:                             ;   in Loop: Header=BB2_2409 Depth=3
	s_or_b64 exec, exec, s[44:45]
	s_and_saveexec_b64 s[44:45], s[42:43]
.LBB2_2807:                             ;   in Loop: Header=BB2_2409 Depth=3
	v_cndmask_b32_e64 v8, v1, v49, s[40:41]
.LBB2_2808:                             ;   in Loop: Header=BB2_2409 Depth=3
	s_or_b64 exec, exec, s[44:45]
	v_max_f32_e32 v1, v8, v8
	v_max_f32_e32 v3, v9, v9
	v_min_f32_e32 v9, v3, v1
.LBB2_2809:                             ;   in Loop: Header=BB2_2409 Depth=3
	v_and_b32_e32 v34, 0x7f800000, v9
	v_cmp_ne_u64_e32 vcc, s[90:91], v[34:35]
                                        ; implicit-def: $vgpr39
	s_and_saveexec_b64 s[40:41], vcc
	s_xor_b64 s[42:43], exec, s[40:41]
	s_cbranch_execz .LBB2_2823
; %bb.2810:                             ;   in Loop: Header=BB2_2409 Depth=3
	v_and_b32_e32 v34, 0x7fffffff, v9
	v_cmp_gt_u64_e32 vcc, s[92:93], v[34:35]
	v_and_b32_sdwa v1, v9, s59 dst_sel:DWORD dst_unused:UNUSED_PAD src0_sel:BYTE_3 src1_sel:DWORD
                                        ; implicit-def: $vgpr39
	s_and_saveexec_b64 s[40:41], vcc
	s_xor_b64 s[44:45], exec, s[40:41]
	s_cbranch_execz .LBB2_2820
; %bb.2811:                             ;   in Loop: Header=BB2_2409 Depth=3
	v_mov_b32_e32 v39, 0
	v_cmp_ne_u32_e32 vcc, 0, v9
	s_and_saveexec_b64 s[46:47], vcc
	s_cbranch_execz .LBB2_2819
; %bb.2812:                             ;   in Loop: Header=BB2_2409 Depth=3
	v_bfe_u32 v24, v9, 23, 8
	v_cmp_gt_u32_e64 s[40:41], s56, v24
	v_sub_u32_e32 v4, 0x79, v24
	v_and_b32_e32 v3, 0x7fffff, v9
	v_cmp_eq_u32_e32 vcc, 0, v24
	v_cndmask_b32_e64 v4, 0, v4, s[40:41]
	v_mov_b32_e32 v9, 0x78
	v_or_b32_e32 v8, 0x800000, v3
	v_cndmask_b32_e32 v25, v4, v9, vcc
	v_cndmask_b32_e32 v34, v8, v3, vcc
	v_add_u32_e32 v3, 20, v25
	v_lshlrev_b64 v[8:9], v3, -1
	v_add_u32_e32 v3, 19, v25
	v_lshlrev_b64 v[12:13], v3, 1
	v_bfi_b32 v9, v9, 0, 0
	v_bfi_b32 v8, v8, 0, v34
	v_cmp_eq_u64_e64 s[40:41], v[8:9], v[12:13]
	v_lshrrev_b64 v[8:9], v25, v[34:35]
	v_mov_b32_e32 v13, v9
	v_mov_b32_e32 v12, v8
	s_and_saveexec_b64 s[52:53], s[40:41]
; %bb.2813:                             ;   in Loop: Header=BB2_2409 Depth=3
	v_bfe_u32 v3, v8, 20, 1
	v_add_co_u32_e64 v3, s[40:41], v8, v3
	v_add_co_u32_e64 v12, s[40:41], -1, v3
; %bb.2814:                             ;   in Loop: Header=BB2_2409 Depth=3
	s_or_b64 exec, exec, s[52:53]
	v_add_u32_e32 v3, 0xffffff81, v24
	v_cndmask_b32_e32 v3, v3, v52, vcc
	v_lshrrev_b32_e32 v4, 23, v8
	v_add3_u32 v24, v25, v3, v4
	v_add_u32_e32 v13, 6, v24
	v_and_b32_e32 v3, 0xfffff, v12
	v_add_u32_e32 v34, v3, v8
	v_cmp_ne_u32_e32 vcc, 0, v13
                                        ; implicit-def: $vgpr8_vgpr9
                                        ; implicit-def: $vgpr12
	s_and_saveexec_b64 s[40:41], vcc
	s_xor_b64 s[40:41], exec, s[40:41]
; %bb.2815:                             ;   in Loop: Header=BB2_2409 Depth=3
	v_cmp_lt_u64_e32 vcc, s[94:95], v[34:35]
	v_add_u32_e32 v3, 7, v24
	v_cndmask_b32_e32 v12, v13, v3, vcc
	v_cndmask_b32_e64 v3, 0, 1, vcc
	v_lshrrev_b64 v[8:9], v3, v[34:35]
; %bb.2816:                             ;   in Loop: Header=BB2_2409 Depth=3
	s_andn2_saveexec_b64 s[40:41], s[40:41]
; %bb.2817:                             ;   in Loop: Header=BB2_2409 Depth=3
	v_mov_b32_e32 v8, v34
	v_bfe_u32 v12, v34, 23, 1
	v_mov_b32_e32 v9, v35
; %bb.2818:                             ;   in Loop: Header=BB2_2409 Depth=3
	s_or_b64 exec, exec, s[40:41]
	v_lshrrev_b64 v[8:9], 20, v[8:9]
	v_cmp_gt_i32_e32 vcc, 16, v12
	v_cndmask_b32_e32 v9, 0, v9, vcc
	v_cndmask_b32_e32 v8, 7, v8, vcc
	v_min_i32_e32 v3, 15, v12
	v_cmp_eq_u64_e64 s[40:41], 0, v[8:9]
	v_lshlrev_b32_e32 v3, 3, v3
	v_cmp_eq_u32_e32 vcc, 0, v12
	v_and_b32_e32 v3, 0xf8, v3
	v_and_or_b32 v3, v8, 7, v3
	s_and_b64 s[40:41], vcc, s[40:41]
	v_cndmask_b32_e64 v3, v3, 0, s[40:41]
	v_or_b32_e32 v39, v3, v1
.LBB2_2819:                             ;   in Loop: Header=BB2_2409 Depth=3
	s_or_b64 exec, exec, s[46:47]
                                        ; implicit-def: $vgpr1
.LBB2_2820:                             ;   in Loop: Header=BB2_2409 Depth=3
	s_andn2_saveexec_b64 s[40:41], s[44:45]
; %bb.2821:                             ;   in Loop: Header=BB2_2409 Depth=3
	v_or_b32_e32 v39, 0x7e, v1
; %bb.2822:                             ;   in Loop: Header=BB2_2409 Depth=3
	s_or_b64 exec, exec, s[40:41]
                                        ; implicit-def: $vgpr9
.LBB2_2823:                             ;   in Loop: Header=BB2_2409 Depth=3
	s_andn2_saveexec_b64 s[40:41], s[42:43]
; %bb.2824:                             ;   in Loop: Header=BB2_2409 Depth=3
	v_or_b32_sdwa v39, v9, s97 dst_sel:DWORD dst_unused:UNUSED_PAD src0_sel:BYTE_3 src1_sel:DWORD
; %bb.2825:                             ;   in Loop: Header=BB2_2409 Depth=3
	s_or_b64 exec, exec, s[40:41]
	v_bfe_u32 v1, v14, 16, 3
	v_bfe_u32 v3, v14, 16, 7
	v_cmp_eq_u32_e64 s[40:41], s97, v3
	v_cmp_gt_u32_e32 vcc, 8, v3
	v_ffbh_u32_e32 v3, v1
	v_min_u32_e32 v3, 32, v3
	v_lshrrev_b32_e32 v8, 16, v14
	v_subrev_u32_e32 v9, 28, v3
	v_lshlrev_b64 v[12:13], v9, v[8:9]
	v_bfe_u32 v4, v8, 3, 4
	v_sub_u32_e32 v3, 29, v3
	v_and_b32_e32 v9, 7, v12
	v_cndmask_b32_e32 v3, v4, v3, vcc
	v_cndmask_b32_e32 v1, v1, v9, vcc
	v_lshlrev_b32_e32 v4, 8, v14
	v_lshlrev_b32_e32 v1, 20, v1
	v_and_b32_e32 v4, 0x80000000, v4
	v_lshl_add_u32 v3, v3, 23, v48
	v_lshrrev_b32_e32 v9, 16, v10
	v_or3_b32 v1, v4, v3, v1
	v_cmp_ne_u16_sdwa s[42:43], v9, v35 src0_sel:BYTE_0 src1_sel:DWORD
	s_mov_b64 s[44:45], -1
	s_and_b64 vcc, exec, s[50:51]
                                        ; implicit-def: $vgpr12
	s_cbranch_vccz .LBB2_2839
; %bb.2826:                             ;   in Loop: Header=BB2_2409 Depth=3
	v_mov_b32_e32 v12, 0
	s_and_saveexec_b64 s[44:45], s[42:43]
	s_cbranch_execz .LBB2_2832
; %bb.2827:                             ;   in Loop: Header=BB2_2409 Depth=3
	v_cmp_ne_u16_sdwa vcc, v9, s59 src0_sel:BYTE_0 src1_sel:DWORD
	v_bfrev_b32_e32 v12, 1
	s_and_saveexec_b64 s[46:47], vcc
	s_cbranch_execz .LBB2_2831
; %bb.2828:                             ;   in Loop: Header=BB2_2409 Depth=3
	v_bfe_u32 v13, v10, 16, 7
	v_cmp_ne_u32_e32 vcc, s97, v13
	v_mov_b32_e32 v12, 0x7f800001
	s_and_saveexec_b64 s[52:53], vcc
	s_cbranch_execz .LBB2_2830
; %bb.2829:                             ;   in Loop: Header=BB2_2409 Depth=3
	v_and_b32_e32 v3, 7, v9
	v_ffbh_u32_e32 v12, v3
	v_min_u32_e32 v24, 32, v12
	v_subrev_u32_e32 v12, 28, v24
	v_lshrrev_b32_e32 v4, 3, v13
	v_cmp_gt_u32_e32 vcc, 8, v13
	v_lshlrev_b64 v[12:13], v12, v[9:10]
	v_sub_u32_e32 v13, 29, v24
	v_and_b32_e32 v12, 7, v12
	v_cndmask_b32_e32 v4, v4, v13, vcc
	v_cndmask_b32_e32 v3, v3, v12, vcc
	v_lshlrev_b32_e32 v12, 24, v9
	v_lshlrev_b32_e32 v3, 20, v3
	v_and_b32_e32 v12, 0x80000000, v12
	v_lshl_add_u32 v4, v4, 23, v48
	v_or3_b32 v12, v12, v4, v3
.LBB2_2830:                             ;   in Loop: Header=BB2_2409 Depth=3
	s_or_b64 exec, exec, s[52:53]
.LBB2_2831:                             ;   in Loop: Header=BB2_2409 Depth=3
	s_or_b64 exec, exec, s[46:47]
.LBB2_2832:                             ;   in Loop: Header=BB2_2409 Depth=3
	s_or_b64 exec, exec, s[44:45]
	v_cmp_gt_i16_sdwa s[46:47], v8, s97 src0_sel:BYTE_0 src1_sel:DWORD
	s_mov_b64 s[44:45], 0
	s_and_saveexec_b64 vcc, s[46:47]
	s_xor_b64 s[46:47], exec, vcc
	s_cbranch_execz .LBB2_3100
; %bb.2833:                             ;   in Loop: Header=BB2_2409 Depth=3
	v_cmp_eq_u16_sdwa s[52:53], v8, s59 src0_sel:BYTE_0 src1_sel:DWORD
	s_mov_b64 s[44:45], -1
	s_and_saveexec_b64 vcc, s[52:53]
; %bb.2834:                             ;   in Loop: Header=BB2_2409 Depth=3
	s_xor_b64 s[44:45], exec, -1
; %bb.2835:                             ;   in Loop: Header=BB2_2409 Depth=3
	s_or_b64 exec, exec, vcc
	s_and_b64 s[44:45], s[44:45], exec
	s_or_saveexec_b64 s[46:47], s[46:47]
	v_bfrev_b32_e32 v13, 1
	s_xor_b64 exec, exec, s[46:47]
	s_cbranch_execnz .LBB2_3101
.LBB2_2836:                             ;   in Loop: Header=BB2_2409 Depth=3
	s_or_b64 exec, exec, s[46:47]
	s_and_saveexec_b64 s[46:47], s[44:45]
.LBB2_2837:                             ;   in Loop: Header=BB2_2409 Depth=3
	v_cndmask_b32_e64 v13, v1, v49, s[40:41]
.LBB2_2838:                             ;   in Loop: Header=BB2_2409 Depth=3
	s_or_b64 exec, exec, s[46:47]
	v_max_f32_e32 v3, v13, v13
	v_max_f32_e32 v4, v12, v12
	v_max_f32_e32 v12, v4, v3
	s_mov_b64 s[44:45], 0
.LBB2_2839:                             ;   in Loop: Header=BB2_2409 Depth=3
	s_and_b64 vcc, exec, s[44:45]
	s_cbranch_vccz .LBB2_2853
; %bb.2840:                             ;   in Loop: Header=BB2_2409 Depth=3
	v_mov_b32_e32 v12, 0
	s_and_saveexec_b64 s[44:45], s[42:43]
	s_cbranch_execz .LBB2_2846
; %bb.2841:                             ;   in Loop: Header=BB2_2409 Depth=3
	v_cmp_ne_u16_sdwa s[46:47], v9, s59 src0_sel:BYTE_0 src1_sel:DWORD
	v_bfrev_b32_e32 v12, 1
	s_and_saveexec_b64 s[42:43], s[46:47]
	s_cbranch_execz .LBB2_2845
; %bb.2842:                             ;   in Loop: Header=BB2_2409 Depth=3
	v_bfe_u32 v13, v10, 16, 7
	v_cmp_ne_u32_e32 vcc, s97, v13
	v_mov_b32_e32 v12, 0x7f800001
	s_and_saveexec_b64 s[46:47], vcc
	s_cbranch_execz .LBB2_2844
; %bb.2843:                             ;   in Loop: Header=BB2_2409 Depth=3
	v_and_b32_e32 v3, 7, v9
	v_ffbh_u32_e32 v12, v3
	v_min_u32_e32 v24, 32, v12
	v_subrev_u32_e32 v12, 28, v24
	v_lshrrev_b32_e32 v4, 3, v13
	v_cmp_gt_u32_e32 vcc, 8, v13
	v_lshlrev_b64 v[12:13], v12, v[9:10]
	v_sub_u32_e32 v13, 29, v24
	v_and_b32_e32 v12, 7, v12
	v_cndmask_b32_e32 v4, v4, v13, vcc
	v_cndmask_b32_e32 v3, v3, v12, vcc
	v_lshlrev_b32_e32 v9, 24, v9
	v_lshlrev_b32_e32 v3, 20, v3
	v_and_b32_e32 v9, 0x80000000, v9
	v_lshl_add_u32 v4, v4, 23, v48
	v_or3_b32 v12, v9, v4, v3
.LBB2_2844:                             ;   in Loop: Header=BB2_2409 Depth=3
	s_or_b64 exec, exec, s[46:47]
.LBB2_2845:                             ;   in Loop: Header=BB2_2409 Depth=3
	s_or_b64 exec, exec, s[42:43]
.LBB2_2846:                             ;   in Loop: Header=BB2_2409 Depth=3
	s_or_b64 exec, exec, s[44:45]
	v_cmp_gt_i16_sdwa s[44:45], v8, s97 src0_sel:BYTE_0 src1_sel:DWORD
	s_mov_b64 s[42:43], 0
	s_and_saveexec_b64 s[46:47], s[44:45]
	s_xor_b64 s[44:45], exec, s[46:47]
	s_cbranch_execz .LBB2_3102
; %bb.2847:                             ;   in Loop: Header=BB2_2409 Depth=3
	v_cmp_eq_u16_sdwa vcc, v8, s59 src0_sel:BYTE_0 src1_sel:DWORD
	s_mov_b64 s[42:43], -1
	s_and_saveexec_b64 s[46:47], vcc
; %bb.2848:                             ;   in Loop: Header=BB2_2409 Depth=3
	s_xor_b64 s[42:43], exec, -1
; %bb.2849:                             ;   in Loop: Header=BB2_2409 Depth=3
	s_or_b64 exec, exec, s[46:47]
	s_and_b64 s[42:43], s[42:43], exec
                                        ; implicit-def: $vgpr8
	s_or_saveexec_b64 s[44:45], s[44:45]
	v_bfrev_b32_e32 v9, 1
	s_xor_b64 exec, exec, s[44:45]
	s_cbranch_execnz .LBB2_3103
.LBB2_2850:                             ;   in Loop: Header=BB2_2409 Depth=3
	s_or_b64 exec, exec, s[44:45]
	s_and_saveexec_b64 s[44:45], s[42:43]
.LBB2_2851:                             ;   in Loop: Header=BB2_2409 Depth=3
	v_cndmask_b32_e64 v9, v1, v49, s[40:41]
.LBB2_2852:                             ;   in Loop: Header=BB2_2409 Depth=3
	s_or_b64 exec, exec, s[44:45]
	v_max_f32_e32 v1, v9, v9
	v_max_f32_e32 v3, v12, v12
	v_min_f32_e32 v12, v3, v1
.LBB2_2853:                             ;   in Loop: Header=BB2_2409 Depth=3
	v_and_b32_e32 v34, 0x7f800000, v12
	v_cmp_ne_u64_e32 vcc, s[90:91], v[34:35]
                                        ; implicit-def: $vgpr1
	s_and_saveexec_b64 s[40:41], vcc
	s_xor_b64 s[42:43], exec, s[40:41]
	s_cbranch_execz .LBB2_2867
; %bb.2854:                             ;   in Loop: Header=BB2_2409 Depth=3
	v_and_b32_e32 v34, 0x7fffffff, v12
	v_cmp_gt_u64_e32 vcc, s[92:93], v[34:35]
	v_and_b32_sdwa v24, v12, s59 dst_sel:DWORD dst_unused:UNUSED_PAD src0_sel:BYTE_3 src1_sel:DWORD
                                        ; implicit-def: $vgpr1
	s_and_saveexec_b64 s[40:41], vcc
	s_xor_b64 s[44:45], exec, s[40:41]
	s_cbranch_execz .LBB2_2864
; %bb.2855:                             ;   in Loop: Header=BB2_2409 Depth=3
	v_mov_b32_e32 v1, 0
	v_cmp_ne_u32_e32 vcc, 0, v12
	s_and_saveexec_b64 s[46:47], vcc
	s_cbranch_execz .LBB2_2863
; %bb.2856:                             ;   in Loop: Header=BB2_2409 Depth=3
	v_bfe_u32 v1, v12, 23, 8
	v_cmp_gt_u32_e64 s[40:41], s56, v1
	v_sub_u32_e32 v4, 0x79, v1
	v_and_b32_e32 v3, 0x7fffff, v12
	v_cmp_eq_u32_e32 vcc, 0, v1
	v_cndmask_b32_e64 v4, 0, v4, s[40:41]
	v_mov_b32_e32 v9, 0x78
	v_or_b32_e32 v8, 0x800000, v3
	v_cndmask_b32_e32 v25, v4, v9, vcc
	v_cndmask_b32_e32 v34, v8, v3, vcc
	v_add_u32_e32 v3, 20, v25
	v_lshlrev_b64 v[8:9], v3, -1
	v_add_u32_e32 v3, 19, v25
	v_lshlrev_b64 v[12:13], v3, 1
	v_bfi_b32 v9, v9, 0, 0
	v_bfi_b32 v8, v8, 0, v34
	v_cmp_eq_u64_e64 s[40:41], v[8:9], v[12:13]
	v_lshrrev_b64 v[8:9], v25, v[34:35]
	v_mov_b32_e32 v13, v9
	v_mov_b32_e32 v12, v8
	s_and_saveexec_b64 s[52:53], s[40:41]
; %bb.2857:                             ;   in Loop: Header=BB2_2409 Depth=3
	v_bfe_u32 v3, v8, 20, 1
	v_add_co_u32_e64 v3, s[40:41], v8, v3
	v_add_co_u32_e64 v12, s[40:41], -1, v3
; %bb.2858:                             ;   in Loop: Header=BB2_2409 Depth=3
	s_or_b64 exec, exec, s[52:53]
	v_add_u32_e32 v1, 0xffffff81, v1
	v_cndmask_b32_e32 v1, v1, v52, vcc
	v_lshrrev_b32_e32 v3, 23, v8
	v_add3_u32 v25, v25, v1, v3
	v_add_u32_e32 v13, 6, v25
	v_and_b32_e32 v1, 0xfffff, v12
	v_add_u32_e32 v34, v1, v8
	v_cmp_ne_u32_e32 vcc, 0, v13
                                        ; implicit-def: $vgpr8_vgpr9
                                        ; implicit-def: $vgpr1
	s_and_saveexec_b64 s[40:41], vcc
	s_xor_b64 s[40:41], exec, s[40:41]
; %bb.2859:                             ;   in Loop: Header=BB2_2409 Depth=3
	v_cmp_lt_u64_e32 vcc, s[94:95], v[34:35]
	v_add_u32_e32 v1, 7, v25
	v_cndmask_b32_e64 v3, 0, 1, vcc
	v_cndmask_b32_e32 v1, v13, v1, vcc
	v_lshrrev_b64 v[8:9], v3, v[34:35]
; %bb.2860:                             ;   in Loop: Header=BB2_2409 Depth=3
	s_andn2_saveexec_b64 s[40:41], s[40:41]
; %bb.2861:                             ;   in Loop: Header=BB2_2409 Depth=3
	v_mov_b32_e32 v8, v34
	v_bfe_u32 v1, v34, 23, 1
	v_mov_b32_e32 v9, v35
; %bb.2862:                             ;   in Loop: Header=BB2_2409 Depth=3
	s_or_b64 exec, exec, s[40:41]
	v_lshrrev_b64 v[8:9], 20, v[8:9]
	v_cmp_gt_i32_e32 vcc, 16, v1
	v_cndmask_b32_e32 v9, 0, v9, vcc
	v_cndmask_b32_e32 v8, 7, v8, vcc
	v_cmp_eq_u32_e32 vcc, 0, v1
	v_min_i32_e32 v1, 15, v1
	v_cmp_eq_u64_e64 s[40:41], 0, v[8:9]
	v_lshlrev_b32_e32 v1, 3, v1
	v_and_b32_e32 v1, 0xf8, v1
	v_and_or_b32 v1, v8, 7, v1
	s_and_b64 s[40:41], vcc, s[40:41]
	v_cndmask_b32_e64 v1, v1, 0, s[40:41]
	v_or_b32_e32 v1, v1, v24
.LBB2_2863:                             ;   in Loop: Header=BB2_2409 Depth=3
	s_or_b64 exec, exec, s[46:47]
                                        ; implicit-def: $vgpr24
.LBB2_2864:                             ;   in Loop: Header=BB2_2409 Depth=3
	s_andn2_saveexec_b64 s[40:41], s[44:45]
; %bb.2865:                             ;   in Loop: Header=BB2_2409 Depth=3
	v_or_b32_e32 v1, 0x7e, v24
; %bb.2866:                             ;   in Loop: Header=BB2_2409 Depth=3
	s_or_b64 exec, exec, s[40:41]
                                        ; implicit-def: $vgpr12
.LBB2_2867:                             ;   in Loop: Header=BB2_2409 Depth=3
	s_andn2_saveexec_b64 s[40:41], s[42:43]
; %bb.2868:                             ;   in Loop: Header=BB2_2409 Depth=3
	v_or_b32_sdwa v1, v12, s97 dst_sel:DWORD dst_unused:UNUSED_PAD src0_sel:BYTE_3 src1_sel:DWORD
; %bb.2869:                             ;   in Loop: Header=BB2_2409 Depth=3
	s_or_b64 exec, exec, s[40:41]
	v_bfe_u32 v3, v14, 24, 3
	v_bfe_u32 v4, v14, 24, 7
	v_cmp_eq_u32_e64 s[44:45], s97, v4
	v_cmp_gt_u32_e32 vcc, 8, v4
	v_ffbh_u32_e32 v4, v3
	v_min_u32_e32 v4, 32, v4
	v_lshrrev_b32_e32 v9, 24, v14
	v_subrev_u32_e32 v12, 28, v4
	v_lshlrev_b64 v[12:13], v12, v[9:10]
	v_bfe_u32 v24, v9, 3, 4
	v_cmp_eq_u32_e64 s[42:43], s59, v9
	v_sub_u32_e32 v4, 29, v4
	v_and_b32_e32 v9, 7, v12
	v_cndmask_b32_e32 v4, v24, v4, vcc
	v_cndmask_b32_e32 v3, v3, v9, vcc
	v_lshlrev_b32_e32 v3, 20, v3
	v_and_b32_e32 v9, 0x80000000, v14
	v_lshl_add_u32 v4, v4, 23, v48
	v_lshrrev_b32_e32 v8, 24, v10
	v_cmp_gt_u32_e64 s[40:41], s61, v14
	v_or3_b32 v9, v9, v4, v3
	v_cmp_lt_u32_e64 s[46:47], s63, v10
	s_mov_b64 s[52:53], -1
	s_and_b64 vcc, exec, s[50:51]
                                        ; implicit-def: $vgpr12
	s_cbranch_vccz .LBB2_2877
; %bb.2870:                             ;   in Loop: Header=BB2_2409 Depth=3
	v_mov_b32_e32 v12, 0
	s_and_saveexec_b64 s[52:53], s[46:47]
	s_cbranch_execz .LBB2_2876
; %bb.2871:                             ;   in Loop: Header=BB2_2409 Depth=3
	v_cmp_ne_u32_e32 vcc, s59, v8
	v_bfrev_b32_e32 v12, 1
	s_and_saveexec_b64 s[54:55], vcc
	s_cbranch_execz .LBB2_2875
; %bb.2872:                             ;   in Loop: Header=BB2_2409 Depth=3
	v_bfe_u32 v13, v10, 24, 7
	v_cmp_ne_u32_e32 vcc, s97, v13
	v_mov_b32_e32 v12, 0x7f800001
	s_and_saveexec_b64 s[64:65], vcc
	s_cbranch_execz .LBB2_2874
; %bb.2873:                             ;   in Loop: Header=BB2_2409 Depth=3
	v_and_b32_e32 v3, 7, v8
	v_ffbh_u32_e32 v12, v3
	v_min_u32_e32 v24, 32, v12
	v_subrev_u32_e32 v12, 28, v24
	v_lshrrev_b32_e32 v4, 3, v13
	v_cmp_gt_u32_e32 vcc, 8, v13
	v_lshlrev_b64 v[12:13], v12, v[8:9]
	v_sub_u32_e32 v13, 29, v24
	v_and_b32_e32 v12, 7, v12
	v_cndmask_b32_e32 v4, v4, v13, vcc
	v_cndmask_b32_e32 v3, v3, v12, vcc
	v_lshlrev_b32_e32 v12, 24, v8
	v_lshlrev_b32_e32 v3, 20, v3
	v_and_b32_e32 v12, 0x80000000, v12
	v_lshl_add_u32 v4, v4, 23, v48
	v_or3_b32 v12, v12, v4, v3
.LBB2_2874:                             ;   in Loop: Header=BB2_2409 Depth=3
	s_or_b64 exec, exec, s[64:65]
.LBB2_2875:                             ;   in Loop: Header=BB2_2409 Depth=3
	s_or_b64 exec, exec, s[54:55]
.LBB2_2876:                             ;   in Loop: Header=BB2_2409 Depth=3
	s_or_b64 exec, exec, s[52:53]
	v_cndmask_b32_e64 v3, v9, v49, s[44:45]
	v_cndmask_b32_e64 v3, v3, v0, s[42:43]
	;; [unrolled: 1-line block ×3, first 2 shown]
	v_max_f32_e32 v3, v3, v3
	v_max_f32_e32 v4, v12, v12
	v_max_f32_e32 v12, v4, v3
	s_mov_b64 s[52:53], 0
.LBB2_2877:                             ;   in Loop: Header=BB2_2409 Depth=3
	s_and_b64 vcc, exec, s[52:53]
	s_cbranch_vccz .LBB2_2885
; %bb.2878:                             ;   in Loop: Header=BB2_2409 Depth=3
	v_mov_b32_e32 v12, 0
	s_and_saveexec_b64 s[52:53], s[46:47]
	s_cbranch_execz .LBB2_2884
; %bb.2879:                             ;   in Loop: Header=BB2_2409 Depth=3
	v_cmp_ne_u32_e32 vcc, s59, v8
	v_bfrev_b32_e32 v12, 1
	s_and_saveexec_b64 s[46:47], vcc
	s_cbranch_execz .LBB2_2883
; %bb.2880:                             ;   in Loop: Header=BB2_2409 Depth=3
	v_bfe_u32 v13, v10, 24, 7
	v_cmp_ne_u32_e32 vcc, s97, v13
	v_mov_b32_e32 v12, 0x7f800001
	s_and_saveexec_b64 s[54:55], vcc
	s_cbranch_execz .LBB2_2882
; %bb.2881:                             ;   in Loop: Header=BB2_2409 Depth=3
	v_and_b32_e32 v3, 7, v8
	v_ffbh_u32_e32 v12, v3
	v_min_u32_e32 v24, 32, v12
	v_subrev_u32_e32 v12, 28, v24
	v_lshrrev_b32_e32 v4, 3, v13
	v_cmp_gt_u32_e32 vcc, 8, v13
	v_lshlrev_b64 v[12:13], v12, v[8:9]
	v_sub_u32_e32 v13, 29, v24
	v_and_b32_e32 v12, 7, v12
	v_cndmask_b32_e32 v4, v4, v13, vcc
	v_cndmask_b32_e32 v3, v3, v12, vcc
	v_lshlrev_b32_e32 v8, 24, v8
	v_lshlrev_b32_e32 v3, 20, v3
	v_and_b32_e32 v8, 0x80000000, v8
	v_lshl_add_u32 v4, v4, 23, v48
	v_or3_b32 v12, v8, v4, v3
.LBB2_2882:                             ;   in Loop: Header=BB2_2409 Depth=3
	s_or_b64 exec, exec, s[54:55]
.LBB2_2883:                             ;   in Loop: Header=BB2_2409 Depth=3
	s_or_b64 exec, exec, s[46:47]
.LBB2_2884:                             ;   in Loop: Header=BB2_2409 Depth=3
	s_or_b64 exec, exec, s[52:53]
	v_cndmask_b32_e64 v3, v9, v49, s[44:45]
	v_cndmask_b32_e64 v3, v3, v0, s[42:43]
	;; [unrolled: 1-line block ×3, first 2 shown]
	v_max_f32_e32 v3, v3, v3
	v_max_f32_e32 v4, v12, v12
	v_min_f32_e32 v12, v4, v3
.LBB2_2885:                             ;   in Loop: Header=BB2_2409 Depth=3
	v_and_b32_e32 v34, 0x7f800000, v12
	v_cmp_ne_u64_e32 vcc, s[90:91], v[34:35]
                                        ; implicit-def: $vgpr59
	s_and_saveexec_b64 s[40:41], vcc
	s_xor_b64 s[42:43], exec, s[40:41]
	s_cbranch_execz .LBB2_2899
; %bb.2886:                             ;   in Loop: Header=BB2_2409 Depth=3
	v_and_b32_e32 v34, 0x7fffffff, v12
	v_cmp_gt_u64_e32 vcc, s[92:93], v[34:35]
	v_and_b32_sdwa v24, v12, s59 dst_sel:DWORD dst_unused:UNUSED_PAD src0_sel:BYTE_3 src1_sel:DWORD
                                        ; implicit-def: $vgpr59
	s_and_saveexec_b64 s[40:41], vcc
	s_xor_b64 s[44:45], exec, s[40:41]
	s_cbranch_execz .LBB2_2896
; %bb.2887:                             ;   in Loop: Header=BB2_2409 Depth=3
	v_mov_b32_e32 v59, 0
	v_cmp_ne_u32_e32 vcc, 0, v12
	s_and_saveexec_b64 s[46:47], vcc
	s_cbranch_execz .LBB2_2895
; %bb.2888:                             ;   in Loop: Header=BB2_2409 Depth=3
	v_bfe_u32 v25, v12, 23, 8
	v_cmp_gt_u32_e64 s[40:41], s56, v25
	v_sub_u32_e32 v4, 0x79, v25
	v_and_b32_e32 v3, 0x7fffff, v12
	v_cmp_eq_u32_e32 vcc, 0, v25
	v_cndmask_b32_e64 v4, 0, v4, s[40:41]
	v_mov_b32_e32 v9, 0x78
	v_or_b32_e32 v8, 0x800000, v3
	v_cndmask_b32_e32 v57, v4, v9, vcc
	v_cndmask_b32_e32 v34, v8, v3, vcc
	v_add_u32_e32 v3, 20, v57
	v_lshlrev_b64 v[8:9], v3, -1
	v_add_u32_e32 v3, 19, v57
	v_lshlrev_b64 v[12:13], v3, 1
	v_bfi_b32 v9, v9, 0, 0
	v_bfi_b32 v8, v8, 0, v34
	v_cmp_eq_u64_e64 s[40:41], v[8:9], v[12:13]
	v_lshrrev_b64 v[8:9], v57, v[34:35]
	v_mov_b32_e32 v13, v9
	v_mov_b32_e32 v12, v8
	s_and_saveexec_b64 s[52:53], s[40:41]
; %bb.2889:                             ;   in Loop: Header=BB2_2409 Depth=3
	v_bfe_u32 v3, v8, 20, 1
	v_add_co_u32_e64 v3, s[40:41], v8, v3
	v_add_co_u32_e64 v12, s[40:41], -1, v3
; %bb.2890:                             ;   in Loop: Header=BB2_2409 Depth=3
	s_or_b64 exec, exec, s[52:53]
	v_add_u32_e32 v3, 0xffffff81, v25
	v_cndmask_b32_e32 v3, v3, v52, vcc
	v_lshrrev_b32_e32 v4, 23, v8
	v_add3_u32 v25, v57, v3, v4
	v_add_u32_e32 v13, 6, v25
	v_and_b32_e32 v3, 0xfffff, v12
	v_add_u32_e32 v34, v3, v8
	v_cmp_ne_u32_e32 vcc, 0, v13
                                        ; implicit-def: $vgpr8_vgpr9
                                        ; implicit-def: $vgpr12
	s_and_saveexec_b64 s[40:41], vcc
	s_xor_b64 s[40:41], exec, s[40:41]
; %bb.2891:                             ;   in Loop: Header=BB2_2409 Depth=3
	v_cmp_lt_u64_e32 vcc, s[94:95], v[34:35]
	v_add_u32_e32 v3, 7, v25
	v_cndmask_b32_e32 v12, v13, v3, vcc
	v_cndmask_b32_e64 v3, 0, 1, vcc
	v_lshrrev_b64 v[8:9], v3, v[34:35]
; %bb.2892:                             ;   in Loop: Header=BB2_2409 Depth=3
	s_andn2_saveexec_b64 s[40:41], s[40:41]
; %bb.2893:                             ;   in Loop: Header=BB2_2409 Depth=3
	v_mov_b32_e32 v8, v34
	v_bfe_u32 v12, v34, 23, 1
	v_mov_b32_e32 v9, v35
; %bb.2894:                             ;   in Loop: Header=BB2_2409 Depth=3
	s_or_b64 exec, exec, s[40:41]
	v_lshrrev_b64 v[8:9], 20, v[8:9]
	v_cmp_gt_i32_e32 vcc, 16, v12
	v_cndmask_b32_e32 v9, 0, v9, vcc
	v_cndmask_b32_e32 v8, 7, v8, vcc
	v_min_i32_e32 v3, 15, v12
	v_cmp_eq_u64_e64 s[40:41], 0, v[8:9]
	v_lshlrev_b32_e32 v3, 3, v3
	v_cmp_eq_u32_e32 vcc, 0, v12
	v_and_b32_e32 v3, 0xf8, v3
	v_and_or_b32 v3, v8, 7, v3
	s_and_b64 s[40:41], vcc, s[40:41]
	v_cndmask_b32_e64 v3, v3, 0, s[40:41]
	v_or_b32_e32 v59, v3, v24
.LBB2_2895:                             ;   in Loop: Header=BB2_2409 Depth=3
	s_or_b64 exec, exec, s[46:47]
                                        ; implicit-def: $vgpr24
.LBB2_2896:                             ;   in Loop: Header=BB2_2409 Depth=3
	s_andn2_saveexec_b64 s[40:41], s[44:45]
; %bb.2897:                             ;   in Loop: Header=BB2_2409 Depth=3
	v_or_b32_e32 v59, 0x7e, v24
; %bb.2898:                             ;   in Loop: Header=BB2_2409 Depth=3
	s_or_b64 exec, exec, s[40:41]
                                        ; implicit-def: $vgpr12
.LBB2_2899:                             ;   in Loop: Header=BB2_2409 Depth=3
	s_andn2_saveexec_b64 s[40:41], s[42:43]
; %bb.2900:                             ;   in Loop: Header=BB2_2409 Depth=3
	v_or_b32_sdwa v59, v12, s97 dst_sel:DWORD dst_unused:UNUSED_PAD src0_sel:BYTE_3 src1_sel:DWORD
; %bb.2901:                             ;   in Loop: Header=BB2_2409 Depth=3
	s_or_b64 exec, exec, s[40:41]
	v_and_b32_e32 v3, 7, v15
	v_ffbh_u32_e32 v3, v3
	v_and_b32_e32 v4, 0x7f, v15
	v_min_u32_e32 v3, 32, v3
	v_cmp_eq_u32_e64 s[40:41], s97, v4
	v_cmp_gt_u32_e32 vcc, 8, v4
	v_subrev_u32_e32 v4, 28, v3
	v_mov_b32_e32 v8, v15
	v_mov_b32_e32 v9, v35
	v_bfe_u32 v12, v15, 3, 4
	v_sub_u32_e32 v3, 29, v3
	v_cndmask_b32_e32 v4, 0, v4, vcc
	v_cndmask_b32_e32 v3, v12, v3, vcc
	v_lshlrev_b64 v[12:13], v4, v[8:9]
	v_lshlrev_b32_e32 v9, 24, v15
	v_lshlrev_b32_e32 v4, 20, v12
	v_and_b32_e32 v4, 0x700000, v4
	v_and_b32_e32 v9, 0x80000000, v9
	v_lshl_add_u32 v3, v3, 23, v48
	v_mov_b32_e32 v34, v11
	v_or3_b32 v9, v9, v3, v4
	v_cmp_ne_u16_sdwa s[42:43], v11, v35 src0_sel:BYTE_0 src1_sel:DWORD
	s_mov_b64 s[44:45], -1
	s_and_b64 vcc, exec, s[50:51]
                                        ; implicit-def: $vgpr12
	s_cbranch_vccz .LBB2_2915
; %bb.2902:                             ;   in Loop: Header=BB2_2409 Depth=3
	v_mov_b32_e32 v12, 0
	s_and_saveexec_b64 s[44:45], s[42:43]
	s_cbranch_execz .LBB2_2908
; %bb.2903:                             ;   in Loop: Header=BB2_2409 Depth=3
	v_cmp_ne_u16_sdwa vcc, v11, s59 src0_sel:BYTE_0 src1_sel:DWORD
	v_bfrev_b32_e32 v12, 1
	s_and_saveexec_b64 s[46:47], vcc
	s_cbranch_execz .LBB2_2907
; %bb.2904:                             ;   in Loop: Header=BB2_2409 Depth=3
	v_and_b32_e32 v13, 0x7f, v11
	v_cmp_ne_u32_e32 vcc, s97, v13
	v_mov_b32_e32 v12, 0x7f800001
	s_and_saveexec_b64 s[52:53], vcc
	s_cbranch_execz .LBB2_2906
; %bb.2905:                             ;   in Loop: Header=BB2_2409 Depth=3
	v_and_b32_e32 v3, 7, v11
	v_ffbh_u32_e32 v3, v3
	v_min_u32_e32 v3, 32, v3
	v_lshrrev_b32_e32 v4, 3, v13
	v_cmp_gt_u32_e32 vcc, 8, v13
	v_subrev_u32_e32 v12, 28, v3
	v_sub_u32_e32 v3, 29, v3
	v_cndmask_b32_e32 v3, v4, v3, vcc
	v_cndmask_b32_e32 v4, 0, v12, vcc
	v_lshlrev_b64 v[12:13], v4, v[34:35]
	v_lshl_add_u32 v3, v3, 23, v48
	v_lshlrev_b32_e32 v4, 20, v12
	v_lshlrev_b32_e32 v12, 24, v34
	v_and_b32_e32 v4, 0x700000, v4
	v_and_b32_e32 v12, 0x80000000, v12
	v_or3_b32 v12, v12, v3, v4
.LBB2_2906:                             ;   in Loop: Header=BB2_2409 Depth=3
	s_or_b64 exec, exec, s[52:53]
.LBB2_2907:                             ;   in Loop: Header=BB2_2409 Depth=3
	s_or_b64 exec, exec, s[46:47]
.LBB2_2908:                             ;   in Loop: Header=BB2_2409 Depth=3
	s_or_b64 exec, exec, s[44:45]
	v_cmp_gt_i16_sdwa s[46:47], v15, s97 src0_sel:BYTE_0 src1_sel:DWORD
	s_mov_b64 s[44:45], 0
	s_and_saveexec_b64 vcc, s[46:47]
	s_xor_b64 s[46:47], exec, vcc
	s_cbranch_execz .LBB2_3104
; %bb.2909:                             ;   in Loop: Header=BB2_2409 Depth=3
	v_cmp_eq_u16_sdwa s[52:53], v15, s59 src0_sel:BYTE_0 src1_sel:DWORD
	s_mov_b64 s[44:45], -1
	s_and_saveexec_b64 vcc, s[52:53]
; %bb.2910:                             ;   in Loop: Header=BB2_2409 Depth=3
	s_xor_b64 s[44:45], exec, -1
; %bb.2911:                             ;   in Loop: Header=BB2_2409 Depth=3
	s_or_b64 exec, exec, vcc
	s_and_b64 s[44:45], s[44:45], exec
	s_or_saveexec_b64 s[46:47], s[46:47]
	v_bfrev_b32_e32 v13, 1
	s_xor_b64 exec, exec, s[46:47]
	s_cbranch_execnz .LBB2_3105
.LBB2_2912:                             ;   in Loop: Header=BB2_2409 Depth=3
	s_or_b64 exec, exec, s[46:47]
	s_and_saveexec_b64 s[46:47], s[44:45]
.LBB2_2913:                             ;   in Loop: Header=BB2_2409 Depth=3
	v_cndmask_b32_e64 v13, v9, v49, s[40:41]
.LBB2_2914:                             ;   in Loop: Header=BB2_2409 Depth=3
	s_or_b64 exec, exec, s[46:47]
	v_max_f32_e32 v3, v13, v13
	v_max_f32_e32 v4, v12, v12
	;; [unrolled: 1-line block ×3, first 2 shown]
	s_mov_b64 s[44:45], 0
.LBB2_2915:                             ;   in Loop: Header=BB2_2409 Depth=3
	s_and_b64 vcc, exec, s[44:45]
	s_cbranch_vccz .LBB2_2929
; %bb.2916:                             ;   in Loop: Header=BB2_2409 Depth=3
	v_mov_b32_e32 v12, 0
	s_and_saveexec_b64 s[44:45], s[42:43]
	s_cbranch_execz .LBB2_2922
; %bb.2917:                             ;   in Loop: Header=BB2_2409 Depth=3
	v_cmp_ne_u16_sdwa s[46:47], v11, s59 src0_sel:BYTE_0 src1_sel:DWORD
	v_bfrev_b32_e32 v12, 1
	s_and_saveexec_b64 s[42:43], s[46:47]
	s_cbranch_execz .LBB2_2921
; %bb.2918:                             ;   in Loop: Header=BB2_2409 Depth=3
	v_and_b32_e32 v13, 0x7f, v11
	v_cmp_ne_u32_e32 vcc, s97, v13
	v_mov_b32_e32 v12, 0x7f800001
	s_and_saveexec_b64 s[46:47], vcc
	s_cbranch_execz .LBB2_2920
; %bb.2919:                             ;   in Loop: Header=BB2_2409 Depth=3
	v_and_b32_e32 v3, 7, v11
	v_ffbh_u32_e32 v3, v3
	v_min_u32_e32 v3, 32, v3
	v_lshrrev_b32_e32 v4, 3, v13
	v_cmp_gt_u32_e32 vcc, 8, v13
	v_subrev_u32_e32 v12, 28, v3
	v_sub_u32_e32 v3, 29, v3
	v_cndmask_b32_e32 v3, v4, v3, vcc
	v_cndmask_b32_e32 v4, 0, v12, vcc
	v_lshlrev_b64 v[12:13], v4, v[34:35]
	v_lshl_add_u32 v3, v3, 23, v48
	v_lshlrev_b32_e32 v4, 20, v12
	v_lshlrev_b32_e32 v12, 24, v34
	v_and_b32_e32 v4, 0x700000, v4
	v_and_b32_e32 v12, 0x80000000, v12
	v_or3_b32 v12, v12, v3, v4
.LBB2_2920:                             ;   in Loop: Header=BB2_2409 Depth=3
	s_or_b64 exec, exec, s[46:47]
.LBB2_2921:                             ;   in Loop: Header=BB2_2409 Depth=3
	s_or_b64 exec, exec, s[42:43]
.LBB2_2922:                             ;   in Loop: Header=BB2_2409 Depth=3
	s_or_b64 exec, exec, s[44:45]
	v_cmp_gt_i16_sdwa s[44:45], v15, s97 src0_sel:BYTE_0 src1_sel:DWORD
	s_mov_b64 s[42:43], 0
	s_and_saveexec_b64 s[46:47], s[44:45]
	s_xor_b64 s[44:45], exec, s[46:47]
	s_cbranch_execz .LBB2_3106
; %bb.2923:                             ;   in Loop: Header=BB2_2409 Depth=3
	v_cmp_eq_u16_sdwa vcc, v15, s59 src0_sel:BYTE_0 src1_sel:DWORD
	s_mov_b64 s[42:43], -1
	s_and_saveexec_b64 s[46:47], vcc
; %bb.2924:                             ;   in Loop: Header=BB2_2409 Depth=3
	s_xor_b64 s[42:43], exec, -1
; %bb.2925:                             ;   in Loop: Header=BB2_2409 Depth=3
	s_or_b64 exec, exec, s[46:47]
	s_and_b64 s[42:43], s[42:43], exec
	s_or_saveexec_b64 s[44:45], s[44:45]
	v_bfrev_b32_e32 v13, 1
	s_xor_b64 exec, exec, s[44:45]
	s_cbranch_execnz .LBB2_3107
.LBB2_2926:                             ;   in Loop: Header=BB2_2409 Depth=3
	s_or_b64 exec, exec, s[44:45]
	s_and_saveexec_b64 s[44:45], s[42:43]
.LBB2_2927:                             ;   in Loop: Header=BB2_2409 Depth=3
	v_cndmask_b32_e64 v13, v9, v49, s[40:41]
.LBB2_2928:                             ;   in Loop: Header=BB2_2409 Depth=3
	s_or_b64 exec, exec, s[44:45]
	v_max_f32_e32 v3, v13, v13
	v_max_f32_e32 v4, v12, v12
	v_min_f32_e32 v12, v4, v3
.LBB2_2929:                             ;   in Loop: Header=BB2_2409 Depth=3
	v_and_b32_e32 v24, 0x7f800000, v12
	v_mov_b32_e32 v25, v35
	v_cmp_ne_u64_e32 vcc, s[90:91], v[24:25]
                                        ; implicit-def: $vgpr24
	s_and_saveexec_b64 s[40:41], vcc
	s_xor_b64 s[42:43], exec, s[40:41]
	s_cbranch_execz .LBB2_2943
; %bb.2930:                             ;   in Loop: Header=BB2_2409 Depth=3
	v_and_b32_e32 v24, 0x7fffffff, v12
	v_mov_b32_e32 v25, v35
	v_cmp_gt_u64_e32 vcc, s[92:93], v[24:25]
	v_and_b32_sdwa v9, v12, s59 dst_sel:DWORD dst_unused:UNUSED_PAD src0_sel:BYTE_3 src1_sel:DWORD
                                        ; implicit-def: $vgpr24
	s_and_saveexec_b64 s[40:41], vcc
	s_xor_b64 s[44:45], exec, s[40:41]
	s_cbranch_execz .LBB2_2940
; %bb.2931:                             ;   in Loop: Header=BB2_2409 Depth=3
	v_mov_b32_e32 v24, 0
	v_cmp_ne_u32_e32 vcc, 0, v12
	s_and_saveexec_b64 s[46:47], vcc
	s_cbranch_execz .LBB2_2939
; %bb.2932:                             ;   in Loop: Header=BB2_2409 Depth=3
	v_bfe_u32 v24, v12, 23, 8
	v_cmp_gt_u32_e64 s[40:41], s56, v24
	v_sub_u32_e32 v4, 0x79, v24
	v_and_b32_e32 v3, 0x7fffff, v12
	v_cmp_eq_u32_e32 vcc, 0, v24
	v_cndmask_b32_e64 v4, 0, v4, s[40:41]
	v_mov_b32_e32 v13, 0x78
	v_or_b32_e32 v12, 0x800000, v3
	v_cndmask_b32_e32 v25, v4, v13, vcc
	v_cndmask_b32_e32 v12, v12, v3, vcc
	v_add_u32_e32 v3, 20, v25
	v_lshlrev_b64 v[57:58], v3, -1
	v_mov_b32_e32 v13, v35
	v_add_u32_e32 v3, 19, v25
	v_bfi_b32 v57, v57, 0, v12
	v_lshlrev_b64 v[42:43], v3, 1
	v_lshrrev_b64 v[12:13], v25, v[12:13]
	v_bfi_b32 v58, v58, 0, 0
	v_cmp_eq_u64_e64 s[40:41], v[57:58], v[42:43]
	v_mov_b32_e32 v58, v13
	v_mov_b32_e32 v57, v12
	s_and_saveexec_b64 s[52:53], s[40:41]
; %bb.2933:                             ;   in Loop: Header=BB2_2409 Depth=3
	v_bfe_u32 v3, v12, 20, 1
	v_add_co_u32_e64 v3, s[40:41], v12, v3
	v_add_co_u32_e64 v57, s[40:41], -1, v3
; %bb.2934:                             ;   in Loop: Header=BB2_2409 Depth=3
	s_or_b64 exec, exec, s[52:53]
	v_add_u32_e32 v3, 0xffffff81, v24
	v_cndmask_b32_e32 v3, v3, v52, vcc
	v_lshrrev_b32_e32 v4, 23, v12
	v_add3_u32 v58, v25, v3, v4
	v_add_u32_e32 v25, 6, v58
	v_and_b32_e32 v3, 0xfffff, v57
	v_add_u32_e32 v12, v3, v12
	v_mov_b32_e32 v13, v35
	v_cmp_ne_u32_e32 vcc, 0, v25
                                        ; implicit-def: $vgpr24
	s_and_saveexec_b64 s[40:41], vcc
	s_xor_b64 s[40:41], exec, s[40:41]
; %bb.2935:                             ;   in Loop: Header=BB2_2409 Depth=3
	v_cmp_lt_u64_e32 vcc, s[94:95], v[12:13]
	v_add_u32_e32 v3, 7, v58
	v_cndmask_b32_e32 v24, v25, v3, vcc
	v_cndmask_b32_e64 v3, 0, 1, vcc
	v_lshrrev_b64 v[12:13], v3, v[12:13]
; %bb.2936:                             ;   in Loop: Header=BB2_2409 Depth=3
	s_andn2_saveexec_b64 s[40:41], s[40:41]
; %bb.2937:                             ;   in Loop: Header=BB2_2409 Depth=3
	v_bfe_u32 v24, v12, 23, 1
; %bb.2938:                             ;   in Loop: Header=BB2_2409 Depth=3
	s_or_b64 exec, exec, s[40:41]
	v_lshrrev_b64 v[12:13], 20, v[12:13]
	v_cmp_gt_i32_e32 vcc, 16, v24
	v_cndmask_b32_e32 v13, 0, v13, vcc
	v_cndmask_b32_e32 v12, 7, v12, vcc
	v_min_i32_e32 v3, 15, v24
	v_cmp_eq_u64_e64 s[40:41], 0, v[12:13]
	v_lshlrev_b32_e32 v3, 3, v3
	v_cmp_eq_u32_e32 vcc, 0, v24
	v_and_b32_e32 v3, 0xf8, v3
	v_and_or_b32 v3, v12, 7, v3
	s_and_b64 s[40:41], vcc, s[40:41]
	v_cndmask_b32_e64 v3, v3, 0, s[40:41]
	v_or_b32_e32 v24, v3, v9
.LBB2_2939:                             ;   in Loop: Header=BB2_2409 Depth=3
	s_or_b64 exec, exec, s[46:47]
                                        ; implicit-def: $vgpr9
.LBB2_2940:                             ;   in Loop: Header=BB2_2409 Depth=3
	s_andn2_saveexec_b64 s[40:41], s[44:45]
; %bb.2941:                             ;   in Loop: Header=BB2_2409 Depth=3
	v_or_b32_e32 v24, 0x7e, v9
; %bb.2942:                             ;   in Loop: Header=BB2_2409 Depth=3
	s_or_b64 exec, exec, s[40:41]
                                        ; implicit-def: $vgpr12
.LBB2_2943:                             ;   in Loop: Header=BB2_2409 Depth=3
	s_andn2_saveexec_b64 s[40:41], s[42:43]
; %bb.2944:                             ;   in Loop: Header=BB2_2409 Depth=3
	v_or_b32_sdwa v24, v12, s97 dst_sel:DWORD dst_unused:UNUSED_PAD src0_sel:BYTE_3 src1_sel:DWORD
; %bb.2945:                             ;   in Loop: Header=BB2_2409 Depth=3
	s_or_b64 exec, exec, s[40:41]
	v_lshrrev_b16_e32 v8, 8, v8
	v_and_b32_e32 v3, 7, v8
	v_and_b32_e32 v4, 0x7f, v8
	v_cmp_eq_u32_e64 s[40:41], s97, v4
	v_cmp_gt_u32_e32 vcc, 8, v4
	v_ffbh_u32_e32 v4, v3
	v_min_u32_e32 v4, 32, v4
	v_mov_b32_e32 v9, v35
	v_subrev_u32_e32 v25, 28, v4
	v_lshlrev_b64 v[42:43], v25, v[8:9]
	v_bfe_u32 v13, v8, 3, 4
	v_sub_u32_e32 v4, 29, v4
	v_and_b32_e32 v9, 7, v42
	v_cndmask_b32_e32 v4, v13, v4, vcc
	v_cndmask_b32_e32 v3, v3, v9, vcc
	v_lshlrev_b32_e32 v9, 24, v8
	v_lshrrev_b16_e32 v12, 8, v34
	v_lshlrev_b32_e32 v3, 20, v3
	v_and_b32_e32 v9, 0x80000000, v9
	v_lshl_add_u32 v4, v4, 23, v48
	v_or3_b32 v9, v9, v4, v3
	v_cmp_ne_u16_e64 s[42:43], 0, v12
	s_mov_b64 s[44:45], -1
	s_and_b64 vcc, exec, s[50:51]
                                        ; implicit-def: $vgpr13
	s_cbranch_vccz .LBB2_2959
; %bb.2946:                             ;   in Loop: Header=BB2_2409 Depth=3
	v_mov_b32_e32 v13, 0
	s_and_saveexec_b64 s[44:45], s[42:43]
	s_cbranch_execz .LBB2_2952
; %bb.2947:                             ;   in Loop: Header=BB2_2409 Depth=3
	v_cmp_ne_u16_e32 vcc, s59, v12
	v_bfrev_b32_e32 v13, 1
	s_and_saveexec_b64 s[46:47], vcc
	s_cbranch_execz .LBB2_2951
; %bb.2948:                             ;   in Loop: Header=BB2_2409 Depth=3
	v_and_b32_e32 v25, 0x7f, v12
	v_cmp_ne_u32_e32 vcc, s97, v25
	v_mov_b32_e32 v13, 0x7f800001
	s_and_saveexec_b64 s[52:53], vcc
	s_cbranch_execz .LBB2_2950
; %bb.2949:                             ;   in Loop: Header=BB2_2409 Depth=3
	v_and_b32_e32 v3, 7, v12
	v_ffbh_u32_e32 v13, v3
	v_min_u32_e32 v13, 32, v13
	v_lshrrev_b32_e32 v4, 3, v25
	v_cmp_gt_u32_e32 vcc, 8, v25
	v_subrev_u32_e32 v25, 28, v13
	v_lshlrev_b64 v[42:43], v25, v[12:13]
	v_sub_u32_e32 v13, 29, v13
	v_and_b32_e32 v25, 7, v42
	v_cndmask_b32_e32 v4, v4, v13, vcc
	v_cndmask_b32_e32 v3, v3, v25, vcc
	v_lshlrev_b32_e32 v13, 16, v34
	v_lshlrev_b32_e32 v3, 20, v3
	v_and_b32_e32 v13, 0x80000000, v13
	v_lshl_add_u32 v4, v4, 23, v48
	v_or3_b32 v13, v13, v4, v3
.LBB2_2950:                             ;   in Loop: Header=BB2_2409 Depth=3
	s_or_b64 exec, exec, s[52:53]
.LBB2_2951:                             ;   in Loop: Header=BB2_2409 Depth=3
	s_or_b64 exec, exec, s[46:47]
.LBB2_2952:                             ;   in Loop: Header=BB2_2409 Depth=3
	s_or_b64 exec, exec, s[44:45]
	v_cmp_lt_i16_e32 vcc, s97, v8
	s_mov_b64 s[44:45], 0
	s_and_saveexec_b64 s[46:47], vcc
	s_xor_b64 s[46:47], exec, s[46:47]
	s_cbranch_execz .LBB2_3108
; %bb.2953:                             ;   in Loop: Header=BB2_2409 Depth=3
	v_cmp_eq_u16_e32 vcc, s59, v8
	s_mov_b64 s[44:45], -1
	s_and_saveexec_b64 s[52:53], vcc
; %bb.2954:                             ;   in Loop: Header=BB2_2409 Depth=3
	s_xor_b64 s[44:45], exec, -1
; %bb.2955:                             ;   in Loop: Header=BB2_2409 Depth=3
	s_or_b64 exec, exec, s[52:53]
	s_and_b64 s[44:45], s[44:45], exec
	s_or_saveexec_b64 s[46:47], s[46:47]
	v_bfrev_b32_e32 v25, 1
	s_xor_b64 exec, exec, s[46:47]
	s_cbranch_execnz .LBB2_3109
.LBB2_2956:                             ;   in Loop: Header=BB2_2409 Depth=3
	s_or_b64 exec, exec, s[46:47]
	s_and_saveexec_b64 s[46:47], s[44:45]
.LBB2_2957:                             ;   in Loop: Header=BB2_2409 Depth=3
	v_cndmask_b32_e64 v25, v9, v49, s[40:41]
.LBB2_2958:                             ;   in Loop: Header=BB2_2409 Depth=3
	s_or_b64 exec, exec, s[46:47]
	v_max_f32_e32 v3, v25, v25
	v_max_f32_e32 v4, v13, v13
	;; [unrolled: 1-line block ×3, first 2 shown]
	s_mov_b64 s[44:45], 0
.LBB2_2959:                             ;   in Loop: Header=BB2_2409 Depth=3
	s_and_b64 vcc, exec, s[44:45]
	s_cbranch_vccz .LBB2_2973
; %bb.2960:                             ;   in Loop: Header=BB2_2409 Depth=3
	v_mov_b32_e32 v13, 0
	s_and_saveexec_b64 s[44:45], s[42:43]
	s_cbranch_execz .LBB2_2966
; %bb.2961:                             ;   in Loop: Header=BB2_2409 Depth=3
	v_cmp_ne_u16_e32 vcc, s59, v12
	v_bfrev_b32_e32 v13, 1
	s_and_saveexec_b64 s[42:43], vcc
	s_cbranch_execz .LBB2_2965
; %bb.2962:                             ;   in Loop: Header=BB2_2409 Depth=3
	v_and_b32_e32 v25, 0x7f, v12
	v_cmp_ne_u32_e32 vcc, s97, v25
	v_mov_b32_e32 v13, 0x7f800001
	s_and_saveexec_b64 s[46:47], vcc
	s_cbranch_execz .LBB2_2964
; %bb.2963:                             ;   in Loop: Header=BB2_2409 Depth=3
	v_and_b32_e32 v3, 7, v12
	v_ffbh_u32_e32 v13, v3
	v_lshrrev_b32_e32 v4, 3, v25
	v_cmp_gt_u32_e32 vcc, 8, v25
	v_min_u32_e32 v25, 32, v13
	v_subrev_u32_e32 v13, 28, v25
	v_lshlrev_b64 v[12:13], v13, v[12:13]
	v_sub_u32_e32 v13, 29, v25
	v_and_b32_e32 v12, 7, v12
	v_cndmask_b32_e32 v4, v4, v13, vcc
	v_cndmask_b32_e32 v3, v3, v12, vcc
	v_lshlrev_b32_e32 v12, 16, v34
	v_lshlrev_b32_e32 v3, 20, v3
	v_and_b32_e32 v12, 0x80000000, v12
	v_lshl_add_u32 v4, v4, 23, v48
	v_or3_b32 v13, v12, v4, v3
.LBB2_2964:                             ;   in Loop: Header=BB2_2409 Depth=3
	s_or_b64 exec, exec, s[46:47]
.LBB2_2965:                             ;   in Loop: Header=BB2_2409 Depth=3
	s_or_b64 exec, exec, s[42:43]
.LBB2_2966:                             ;   in Loop: Header=BB2_2409 Depth=3
	s_or_b64 exec, exec, s[44:45]
	v_cmp_lt_i16_e32 vcc, s97, v8
	s_mov_b64 s[42:43], 0
	s_and_saveexec_b64 s[44:45], vcc
	s_xor_b64 s[44:45], exec, s[44:45]
	s_cbranch_execz .LBB2_3110
; %bb.2967:                             ;   in Loop: Header=BB2_2409 Depth=3
	v_cmp_eq_u16_e32 vcc, s59, v8
	s_mov_b64 s[42:43], -1
	s_and_saveexec_b64 s[46:47], vcc
; %bb.2968:                             ;   in Loop: Header=BB2_2409 Depth=3
	s_xor_b64 s[42:43], exec, -1
; %bb.2969:                             ;   in Loop: Header=BB2_2409 Depth=3
	s_or_b64 exec, exec, s[46:47]
	s_and_b64 s[42:43], s[42:43], exec
                                        ; implicit-def: $vgpr8
	s_or_saveexec_b64 s[44:45], s[44:45]
	v_bfrev_b32_e32 v12, 1
	s_xor_b64 exec, exec, s[44:45]
	s_cbranch_execnz .LBB2_3111
.LBB2_2970:                             ;   in Loop: Header=BB2_2409 Depth=3
	s_or_b64 exec, exec, s[44:45]
	s_and_saveexec_b64 s[44:45], s[42:43]
.LBB2_2971:                             ;   in Loop: Header=BB2_2409 Depth=3
	v_cndmask_b32_e64 v12, v9, v49, s[40:41]
.LBB2_2972:                             ;   in Loop: Header=BB2_2409 Depth=3
	s_or_b64 exec, exec, s[44:45]
	v_max_f32_e32 v3, v12, v12
	v_max_f32_e32 v4, v13, v13
	v_min_f32_e32 v13, v4, v3
.LBB2_2973:                             ;   in Loop: Header=BB2_2409 Depth=3
	v_and_b32_e32 v34, 0x7f800000, v13
	v_cmp_ne_u64_e32 vcc, s[90:91], v[34:35]
                                        ; implicit-def: $vgpr25
	s_and_saveexec_b64 s[40:41], vcc
	s_xor_b64 s[42:43], exec, s[40:41]
	s_cbranch_execz .LBB2_2987
; %bb.2974:                             ;   in Loop: Header=BB2_2409 Depth=3
	v_and_b32_e32 v34, 0x7fffffff, v13
	v_cmp_gt_u64_e32 vcc, s[92:93], v[34:35]
	v_and_b32_sdwa v57, v13, s59 dst_sel:DWORD dst_unused:UNUSED_PAD src0_sel:BYTE_3 src1_sel:DWORD
                                        ; implicit-def: $vgpr25
	s_and_saveexec_b64 s[40:41], vcc
	s_xor_b64 s[44:45], exec, s[40:41]
	s_cbranch_execz .LBB2_2984
; %bb.2975:                             ;   in Loop: Header=BB2_2409 Depth=3
	v_mov_b32_e32 v25, 0
	v_cmp_ne_u32_e32 vcc, 0, v13
	s_and_saveexec_b64 s[46:47], vcc
	s_cbranch_execz .LBB2_2983
; %bb.2976:                             ;   in Loop: Header=BB2_2409 Depth=3
	v_bfe_u32 v25, v13, 23, 8
	v_cmp_gt_u32_e64 s[40:41], s56, v25
	v_sub_u32_e32 v4, 0x79, v25
	v_and_b32_e32 v3, 0x7fffff, v13
	v_cmp_eq_u32_e32 vcc, 0, v25
	v_cndmask_b32_e64 v4, 0, v4, s[40:41]
	v_mov_b32_e32 v9, 0x78
	v_or_b32_e32 v8, 0x800000, v3
	v_cndmask_b32_e32 v58, v4, v9, vcc
	v_cndmask_b32_e32 v34, v8, v3, vcc
	v_add_u32_e32 v3, 20, v58
	v_lshlrev_b64 v[8:9], v3, -1
	v_add_u32_e32 v3, 19, v58
	v_lshlrev_b64 v[12:13], v3, 1
	v_bfi_b32 v9, v9, 0, 0
	v_bfi_b32 v8, v8, 0, v34
	v_cmp_eq_u64_e64 s[40:41], v[8:9], v[12:13]
	v_lshrrev_b64 v[8:9], v58, v[34:35]
	v_mov_b32_e32 v13, v9
	v_mov_b32_e32 v12, v8
	s_and_saveexec_b64 s[52:53], s[40:41]
; %bb.2977:                             ;   in Loop: Header=BB2_2409 Depth=3
	v_bfe_u32 v3, v8, 20, 1
	v_add_co_u32_e64 v3, s[40:41], v8, v3
	v_add_co_u32_e64 v12, s[40:41], -1, v3
; %bb.2978:                             ;   in Loop: Header=BB2_2409 Depth=3
	s_or_b64 exec, exec, s[52:53]
	v_add_u32_e32 v3, 0xffffff81, v25
	v_cndmask_b32_e32 v3, v3, v52, vcc
	v_lshrrev_b32_e32 v4, 23, v8
	v_add3_u32 v25, v58, v3, v4
	v_add_u32_e32 v13, 6, v25
	v_and_b32_e32 v3, 0xfffff, v12
	v_add_u32_e32 v34, v3, v8
	v_cmp_ne_u32_e32 vcc, 0, v13
                                        ; implicit-def: $vgpr8_vgpr9
                                        ; implicit-def: $vgpr12
	s_and_saveexec_b64 s[40:41], vcc
	s_xor_b64 s[40:41], exec, s[40:41]
; %bb.2979:                             ;   in Loop: Header=BB2_2409 Depth=3
	v_cmp_lt_u64_e32 vcc, s[94:95], v[34:35]
	v_add_u32_e32 v3, 7, v25
	v_cndmask_b32_e32 v12, v13, v3, vcc
	v_cndmask_b32_e64 v3, 0, 1, vcc
	v_lshrrev_b64 v[8:9], v3, v[34:35]
; %bb.2980:                             ;   in Loop: Header=BB2_2409 Depth=3
	s_andn2_saveexec_b64 s[40:41], s[40:41]
; %bb.2981:                             ;   in Loop: Header=BB2_2409 Depth=3
	v_mov_b32_e32 v8, v34
	v_bfe_u32 v12, v34, 23, 1
	v_mov_b32_e32 v9, v35
; %bb.2982:                             ;   in Loop: Header=BB2_2409 Depth=3
	s_or_b64 exec, exec, s[40:41]
	v_lshrrev_b64 v[8:9], 20, v[8:9]
	v_cmp_gt_i32_e32 vcc, 16, v12
	v_cndmask_b32_e32 v9, 0, v9, vcc
	v_cndmask_b32_e32 v8, 7, v8, vcc
	v_min_i32_e32 v3, 15, v12
	v_cmp_eq_u64_e64 s[40:41], 0, v[8:9]
	v_lshlrev_b32_e32 v3, 3, v3
	v_cmp_eq_u32_e32 vcc, 0, v12
	v_and_b32_e32 v3, 0xf8, v3
	v_and_or_b32 v3, v8, 7, v3
	s_and_b64 s[40:41], vcc, s[40:41]
	v_cndmask_b32_e64 v3, v3, 0, s[40:41]
	v_or_b32_e32 v25, v3, v57
.LBB2_2983:                             ;   in Loop: Header=BB2_2409 Depth=3
	s_or_b64 exec, exec, s[46:47]
                                        ; implicit-def: $vgpr57
.LBB2_2984:                             ;   in Loop: Header=BB2_2409 Depth=3
	s_andn2_saveexec_b64 s[40:41], s[44:45]
; %bb.2985:                             ;   in Loop: Header=BB2_2409 Depth=3
	v_or_b32_e32 v25, 0x7e, v57
; %bb.2986:                             ;   in Loop: Header=BB2_2409 Depth=3
	s_or_b64 exec, exec, s[40:41]
                                        ; implicit-def: $vgpr13
.LBB2_2987:                             ;   in Loop: Header=BB2_2409 Depth=3
	s_andn2_saveexec_b64 s[40:41], s[42:43]
; %bb.2988:                             ;   in Loop: Header=BB2_2409 Depth=3
	v_or_b32_sdwa v25, v13, s97 dst_sel:DWORD dst_unused:UNUSED_PAD src0_sel:BYTE_3 src1_sel:DWORD
; %bb.2989:                             ;   in Loop: Header=BB2_2409 Depth=3
	s_or_b64 exec, exec, s[40:41]
	v_bfe_u32 v3, v15, 16, 3
	v_bfe_u32 v4, v15, 16, 7
	v_cmp_eq_u32_e64 s[40:41], s97, v4
	v_cmp_gt_u32_e32 vcc, 8, v4
	v_ffbh_u32_e32 v4, v3
	v_lshrrev_b32_e32 v8, 16, v15
	v_min_u32_e32 v4, 32, v4
	v_bfe_u32 v9, v8, 3, 4
	v_subrev_u32_e32 v12, 28, v4
	v_lshlrev_b64 v[12:13], v12, v[8:9]
	v_sub_u32_e32 v4, 29, v4
	v_and_b32_e32 v12, 7, v12
	v_cndmask_b32_e32 v4, v9, v4, vcc
	v_cndmask_b32_e32 v3, v3, v12, vcc
	v_lshlrev_b32_e32 v9, 8, v15
	v_lshlrev_b32_e32 v3, 20, v3
	v_and_b32_e32 v9, 0x80000000, v9
	v_lshl_add_u32 v4, v4, 23, v48
	v_or3_b32 v12, v9, v4, v3
	v_lshrrev_b32_e32 v9, 16, v11
	v_cmp_ne_u16_sdwa s[42:43], v9, v35 src0_sel:BYTE_0 src1_sel:DWORD
	s_mov_b64 s[44:45], -1
	s_and_b64 vcc, exec, s[50:51]
                                        ; implicit-def: $vgpr13
	s_cbranch_vccz .LBB2_3003
; %bb.2990:                             ;   in Loop: Header=BB2_2409 Depth=3
	v_mov_b32_e32 v13, 0
	s_and_saveexec_b64 s[44:45], s[42:43]
	s_cbranch_execz .LBB2_2996
; %bb.2991:                             ;   in Loop: Header=BB2_2409 Depth=3
	v_cmp_ne_u16_sdwa vcc, v9, s59 src0_sel:BYTE_0 src1_sel:DWORD
	v_bfrev_b32_e32 v13, 1
	s_and_saveexec_b64 s[46:47], vcc
	s_cbranch_execz .LBB2_2995
; %bb.2992:                             ;   in Loop: Header=BB2_2409 Depth=3
	v_bfe_u32 v34, v11, 16, 7
	v_cmp_ne_u32_e32 vcc, s97, v34
	v_mov_b32_e32 v13, 0x7f800001
	s_and_saveexec_b64 s[52:53], vcc
	s_cbranch_execz .LBB2_2994
; %bb.2993:                             ;   in Loop: Header=BB2_2409 Depth=3
	v_and_b32_e32 v3, 7, v9
	v_ffbh_u32_e32 v13, v3
	v_min_u32_e32 v13, 32, v13
	v_lshrrev_b32_e32 v4, 3, v34
	v_cmp_gt_u32_e32 vcc, 8, v34
	v_subrev_u32_e32 v34, 28, v13
	v_lshlrev_b64 v[42:43], v34, v[9:10]
	v_sub_u32_e32 v13, 29, v13
	v_and_b32_e32 v34, 7, v42
	v_cndmask_b32_e32 v4, v4, v13, vcc
	v_cndmask_b32_e32 v3, v3, v34, vcc
	v_lshlrev_b32_e32 v13, 24, v9
	v_lshlrev_b32_e32 v3, 20, v3
	v_and_b32_e32 v13, 0x80000000, v13
	v_lshl_add_u32 v4, v4, 23, v48
	v_or3_b32 v13, v13, v4, v3
.LBB2_2994:                             ;   in Loop: Header=BB2_2409 Depth=3
	s_or_b64 exec, exec, s[52:53]
.LBB2_2995:                             ;   in Loop: Header=BB2_2409 Depth=3
	s_or_b64 exec, exec, s[46:47]
.LBB2_2996:                             ;   in Loop: Header=BB2_2409 Depth=3
	s_or_b64 exec, exec, s[44:45]
	v_cmp_gt_i16_sdwa s[46:47], v8, s97 src0_sel:BYTE_0 src1_sel:DWORD
	s_mov_b64 s[44:45], 0
	s_and_saveexec_b64 vcc, s[46:47]
	s_xor_b64 s[46:47], exec, vcc
	s_cbranch_execz .LBB2_3112
; %bb.2997:                             ;   in Loop: Header=BB2_2409 Depth=3
	v_cmp_eq_u16_sdwa s[52:53], v8, s59 src0_sel:BYTE_0 src1_sel:DWORD
	s_mov_b64 s[44:45], -1
	s_and_saveexec_b64 vcc, s[52:53]
; %bb.2998:                             ;   in Loop: Header=BB2_2409 Depth=3
	s_xor_b64 s[44:45], exec, -1
; %bb.2999:                             ;   in Loop: Header=BB2_2409 Depth=3
	s_or_b64 exec, exec, vcc
	s_and_b64 s[44:45], s[44:45], exec
	s_or_saveexec_b64 s[46:47], s[46:47]
	v_bfrev_b32_e32 v34, 1
	s_xor_b64 exec, exec, s[46:47]
	s_cbranch_execnz .LBB2_3113
.LBB2_3000:                             ;   in Loop: Header=BB2_2409 Depth=3
	s_or_b64 exec, exec, s[46:47]
	s_and_saveexec_b64 s[46:47], s[44:45]
.LBB2_3001:                             ;   in Loop: Header=BB2_2409 Depth=3
	v_cndmask_b32_e64 v34, v12, v49, s[40:41]
.LBB2_3002:                             ;   in Loop: Header=BB2_2409 Depth=3
	s_or_b64 exec, exec, s[46:47]
	v_max_f32_e32 v3, v34, v34
	v_max_f32_e32 v4, v13, v13
	;; [unrolled: 1-line block ×3, first 2 shown]
	s_mov_b64 s[44:45], 0
.LBB2_3003:                             ;   in Loop: Header=BB2_2409 Depth=3
	s_and_b64 vcc, exec, s[44:45]
	s_cbranch_vccz .LBB2_3017
; %bb.3004:                             ;   in Loop: Header=BB2_2409 Depth=3
	v_mov_b32_e32 v13, 0
	s_and_saveexec_b64 s[44:45], s[42:43]
	s_cbranch_execz .LBB2_3010
; %bb.3005:                             ;   in Loop: Header=BB2_2409 Depth=3
	v_cmp_ne_u16_sdwa s[46:47], v9, s59 src0_sel:BYTE_0 src1_sel:DWORD
	v_bfrev_b32_e32 v13, 1
	s_and_saveexec_b64 s[42:43], s[46:47]
	s_cbranch_execz .LBB2_3009
; %bb.3006:                             ;   in Loop: Header=BB2_2409 Depth=3
	v_bfe_u32 v34, v11, 16, 7
	v_cmp_ne_u32_e32 vcc, s97, v34
	v_mov_b32_e32 v13, 0x7f800001
	s_and_saveexec_b64 s[46:47], vcc
	s_cbranch_execz .LBB2_3008
; %bb.3007:                             ;   in Loop: Header=BB2_2409 Depth=3
	v_and_b32_e32 v3, 7, v9
	v_ffbh_u32_e32 v13, v3
	v_min_u32_e32 v13, 32, v13
	v_lshrrev_b32_e32 v4, 3, v34
	v_cmp_gt_u32_e32 vcc, 8, v34
	v_subrev_u32_e32 v34, 28, v13
	v_lshlrev_b64 v[42:43], v34, v[9:10]
	v_sub_u32_e32 v13, 29, v13
	v_and_b32_e32 v34, 7, v42
	v_cndmask_b32_e32 v4, v4, v13, vcc
	v_cndmask_b32_e32 v3, v3, v34, vcc
	v_lshlrev_b32_e32 v9, 24, v9
	v_lshlrev_b32_e32 v3, 20, v3
	v_and_b32_e32 v9, 0x80000000, v9
	v_lshl_add_u32 v4, v4, 23, v48
	v_or3_b32 v13, v9, v4, v3
.LBB2_3008:                             ;   in Loop: Header=BB2_2409 Depth=3
	s_or_b64 exec, exec, s[46:47]
.LBB2_3009:                             ;   in Loop: Header=BB2_2409 Depth=3
	s_or_b64 exec, exec, s[42:43]
.LBB2_3010:                             ;   in Loop: Header=BB2_2409 Depth=3
	s_or_b64 exec, exec, s[44:45]
	v_cmp_gt_i16_sdwa s[44:45], v8, s97 src0_sel:BYTE_0 src1_sel:DWORD
	s_mov_b64 s[42:43], 0
	s_and_saveexec_b64 s[46:47], s[44:45]
	s_xor_b64 s[44:45], exec, s[46:47]
	s_cbranch_execz .LBB2_3114
; %bb.3011:                             ;   in Loop: Header=BB2_2409 Depth=3
	v_cmp_eq_u16_sdwa vcc, v8, s59 src0_sel:BYTE_0 src1_sel:DWORD
	s_mov_b64 s[42:43], -1
	s_and_saveexec_b64 s[46:47], vcc
; %bb.3012:                             ;   in Loop: Header=BB2_2409 Depth=3
	s_xor_b64 s[42:43], exec, -1
; %bb.3013:                             ;   in Loop: Header=BB2_2409 Depth=3
	s_or_b64 exec, exec, s[46:47]
	s_and_b64 s[42:43], s[42:43], exec
                                        ; implicit-def: $vgpr8
	s_or_saveexec_b64 s[44:45], s[44:45]
	v_bfrev_b32_e32 v9, 1
	s_xor_b64 exec, exec, s[44:45]
	s_cbranch_execnz .LBB2_3115
.LBB2_3014:                             ;   in Loop: Header=BB2_2409 Depth=3
	s_or_b64 exec, exec, s[44:45]
	s_and_saveexec_b64 s[44:45], s[42:43]
.LBB2_3015:                             ;   in Loop: Header=BB2_2409 Depth=3
	v_cndmask_b32_e64 v9, v12, v49, s[40:41]
.LBB2_3016:                             ;   in Loop: Header=BB2_2409 Depth=3
	s_or_b64 exec, exec, s[44:45]
	v_max_f32_e32 v3, v9, v9
	v_max_f32_e32 v4, v13, v13
	v_min_f32_e32 v13, v4, v3
.LBB2_3017:                             ;   in Loop: Header=BB2_2409 Depth=3
	v_and_b32_e32 v34, 0x7f800000, v13
	v_cmp_ne_u64_e32 vcc, s[90:91], v[34:35]
                                        ; implicit-def: $vgpr12
	s_and_saveexec_b64 s[40:41], vcc
	s_xor_b64 s[42:43], exec, s[40:41]
	s_cbranch_execz .LBB2_3031
; %bb.3018:                             ;   in Loop: Header=BB2_2409 Depth=3
	v_and_b32_e32 v34, 0x7fffffff, v13
	v_cmp_gt_u64_e32 vcc, s[92:93], v[34:35]
	v_and_b32_sdwa v57, v13, s59 dst_sel:DWORD dst_unused:UNUSED_PAD src0_sel:BYTE_3 src1_sel:DWORD
                                        ; implicit-def: $vgpr12
	s_and_saveexec_b64 s[40:41], vcc
	s_xor_b64 s[44:45], exec, s[40:41]
	s_cbranch_execz .LBB2_3028
; %bb.3019:                             ;   in Loop: Header=BB2_2409 Depth=3
	v_mov_b32_e32 v12, 0
	v_cmp_ne_u32_e32 vcc, 0, v13
	s_and_saveexec_b64 s[46:47], vcc
	s_cbranch_execz .LBB2_3027
; %bb.3020:                             ;   in Loop: Header=BB2_2409 Depth=3
	v_bfe_u32 v58, v13, 23, 8
	v_cmp_gt_u32_e64 s[40:41], s56, v58
	v_sub_u32_e32 v4, 0x79, v58
	v_and_b32_e32 v3, 0x7fffff, v13
	v_cmp_eq_u32_e32 vcc, 0, v58
	v_cndmask_b32_e64 v4, 0, v4, s[40:41]
	v_mov_b32_e32 v9, 0x78
	v_or_b32_e32 v8, 0x800000, v3
	v_cndmask_b32_e32 v60, v4, v9, vcc
	v_cndmask_b32_e32 v34, v8, v3, vcc
	v_add_u32_e32 v3, 20, v60
	v_lshlrev_b64 v[8:9], v3, -1
	v_add_u32_e32 v3, 19, v60
	v_lshlrev_b64 v[12:13], v3, 1
	v_bfi_b32 v9, v9, 0, 0
	v_bfi_b32 v8, v8, 0, v34
	v_cmp_eq_u64_e64 s[40:41], v[8:9], v[12:13]
	v_lshrrev_b64 v[8:9], v60, v[34:35]
	v_mov_b32_e32 v13, v9
	v_mov_b32_e32 v12, v8
	s_and_saveexec_b64 s[52:53], s[40:41]
; %bb.3021:                             ;   in Loop: Header=BB2_2409 Depth=3
	v_bfe_u32 v3, v8, 20, 1
	v_add_co_u32_e64 v3, s[40:41], v8, v3
	v_add_co_u32_e64 v12, s[40:41], -1, v3
; %bb.3022:                             ;   in Loop: Header=BB2_2409 Depth=3
	s_or_b64 exec, exec, s[52:53]
	v_add_u32_e32 v3, 0xffffff81, v58
	v_cndmask_b32_e32 v3, v3, v52, vcc
	v_lshrrev_b32_e32 v4, 23, v8
	v_add3_u32 v58, v60, v3, v4
	v_add_u32_e32 v13, 6, v58
	v_and_b32_e32 v3, 0xfffff, v12
	v_add_u32_e32 v34, v3, v8
	v_cmp_ne_u32_e32 vcc, 0, v13
                                        ; implicit-def: $vgpr8_vgpr9
                                        ; implicit-def: $vgpr12
	s_and_saveexec_b64 s[40:41], vcc
	s_xor_b64 s[40:41], exec, s[40:41]
; %bb.3023:                             ;   in Loop: Header=BB2_2409 Depth=3
	v_cmp_lt_u64_e32 vcc, s[94:95], v[34:35]
	v_add_u32_e32 v3, 7, v58
	v_cndmask_b32_e32 v12, v13, v3, vcc
	v_cndmask_b32_e64 v3, 0, 1, vcc
	v_lshrrev_b64 v[8:9], v3, v[34:35]
; %bb.3024:                             ;   in Loop: Header=BB2_2409 Depth=3
	s_andn2_saveexec_b64 s[40:41], s[40:41]
; %bb.3025:                             ;   in Loop: Header=BB2_2409 Depth=3
	v_mov_b32_e32 v8, v34
	v_bfe_u32 v12, v34, 23, 1
	v_mov_b32_e32 v9, v35
; %bb.3026:                             ;   in Loop: Header=BB2_2409 Depth=3
	s_or_b64 exec, exec, s[40:41]
	v_lshrrev_b64 v[8:9], 20, v[8:9]
	v_cmp_gt_i32_e32 vcc, 16, v12
	v_cndmask_b32_e32 v9, 0, v9, vcc
	v_cndmask_b32_e32 v8, 7, v8, vcc
	v_min_i32_e32 v3, 15, v12
	v_cmp_eq_u64_e64 s[40:41], 0, v[8:9]
	v_lshlrev_b32_e32 v3, 3, v3
	v_cmp_eq_u32_e32 vcc, 0, v12
	v_and_b32_e32 v3, 0xf8, v3
	v_and_or_b32 v3, v8, 7, v3
	s_and_b64 s[40:41], vcc, s[40:41]
	v_cndmask_b32_e64 v3, v3, 0, s[40:41]
	v_or_b32_e32 v12, v3, v57
.LBB2_3027:                             ;   in Loop: Header=BB2_2409 Depth=3
	s_or_b64 exec, exec, s[46:47]
                                        ; implicit-def: $vgpr57
.LBB2_3028:                             ;   in Loop: Header=BB2_2409 Depth=3
	s_andn2_saveexec_b64 s[40:41], s[44:45]
; %bb.3029:                             ;   in Loop: Header=BB2_2409 Depth=3
	v_or_b32_e32 v12, 0x7e, v57
; %bb.3030:                             ;   in Loop: Header=BB2_2409 Depth=3
	s_or_b64 exec, exec, s[40:41]
                                        ; implicit-def: $vgpr13
.LBB2_3031:                             ;   in Loop: Header=BB2_2409 Depth=3
	s_andn2_saveexec_b64 s[40:41], s[42:43]
; %bb.3032:                             ;   in Loop: Header=BB2_2409 Depth=3
	v_or_b32_sdwa v12, v13, s97 dst_sel:DWORD dst_unused:UNUSED_PAD src0_sel:BYTE_3 src1_sel:DWORD
; %bb.3033:                             ;   in Loop: Header=BB2_2409 Depth=3
	s_or_b64 exec, exec, s[40:41]
	v_bfe_u32 v3, v15, 24, 3
	v_bfe_u32 v4, v15, 24, 7
	v_cmp_eq_u32_e64 s[44:45], s97, v4
	v_cmp_gt_u32_e32 vcc, 8, v4
	v_ffbh_u32_e32 v4, v3
	v_min_u32_e32 v4, 32, v4
	v_lshrrev_b32_e32 v9, 24, v15
	v_subrev_u32_e32 v13, 28, v4
	v_cmp_gt_u64_e64 s[40:41], s[60:61], v[14:15]
	v_lshlrev_b64 v[13:14], v13, v[9:10]
	v_bfe_u32 v34, v9, 3, 4
	v_cmp_eq_u32_e64 s[42:43], s59, v9
	v_sub_u32_e32 v4, 29, v4
	v_and_b32_e32 v9, 7, v13
	v_cndmask_b32_e32 v4, v34, v4, vcc
	v_cndmask_b32_e32 v3, v3, v9, vcc
	v_lshlrev_b32_e32 v3, 20, v3
	v_and_b32_e32 v9, 0x80000000, v15
	v_lshl_add_u32 v4, v4, 23, v48
	v_cmp_lt_u64_e64 s[46:47], s[62:63], v[10:11]
	v_lshrrev_b32_e32 v8, 24, v11
	v_or3_b32 v9, v9, v4, v3
	s_mov_b64 s[52:53], -1
	s_and_b64 vcc, exec, s[50:51]
                                        ; implicit-def: $vgpr10
	s_cbranch_vccz .LBB2_3041
; %bb.3034:                             ;   in Loop: Header=BB2_2409 Depth=3
	v_mov_b32_e32 v10, 0
	s_and_saveexec_b64 s[52:53], s[46:47]
	s_cbranch_execz .LBB2_3040
; %bb.3035:                             ;   in Loop: Header=BB2_2409 Depth=3
	v_cmp_ne_u32_e32 vcc, s59, v8
	v_bfrev_b32_e32 v10, 1
	s_and_saveexec_b64 s[54:55], vcc
	s_cbranch_execz .LBB2_3039
; %bb.3036:                             ;   in Loop: Header=BB2_2409 Depth=3
	v_bfe_u32 v13, v11, 24, 7
	v_cmp_ne_u32_e32 vcc, s97, v13
	v_mov_b32_e32 v10, 0x7f800001
	s_and_saveexec_b64 s[64:65], vcc
	s_cbranch_execz .LBB2_3038
; %bb.3037:                             ;   in Loop: Header=BB2_2409 Depth=3
	v_and_b32_e32 v3, 7, v8
	v_ffbh_u32_e32 v10, v3
	v_min_u32_e32 v10, 32, v10
	v_lshrrev_b32_e32 v4, 3, v13
	v_cmp_gt_u32_e32 vcc, 8, v13
	v_subrev_u32_e32 v13, 28, v10
	v_lshlrev_b64 v[13:14], v13, v[8:9]
	v_sub_u32_e32 v10, 29, v10
	v_and_b32_e32 v13, 7, v13
	v_cndmask_b32_e32 v4, v4, v10, vcc
	v_cndmask_b32_e32 v3, v3, v13, vcc
	v_lshlrev_b32_e32 v10, 24, v8
	v_lshlrev_b32_e32 v3, 20, v3
	v_and_b32_e32 v10, 0x80000000, v10
	v_lshl_add_u32 v4, v4, 23, v48
	v_or3_b32 v10, v10, v4, v3
.LBB2_3038:                             ;   in Loop: Header=BB2_2409 Depth=3
	s_or_b64 exec, exec, s[64:65]
.LBB2_3039:                             ;   in Loop: Header=BB2_2409 Depth=3
	s_or_b64 exec, exec, s[54:55]
.LBB2_3040:                             ;   in Loop: Header=BB2_2409 Depth=3
	s_or_b64 exec, exec, s[52:53]
	v_cndmask_b32_e64 v3, v9, v49, s[44:45]
	v_cndmask_b32_e64 v3, v3, v0, s[42:43]
	;; [unrolled: 1-line block ×3, first 2 shown]
	v_max_f32_e32 v3, v3, v3
	v_max_f32_e32 v4, v10, v10
	;; [unrolled: 1-line block ×3, first 2 shown]
	s_mov_b64 s[52:53], 0
.LBB2_3041:                             ;   in Loop: Header=BB2_2409 Depth=3
	s_and_b64 vcc, exec, s[52:53]
	s_cbranch_vccz .LBB2_3049
; %bb.3042:                             ;   in Loop: Header=BB2_2409 Depth=3
	v_mov_b32_e32 v10, 0
	s_and_saveexec_b64 s[52:53], s[46:47]
	s_cbranch_execz .LBB2_3048
; %bb.3043:                             ;   in Loop: Header=BB2_2409 Depth=3
	v_cmp_ne_u32_e32 vcc, s59, v8
	v_bfrev_b32_e32 v10, 1
	s_and_saveexec_b64 s[46:47], vcc
	s_cbranch_execz .LBB2_3047
; %bb.3044:                             ;   in Loop: Header=BB2_2409 Depth=3
	v_bfe_u32 v11, v11, 24, 7
	v_cmp_ne_u32_e32 vcc, s97, v11
	v_mov_b32_e32 v10, 0x7f800001
	s_and_saveexec_b64 s[54:55], vcc
	s_cbranch_execz .LBB2_3046
; %bb.3045:                             ;   in Loop: Header=BB2_2409 Depth=3
	v_and_b32_e32 v3, 7, v8
	v_ffbh_u32_e32 v10, v3
	v_min_u32_e32 v13, 32, v10
	v_subrev_u32_e32 v10, 28, v13
	v_lshrrev_b32_e32 v4, 3, v11
	v_cmp_gt_u32_e32 vcc, 8, v11
	v_lshlrev_b64 v[10:11], v10, v[8:9]
	v_sub_u32_e32 v11, 29, v13
	v_and_b32_e32 v10, 7, v10
	v_cndmask_b32_e32 v4, v4, v11, vcc
	v_cndmask_b32_e32 v3, v3, v10, vcc
	v_lshlrev_b32_e32 v8, 24, v8
	v_lshlrev_b32_e32 v3, 20, v3
	v_and_b32_e32 v8, 0x80000000, v8
	v_lshl_add_u32 v4, v4, 23, v48
	v_or3_b32 v10, v8, v4, v3
.LBB2_3046:                             ;   in Loop: Header=BB2_2409 Depth=3
	s_or_b64 exec, exec, s[54:55]
.LBB2_3047:                             ;   in Loop: Header=BB2_2409 Depth=3
	s_or_b64 exec, exec, s[46:47]
.LBB2_3048:                             ;   in Loop: Header=BB2_2409 Depth=3
	s_or_b64 exec, exec, s[52:53]
	v_cndmask_b32_e64 v3, v9, v49, s[44:45]
	v_cndmask_b32_e64 v3, v3, v0, s[42:43]
	;; [unrolled: 1-line block ×3, first 2 shown]
	v_max_f32_e32 v3, v3, v3
	v_max_f32_e32 v4, v10, v10
	v_min_f32_e32 v10, v4, v3
.LBB2_3049:                             ;   in Loop: Header=BB2_2409 Depth=3
	v_and_b32_e32 v34, 0x7f800000, v10
	v_cmp_ne_u64_e32 vcc, s[90:91], v[34:35]
                                        ; implicit-def: $vgpr13
	s_and_saveexec_b64 s[40:41], vcc
	s_xor_b64 s[42:43], exec, s[40:41]
	s_cbranch_execz .LBB2_3063
; %bb.3050:                             ;   in Loop: Header=BB2_2409 Depth=3
	v_and_b32_e32 v34, 0x7fffffff, v10
	v_cmp_gt_u64_e32 vcc, s[92:93], v[34:35]
	v_and_b32_sdwa v11, v10, s59 dst_sel:DWORD dst_unused:UNUSED_PAD src0_sel:BYTE_3 src1_sel:DWORD
                                        ; implicit-def: $vgpr13
	s_and_saveexec_b64 s[40:41], vcc
	s_xor_b64 s[44:45], exec, s[40:41]
	s_cbranch_execz .LBB2_3060
; %bb.3051:                             ;   in Loop: Header=BB2_2409 Depth=3
	v_mov_b32_e32 v13, 0
	v_cmp_ne_u32_e32 vcc, 0, v10
	s_and_saveexec_b64 s[46:47], vcc
	s_cbranch_execz .LBB2_3059
; %bb.3052:                             ;   in Loop: Header=BB2_2409 Depth=3
	v_bfe_u32 v13, v10, 23, 8
	v_cmp_gt_u32_e64 s[40:41], s56, v13
	v_sub_u32_e32 v4, 0x79, v13
	v_and_b32_e32 v3, 0x7fffff, v10
	v_cmp_eq_u32_e32 vcc, 0, v13
	v_cndmask_b32_e64 v4, 0, v4, s[40:41]
	v_mov_b32_e32 v9, 0x78
	v_or_b32_e32 v8, 0x800000, v3
	v_cndmask_b32_e32 v14, v4, v9, vcc
	v_cndmask_b32_e32 v34, v8, v3, vcc
	v_add_u32_e32 v3, 20, v14
	v_lshlrev_b64 v[8:9], v3, -1
	v_add_u32_e32 v3, 19, v14
	v_lshlrev_b64 v[42:43], v3, 1
	v_bfi_b32 v9, v9, 0, 0
	v_bfi_b32 v8, v8, 0, v34
	v_cmp_eq_u64_e64 s[40:41], v[8:9], v[42:43]
	v_lshrrev_b64 v[8:9], v14, v[34:35]
	v_mov_b32_e32 v10, v9
	v_mov_b32_e32 v9, v8
	s_and_saveexec_b64 s[52:53], s[40:41]
; %bb.3053:                             ;   in Loop: Header=BB2_2409 Depth=3
	v_bfe_u32 v3, v8, 20, 1
	v_add_co_u32_e64 v3, s[40:41], v8, v3
	v_add_co_u32_e64 v9, s[40:41], -1, v3
; %bb.3054:                             ;   in Loop: Header=BB2_2409 Depth=3
	s_or_b64 exec, exec, s[52:53]
	v_add_u32_e32 v3, 0xffffff81, v13
	v_cndmask_b32_e32 v3, v3, v52, vcc
	v_lshrrev_b32_e32 v4, 23, v8
	v_add3_u32 v14, v14, v3, v4
	v_add_u32_e32 v13, 6, v14
	v_and_b32_e32 v3, 0xfffff, v9
	v_add_u32_e32 v34, v3, v8
	v_cmp_ne_u32_e32 vcc, 0, v13
                                        ; implicit-def: $vgpr8_vgpr9
                                        ; implicit-def: $vgpr10
	s_and_saveexec_b64 s[40:41], vcc
	s_xor_b64 s[40:41], exec, s[40:41]
; %bb.3055:                             ;   in Loop: Header=BB2_2409 Depth=3
	v_cmp_lt_u64_e32 vcc, s[94:95], v[34:35]
	v_add_u32_e32 v3, 7, v14
	v_cndmask_b32_e32 v10, v13, v3, vcc
	v_cndmask_b32_e64 v3, 0, 1, vcc
	v_lshrrev_b64 v[8:9], v3, v[34:35]
; %bb.3056:                             ;   in Loop: Header=BB2_2409 Depth=3
	s_andn2_saveexec_b64 s[40:41], s[40:41]
; %bb.3057:                             ;   in Loop: Header=BB2_2409 Depth=3
	v_mov_b32_e32 v8, v34
	v_bfe_u32 v10, v34, 23, 1
	v_mov_b32_e32 v9, v35
; %bb.3058:                             ;   in Loop: Header=BB2_2409 Depth=3
	s_or_b64 exec, exec, s[40:41]
	v_lshrrev_b64 v[8:9], 20, v[8:9]
	v_cmp_gt_i32_e32 vcc, 16, v10
	v_cndmask_b32_e32 v9, 0, v9, vcc
	v_cndmask_b32_e32 v8, 7, v8, vcc
	v_min_i32_e32 v3, 15, v10
	v_cmp_eq_u64_e64 s[40:41], 0, v[8:9]
	v_lshlrev_b32_e32 v3, 3, v3
	v_cmp_eq_u32_e32 vcc, 0, v10
	v_and_b32_e32 v3, 0xf8, v3
	v_and_or_b32 v3, v8, 7, v3
	s_and_b64 s[40:41], vcc, s[40:41]
	v_cndmask_b32_e64 v3, v3, 0, s[40:41]
	v_or_b32_e32 v13, v3, v11
.LBB2_3059:                             ;   in Loop: Header=BB2_2409 Depth=3
	s_or_b64 exec, exec, s[46:47]
                                        ; implicit-def: $vgpr11
.LBB2_3060:                             ;   in Loop: Header=BB2_2409 Depth=3
	s_andn2_saveexec_b64 s[40:41], s[44:45]
; %bb.3061:                             ;   in Loop: Header=BB2_2409 Depth=3
	v_or_b32_e32 v13, 0x7e, v11
; %bb.3062:                             ;   in Loop: Header=BB2_2409 Depth=3
	s_or_b64 exec, exec, s[40:41]
                                        ; implicit-def: $vgpr10
.LBB2_3063:                             ;   in Loop: Header=BB2_2409 Depth=3
	s_andn2_saveexec_b64 s[40:41], s[42:43]
; %bb.3064:                             ;   in Loop: Header=BB2_2409 Depth=3
	v_or_b32_sdwa v13, v10, s97 dst_sel:DWORD dst_unused:UNUSED_PAD src0_sel:BYTE_3 src1_sel:DWORD
; %bb.3065:                             ;   in Loop: Header=BB2_2409 Depth=3
	s_or_b64 exec, exec, s[40:41]
	v_lshl_or_b32 v3, v27, 8, v26
	v_lshlrev_b32_e32 v4, 16, v31
	v_lshlrev_b32_e32 v8, 24, v30
	v_or3_b32 v9, v3, v4, v8
	v_lshl_or_b32 v3, v7, 8, v6
	v_lshlrev_b32_e32 v4, 16, v16
	v_lshlrev_b32_e32 v6, 24, v21
	v_or3_b32 v8, v3, v4, v6
	;; [unrolled: 4-line block ×3, first 2 shown]
	v_lshlrev_b32_e32 v1, 24, v13
	v_lshlrev_b32_e32 v3, 16, v12
	v_lshl_or_b32 v4, v25, 8, v24
	v_or3_b32 v11, v4, v3, v1
	s_mov_b64 s[46:47], 0
	s_mov_b64 s[44:45], -1
.LBB2_3066:                             ;   Parent Loop BB2_47 Depth=1
                                        ;     Parent Loop BB2_2331 Depth=2
                                        ;       Parent Loop BB2_2409 Depth=3
                                        ; =>      This Inner Loop Header: Depth=4
	s_cmp_eq_u32 s46, 1
	s_cselect_b64 s[40:41], -1, 0
	v_cndmask_b32_e64 v6, v40, v61, s[40:41]
	v_cndmask_b32_e64 v7, v41, v38, s[40:41]
	v_add_co_u32_e32 v1, vcc, 0x400, v6
	s_cmp_eq_u32 s46, 0
	v_addc_co_u32_e32 v3, vcc, 0, v7, vcc
	s_cselect_b64 vcc, -1, 0
	s_and_b64 s[42:43], exec, s[44:45]
	s_mov_b64 s[46:47], 1
	v_cndmask_b32_e64 v61, v61, v1, s[40:41]
	s_mov_b64 s[44:45], 0
	v_cndmask_b32_e64 v38, v38, v3, s[40:41]
	v_cndmask_b32_e32 v41, v41, v3, vcc
	v_cndmask_b32_e32 v40, v40, v1, vcc
	s_mov_b64 vcc, s[42:43]
	global_store_dwordx4 v[6:7], v[8:11], off glc slc
	s_cbranch_vccnz .LBB2_3066
; %bb.3067:                             ;   in Loop: Header=BB2_2409 Depth=3
	buffer_load_dword v1, off, s[0:3], s33 offset:64 ; 4-byte Folded Reload
	buffer_load_dword v3, off, s[0:3], s33 offset:68 ; 4-byte Folded Reload
	v_sub_u32_e32 v37, v37, v5
	v_sub_u32_e32 v53, v53, v17
	s_waitcnt vmcnt(1)
	v_add_co_u32_e32 v46, vcc, v46, v1
	s_waitcnt vmcnt(0)
	v_addc_co_u32_e32 v47, vcc, v47, v3, vcc
	v_add_co_u32_e32 v55, vcc, v55, v1
	v_addc_co_u32_e32 v56, vcc, v56, v3, vcc
	buffer_load_dword v3, off, s[0:3], s33 offset:60 ; 4-byte Folded Reload
	v_add_u32_e32 v1, 0xfffffc00, v5
	v_add_co_u32_e32 v40, vcc, v40, v1
	s_waitcnt vmcnt(0)
	v_addc_co_u32_e32 v41, vcc, v41, v3, vcc
	v_add_co_u32_e32 v61, vcc, v61, v1
	v_addc_co_u32_e32 v38, vcc, v38, v3, vcc
	v_cmp_gt_i32_e32 vcc, 16, v37
	s_or_b64 s[48:49], vcc, s[48:49]
	s_andn2_b64 exec, exec, s[48:49]
	s_cbranch_execnz .LBB2_2409
	s_branch .LBB2_3116
.LBB2_3068:                             ;   in Loop: Header=BB2_2409 Depth=3
	s_or_saveexec_b64 s[46:47], s[46:47]
	v_bfrev_b32_e32 v7, 1
	s_xor_b64 exec, exec, s[46:47]
	s_cbranch_execz .LBB2_2420
.LBB2_3069:                             ;   in Loop: Header=BB2_2409 Depth=3
	v_cmp_ne_u16_sdwa vcc, v12, v35 src0_sel:BYTE_0 src1_sel:DWORD
	s_andn2_b64 s[44:45], s[44:45], exec
	s_and_b64 vcc, vcc, exec
	v_mov_b32_e32 v7, 0
	s_or_b64 s[44:45], s[44:45], vcc
	s_or_b64 exec, exec, s[46:47]
	s_and_saveexec_b64 s[46:47], s[44:45]
	s_cbranch_execnz .LBB2_2421
	s_branch .LBB2_2422
.LBB2_3070:                             ;   in Loop: Header=BB2_2409 Depth=3
	s_or_saveexec_b64 s[44:45], s[44:45]
	v_bfrev_b32_e32 v7, 1
	s_xor_b64 exec, exec, s[44:45]
	s_cbranch_execz .LBB2_2434
.LBB2_3071:                             ;   in Loop: Header=BB2_2409 Depth=3
	v_cmp_ne_u16_sdwa s[46:47], v12, v35 src0_sel:BYTE_0 src1_sel:DWORD
	s_andn2_b64 s[42:43], s[42:43], exec
	s_and_b64 s[46:47], s[46:47], exec
	v_mov_b32_e32 v7, 0
	s_or_b64 s[42:43], s[42:43], s[46:47]
	s_or_b64 exec, exec, s[44:45]
	s_and_saveexec_b64 s[44:45], s[42:43]
	s_cbranch_execnz .LBB2_2435
	s_branch .LBB2_2436
.LBB2_3072:                             ;   in Loop: Header=BB2_2409 Depth=3
	s_or_saveexec_b64 s[46:47], s[46:47]
	v_bfrev_b32_e32 v16, 1
	s_xor_b64 exec, exec, s[46:47]
	s_cbranch_execz .LBB2_2464
.LBB2_3073:                             ;   in Loop: Header=BB2_2409 Depth=3
	v_cmp_ne_u16_e32 vcc, 0, v34
	s_andn2_b64 s[44:45], s[44:45], exec
	s_and_b64 vcc, vcc, exec
	v_mov_b32_e32 v16, 0
	s_or_b64 s[44:45], s[44:45], vcc
	s_or_b64 exec, exec, s[46:47]
	s_and_saveexec_b64 s[46:47], s[44:45]
	s_cbranch_execnz .LBB2_2465
	s_branch .LBB2_2466
.LBB2_3074:                             ;   in Loop: Header=BB2_2409 Depth=3
	s_or_saveexec_b64 s[44:45], s[44:45]
	v_bfrev_b32_e32 v16, 1
	s_xor_b64 exec, exec, s[44:45]
	s_cbranch_execz .LBB2_2478
.LBB2_3075:                             ;   in Loop: Header=BB2_2409 Depth=3
	v_cmp_ne_u16_e32 vcc, 0, v34
	s_andn2_b64 s[42:43], s[42:43], exec
	s_and_b64 s[46:47], vcc, exec
	v_mov_b32_e32 v16, 0
	s_or_b64 s[42:43], s[42:43], s[46:47]
	s_or_b64 exec, exec, s[44:45]
	s_and_saveexec_b64 s[44:45], s[42:43]
	s_cbranch_execnz .LBB2_2479
	s_branch .LBB2_2480
.LBB2_3076:                             ;   in Loop: Header=BB2_2409 Depth=3
	s_or_saveexec_b64 s[46:47], s[46:47]
	v_bfrev_b32_e32 v21, 1
	s_xor_b64 exec, exec, s[46:47]
	s_cbranch_execz .LBB2_2508
.LBB2_3077:                             ;   in Loop: Header=BB2_2409 Depth=3
	v_cmp_ne_u16_sdwa vcc, v30, v35 src0_sel:BYTE_0 src1_sel:DWORD
	s_andn2_b64 s[44:45], s[44:45], exec
	s_and_b64 vcc, vcc, exec
	v_mov_b32_e32 v21, 0
	s_or_b64 s[44:45], s[44:45], vcc
	s_or_b64 exec, exec, s[46:47]
	s_and_saveexec_b64 s[46:47], s[44:45]
	s_cbranch_execnz .LBB2_2509
	s_branch .LBB2_2510
.LBB2_3078:                             ;   in Loop: Header=BB2_2409 Depth=3
	s_or_saveexec_b64 s[44:45], s[44:45]
	v_bfrev_b32_e32 v21, 1
	s_xor_b64 exec, exec, s[44:45]
	s_cbranch_execz .LBB2_2522
.LBB2_3079:                             ;   in Loop: Header=BB2_2409 Depth=3
	v_cmp_ne_u16_sdwa s[46:47], v30, v35 src0_sel:BYTE_0 src1_sel:DWORD
	s_andn2_b64 s[42:43], s[42:43], exec
	s_and_b64 s[46:47], s[46:47], exec
	v_mov_b32_e32 v21, 0
	s_or_b64 s[42:43], s[42:43], s[46:47]
	s_or_b64 exec, exec, s[44:45]
	s_and_saveexec_b64 s[44:45], s[42:43]
	s_cbranch_execnz .LBB2_2523
	s_branch .LBB2_2524
.LBB2_3080:                             ;   in Loop: Header=BB2_2409 Depth=3
	s_or_saveexec_b64 s[46:47], s[46:47]
	v_bfrev_b32_e32 v25, 1
	s_xor_b64 exec, exec, s[46:47]
	s_cbranch_execz .LBB2_2584
.LBB2_3081:                             ;   in Loop: Header=BB2_2409 Depth=3
	v_cmp_ne_u16_sdwa vcc, v13, v35 src0_sel:BYTE_0 src1_sel:DWORD
	s_andn2_b64 s[44:45], s[44:45], exec
	s_and_b64 vcc, vcc, exec
	v_mov_b32_e32 v25, 0
	s_or_b64 s[44:45], s[44:45], vcc
	s_or_b64 exec, exec, s[46:47]
	s_and_saveexec_b64 s[46:47], s[44:45]
	s_cbranch_execnz .LBB2_2585
	s_branch .LBB2_2586
.LBB2_3082:                             ;   in Loop: Header=BB2_2409 Depth=3
	s_or_saveexec_b64 s[44:45], s[44:45]
	v_bfrev_b32_e32 v25, 1
	s_xor_b64 exec, exec, s[44:45]
	s_cbranch_execz .LBB2_2598
.LBB2_3083:                             ;   in Loop: Header=BB2_2409 Depth=3
	v_cmp_ne_u16_sdwa s[46:47], v13, v35 src0_sel:BYTE_0 src1_sel:DWORD
	s_andn2_b64 s[42:43], s[42:43], exec
	s_and_b64 s[46:47], s[46:47], exec
	v_mov_b32_e32 v25, 0
	s_or_b64 s[42:43], s[42:43], s[46:47]
	s_or_b64 exec, exec, s[44:45]
	s_and_saveexec_b64 s[44:45], s[42:43]
	s_cbranch_execnz .LBB2_2599
	s_branch .LBB2_2600
.LBB2_3084:                             ;   in Loop: Header=BB2_2409 Depth=3
	s_or_saveexec_b64 s[46:47], s[46:47]
	v_bfrev_b32_e32 v25, 1
	s_xor_b64 exec, exec, s[46:47]
	s_cbranch_execz .LBB2_2628
.LBB2_3085:                             ;   in Loop: Header=BB2_2409 Depth=3
	v_cmp_ne_u16_e32 vcc, 0, v34
	s_andn2_b64 s[44:45], s[44:45], exec
	s_and_b64 vcc, vcc, exec
	v_mov_b32_e32 v25, 0
	s_or_b64 s[44:45], s[44:45], vcc
	s_or_b64 exec, exec, s[46:47]
	s_and_saveexec_b64 s[46:47], s[44:45]
	s_cbranch_execnz .LBB2_2629
	s_branch .LBB2_2630
.LBB2_3086:                             ;   in Loop: Header=BB2_2409 Depth=3
	s_or_saveexec_b64 s[44:45], s[44:45]
	v_bfrev_b32_e32 v25, 1
	s_xor_b64 exec, exec, s[44:45]
	s_cbranch_execz .LBB2_2642
.LBB2_3087:                             ;   in Loop: Header=BB2_2409 Depth=3
	v_cmp_ne_u16_e32 vcc, 0, v34
	s_andn2_b64 s[42:43], s[42:43], exec
	s_and_b64 s[46:47], vcc, exec
	v_mov_b32_e32 v25, 0
	s_or_b64 s[42:43], s[42:43], s[46:47]
	s_or_b64 exec, exec, s[44:45]
	s_and_saveexec_b64 s[44:45], s[42:43]
	s_cbranch_execnz .LBB2_2643
	s_branch .LBB2_2644
.LBB2_3088:                             ;   in Loop: Header=BB2_2409 Depth=3
	s_or_saveexec_b64 s[46:47], s[46:47]
	v_bfrev_b32_e32 v25, 1
	s_xor_b64 exec, exec, s[46:47]
	s_cbranch_execz .LBB2_2672
.LBB2_3089:                             ;   in Loop: Header=BB2_2409 Depth=3
	v_cmp_ne_u16_sdwa vcc, v30, v35 src0_sel:BYTE_0 src1_sel:DWORD
	s_andn2_b64 s[44:45], s[44:45], exec
	s_and_b64 vcc, vcc, exec
	v_mov_b32_e32 v25, 0
	s_or_b64 s[44:45], s[44:45], vcc
	s_or_b64 exec, exec, s[46:47]
	s_and_saveexec_b64 s[46:47], s[44:45]
	s_cbranch_execnz .LBB2_2673
	s_branch .LBB2_2674
.LBB2_3090:                             ;   in Loop: Header=BB2_2409 Depth=3
	s_or_saveexec_b64 s[44:45], s[44:45]
	v_bfrev_b32_e32 v25, 1
	s_xor_b64 exec, exec, s[44:45]
	s_cbranch_execz .LBB2_2686
.LBB2_3091:                             ;   in Loop: Header=BB2_2409 Depth=3
	v_cmp_ne_u16_sdwa s[46:47], v30, v35 src0_sel:BYTE_0 src1_sel:DWORD
	s_andn2_b64 s[42:43], s[42:43], exec
	s_and_b64 s[46:47], s[46:47], exec
	v_mov_b32_e32 v25, 0
	s_or_b64 s[42:43], s[42:43], s[46:47]
	s_or_b64 exec, exec, s[44:45]
	s_and_saveexec_b64 s[44:45], s[42:43]
	s_cbranch_execnz .LBB2_2687
	s_branch .LBB2_2688
.LBB2_3092:                             ;   in Loop: Header=BB2_2409 Depth=3
	s_or_saveexec_b64 s[46:47], s[46:47]
	v_bfrev_b32_e32 v9, 1
	s_xor_b64 exec, exec, s[46:47]
	s_cbranch_execz .LBB2_2748
.LBB2_3093:                             ;   in Loop: Header=BB2_2409 Depth=3
	v_cmp_ne_u16_sdwa vcc, v14, v35 src0_sel:BYTE_0 src1_sel:DWORD
	s_andn2_b64 s[44:45], s[44:45], exec
	s_and_b64 vcc, vcc, exec
	v_mov_b32_e32 v9, 0
	s_or_b64 s[44:45], s[44:45], vcc
	s_or_b64 exec, exec, s[46:47]
	s_and_saveexec_b64 s[46:47], s[44:45]
	s_cbranch_execnz .LBB2_2749
	s_branch .LBB2_2750
.LBB2_3094:                             ;   in Loop: Header=BB2_2409 Depth=3
	s_or_saveexec_b64 s[44:45], s[44:45]
	v_bfrev_b32_e32 v9, 1
	s_xor_b64 exec, exec, s[44:45]
	s_cbranch_execz .LBB2_2762
.LBB2_3095:                             ;   in Loop: Header=BB2_2409 Depth=3
	v_cmp_ne_u16_sdwa s[46:47], v14, v35 src0_sel:BYTE_0 src1_sel:DWORD
	s_andn2_b64 s[42:43], s[42:43], exec
	s_and_b64 s[46:47], s[46:47], exec
	v_mov_b32_e32 v9, 0
	s_or_b64 s[42:43], s[42:43], s[46:47]
	s_or_b64 exec, exec, s[44:45]
	s_and_saveexec_b64 s[44:45], s[42:43]
	s_cbranch_execnz .LBB2_2763
	s_branch .LBB2_2764
.LBB2_3096:                             ;   in Loop: Header=BB2_2409 Depth=3
	s_or_saveexec_b64 s[46:47], s[46:47]
	v_bfrev_b32_e32 v12, 1
	s_xor_b64 exec, exec, s[46:47]
	s_cbranch_execz .LBB2_2792
.LBB2_3097:                             ;   in Loop: Header=BB2_2409 Depth=3
	v_cmp_ne_u16_e32 vcc, 0, v34
	s_andn2_b64 s[44:45], s[44:45], exec
	s_and_b64 vcc, vcc, exec
	v_mov_b32_e32 v12, 0
	s_or_b64 s[44:45], s[44:45], vcc
	s_or_b64 exec, exec, s[46:47]
	s_and_saveexec_b64 s[46:47], s[44:45]
	s_cbranch_execnz .LBB2_2793
	s_branch .LBB2_2794
.LBB2_3098:                             ;   in Loop: Header=BB2_2409 Depth=3
	s_or_saveexec_b64 s[44:45], s[44:45]
	v_bfrev_b32_e32 v8, 1
	s_xor_b64 exec, exec, s[44:45]
	s_cbranch_execz .LBB2_2806
.LBB2_3099:                             ;   in Loop: Header=BB2_2409 Depth=3
	v_cmp_ne_u16_e32 vcc, 0, v34
	s_andn2_b64 s[42:43], s[42:43], exec
	s_and_b64 s[46:47], vcc, exec
	v_mov_b32_e32 v8, 0
	s_or_b64 s[42:43], s[42:43], s[46:47]
	s_or_b64 exec, exec, s[44:45]
	s_and_saveexec_b64 s[44:45], s[42:43]
	s_cbranch_execnz .LBB2_2807
	s_branch .LBB2_2808
.LBB2_3100:                             ;   in Loop: Header=BB2_2409 Depth=3
	s_or_saveexec_b64 s[46:47], s[46:47]
	v_bfrev_b32_e32 v13, 1
	s_xor_b64 exec, exec, s[46:47]
	s_cbranch_execz .LBB2_2836
.LBB2_3101:                             ;   in Loop: Header=BB2_2409 Depth=3
	v_cmp_ne_u16_sdwa vcc, v8, v35 src0_sel:BYTE_0 src1_sel:DWORD
	s_andn2_b64 s[44:45], s[44:45], exec
	s_and_b64 vcc, vcc, exec
	v_mov_b32_e32 v13, 0
	s_or_b64 s[44:45], s[44:45], vcc
	s_or_b64 exec, exec, s[46:47]
	s_and_saveexec_b64 s[46:47], s[44:45]
	s_cbranch_execnz .LBB2_2837
	s_branch .LBB2_2838
.LBB2_3102:                             ;   in Loop: Header=BB2_2409 Depth=3
	s_or_saveexec_b64 s[44:45], s[44:45]
	v_bfrev_b32_e32 v9, 1
	s_xor_b64 exec, exec, s[44:45]
	s_cbranch_execz .LBB2_2850
.LBB2_3103:                             ;   in Loop: Header=BB2_2409 Depth=3
	v_cmp_ne_u16_sdwa s[46:47], v8, v35 src0_sel:BYTE_0 src1_sel:DWORD
	s_andn2_b64 s[42:43], s[42:43], exec
	s_and_b64 s[46:47], s[46:47], exec
	v_mov_b32_e32 v9, 0
	s_or_b64 s[42:43], s[42:43], s[46:47]
	s_or_b64 exec, exec, s[44:45]
	s_and_saveexec_b64 s[44:45], s[42:43]
	s_cbranch_execnz .LBB2_2851
	s_branch .LBB2_2852
.LBB2_3104:                             ;   in Loop: Header=BB2_2409 Depth=3
	s_or_saveexec_b64 s[46:47], s[46:47]
	v_bfrev_b32_e32 v13, 1
	s_xor_b64 exec, exec, s[46:47]
	s_cbranch_execz .LBB2_2912
.LBB2_3105:                             ;   in Loop: Header=BB2_2409 Depth=3
	v_cmp_ne_u16_sdwa vcc, v15, v35 src0_sel:BYTE_0 src1_sel:DWORD
	s_andn2_b64 s[44:45], s[44:45], exec
	s_and_b64 vcc, vcc, exec
	v_mov_b32_e32 v13, 0
	s_or_b64 s[44:45], s[44:45], vcc
	s_or_b64 exec, exec, s[46:47]
	s_and_saveexec_b64 s[46:47], s[44:45]
	s_cbranch_execnz .LBB2_2913
	s_branch .LBB2_2914
.LBB2_3106:                             ;   in Loop: Header=BB2_2409 Depth=3
	s_or_saveexec_b64 s[44:45], s[44:45]
	v_bfrev_b32_e32 v13, 1
	s_xor_b64 exec, exec, s[44:45]
	s_cbranch_execz .LBB2_2926
.LBB2_3107:                             ;   in Loop: Header=BB2_2409 Depth=3
	v_cmp_ne_u16_sdwa s[46:47], v15, v35 src0_sel:BYTE_0 src1_sel:DWORD
	s_andn2_b64 s[42:43], s[42:43], exec
	s_and_b64 s[46:47], s[46:47], exec
	v_mov_b32_e32 v13, 0
	s_or_b64 s[42:43], s[42:43], s[46:47]
	s_or_b64 exec, exec, s[44:45]
	s_and_saveexec_b64 s[44:45], s[42:43]
	s_cbranch_execnz .LBB2_2927
	s_branch .LBB2_2928
.LBB2_3108:                             ;   in Loop: Header=BB2_2409 Depth=3
	s_or_saveexec_b64 s[46:47], s[46:47]
	v_bfrev_b32_e32 v25, 1
	s_xor_b64 exec, exec, s[46:47]
	s_cbranch_execz .LBB2_2956
.LBB2_3109:                             ;   in Loop: Header=BB2_2409 Depth=3
	v_cmp_ne_u16_e32 vcc, 0, v8
	s_andn2_b64 s[44:45], s[44:45], exec
	s_and_b64 vcc, vcc, exec
	v_mov_b32_e32 v25, 0
	s_or_b64 s[44:45], s[44:45], vcc
	s_or_b64 exec, exec, s[46:47]
	s_and_saveexec_b64 s[46:47], s[44:45]
	s_cbranch_execnz .LBB2_2957
	s_branch .LBB2_2958
.LBB2_3110:                             ;   in Loop: Header=BB2_2409 Depth=3
	s_or_saveexec_b64 s[44:45], s[44:45]
	v_bfrev_b32_e32 v12, 1
	s_xor_b64 exec, exec, s[44:45]
	s_cbranch_execz .LBB2_2970
.LBB2_3111:                             ;   in Loop: Header=BB2_2409 Depth=3
	v_cmp_ne_u16_e32 vcc, 0, v8
	s_andn2_b64 s[42:43], s[42:43], exec
	s_and_b64 s[46:47], vcc, exec
	v_mov_b32_e32 v12, 0
	s_or_b64 s[42:43], s[42:43], s[46:47]
	s_or_b64 exec, exec, s[44:45]
	s_and_saveexec_b64 s[44:45], s[42:43]
	s_cbranch_execnz .LBB2_2971
	s_branch .LBB2_2972
.LBB2_3112:                             ;   in Loop: Header=BB2_2409 Depth=3
	s_or_saveexec_b64 s[46:47], s[46:47]
	v_bfrev_b32_e32 v34, 1
	s_xor_b64 exec, exec, s[46:47]
	s_cbranch_execz .LBB2_3000
.LBB2_3113:                             ;   in Loop: Header=BB2_2409 Depth=3
	v_cmp_ne_u16_sdwa vcc, v8, v35 src0_sel:BYTE_0 src1_sel:DWORD
	s_andn2_b64 s[44:45], s[44:45], exec
	s_and_b64 vcc, vcc, exec
	v_mov_b32_e32 v34, 0
	s_or_b64 s[44:45], s[44:45], vcc
	s_or_b64 exec, exec, s[46:47]
	s_and_saveexec_b64 s[46:47], s[44:45]
	s_cbranch_execnz .LBB2_3001
	s_branch .LBB2_3002
.LBB2_3114:                             ;   in Loop: Header=BB2_2409 Depth=3
	s_or_saveexec_b64 s[44:45], s[44:45]
	v_bfrev_b32_e32 v9, 1
	s_xor_b64 exec, exec, s[44:45]
	s_cbranch_execz .LBB2_3014
.LBB2_3115:                             ;   in Loop: Header=BB2_2409 Depth=3
	v_cmp_ne_u16_sdwa s[46:47], v8, v35 src0_sel:BYTE_0 src1_sel:DWORD
	s_andn2_b64 s[42:43], s[42:43], exec
	s_and_b64 s[46:47], s[46:47], exec
	v_mov_b32_e32 v9, 0
	s_or_b64 s[42:43], s[42:43], s[46:47]
	s_or_b64 exec, exec, s[44:45]
	s_and_saveexec_b64 s[44:45], s[42:43]
	s_cbranch_execnz .LBB2_3015
	s_branch .LBB2_3016
.LBB2_3116:                             ;   in Loop: Header=BB2_2331 Depth=2
	s_or_b64 exec, exec, s[48:49]
	buffer_load_dword v9, off, s[0:3], s33 offset:212 ; 4-byte Folded Reload
	buffer_load_dword v4, off, s[0:3], s33 offset:216 ; 4-byte Folded Reload
.LBB2_3117:                             ;   in Loop: Header=BB2_2331 Depth=2
	s_or_b64 exec, exec, s[38:39]
	buffer_load_dword v1, off, s[0:3], s33 offset:152 ; 4-byte Folded Reload
	v_mov_b32_e32 v6, 0
	s_mov_b64 s[40:41], 0
                                        ; implicit-def: $vgpr7
                                        ; implicit-def: $vgpr16
	s_waitcnt vmcnt(0)
	v_and_b32_e32 v1, 15, v1
	v_cndmask_b32_e64 v8, v4, v1, s[28:29]
	v_cmp_ne_u32_e32 vcc, 0, v8
	s_and_saveexec_b64 s[38:39], vcc
	s_cbranch_execz .LBB2_3829
; %bb.3118:                             ;   in Loop: Header=BB2_2331 Depth=2
	buffer_load_dword v3, off, s[0:3], s33 offset:148 ; 4-byte Folded Reload
	v_sub_u32_e32 v1, v4, v1
	v_cndmask_b32_e64 v1, 0, v1, s[28:29]
	v_cmp_lt_i32_e32 vcc, 0, v53
	v_add_u32_e32 v7, v1, v9
	v_cndmask_b32_e32 v1, 0, v17, vcc
	v_sub_u32_e32 v1, v1, v53
	s_waitcnt vmcnt(0)
	v_lshl_or_b32 v1, v1, 6, v3
	v_ashrrev_i32_e32 v3, 31, v1
	v_lshrrev_b32_e32 v3, 26, v3
	v_add_u32_e32 v3, v1, v3
	v_ashrrev_i32_e32 v4, 6, v3
	v_and_b32_e32 v3, 0xffffffc0, v3
	v_sub_u32_e32 v9, v1, v3
	v_ashrrev_i32_e32 v3, 31, v8
	v_lshrrev_b32_e32 v3, 22, v3
	v_add_u32_e32 v3, v8, v3
	v_and_b32_e32 v10, 0xfffffc00, v3
	v_lshlrev_b32_e32 v1, 4, v9
	v_sub_u32_e32 v11, v8, v10
	v_lshl_add_u32 v1, v4, 10, v1
	v_ashrrev_i32_e32 v6, 10, v3
	v_cmp_lt_i32_e64 s[28:29], 15, v11
	v_sub_u32_e32 v53, v8, v1
	v_addc_co_u32_e64 v3, vcc, 0, v6, s[28:29]
	v_sub_u32_e32 v38, v3, v4
	v_cmp_lt_i32_e32 vcc, 15, v53
	s_and_saveexec_b64 s[48:49], vcc
	s_cbranch_execz .LBB2_3828
; %bb.3119:                             ;   in Loop: Header=BB2_2331 Depth=2
	buffer_store_dword v11, off, s[0:3], s33 offset:260 ; 4-byte Folded Spill
	buffer_store_dword v10, off, s[0:3], s33 offset:256 ; 4-byte Folded Spill
	buffer_store_dword v9, off, s[0:3], s33 offset:252 ; 4-byte Folded Spill
	buffer_store_dword v8, off, s[0:3], s33 offset:212 ; 4-byte Folded Spill
	buffer_store_dword v7, off, s[0:3], s33 offset:216 ; 4-byte Folded Spill
	v_add_u32_e32 v1, v1, v7
	buffer_load_dword v6, off, s[0:3], s33 offset:172 ; 4-byte Folded Reload
	buffer_load_dword v7, off, s[0:3], s33 offset:176 ; 4-byte Folded Reload
	v_ashrrev_i32_e32 v3, 31, v1
	s_trap 2
	s_bitcmp1_b32 s70, 0
	s_mov_b64 s[50:51], 0
	s_cselect_b64 s[52:53], -1, 0
	s_waitcnt vmcnt(1)
	v_add_co_u32_e32 v40, vcc, v1, v6
	s_waitcnt vmcnt(0)
	v_addc_co_u32_e32 v41, vcc, v3, v7, vcc
	ds_read_b64 v[6:7], v0
	buffer_load_dword v8, off, s[0:3], s33 offset:156 ; 4-byte Folded Reload
	buffer_load_dword v9, off, s[0:3], s33 offset:160 ; 4-byte Folded Reload
	v_add_co_u32_e32 v61, vcc, v1, v44
	v_addc_co_u32_e32 v37, vcc, v3, v45, vcc
	s_waitcnt vmcnt(1)
	v_add_co_u32_e32 v46, vcc, v1, v8
	s_waitcnt vmcnt(0)
	v_addc_co_u32_e32 v47, vcc, v3, v9, vcc
	s_waitcnt lgkmcnt(0)
	v_add_co_u32_e32 v55, vcc, v6, v1
	v_addc_co_u32_e32 v56, vcc, v7, v3, vcc
.LBB2_3120:                             ;   Parent Loop BB2_47 Depth=1
                                        ;     Parent Loop BB2_2331 Depth=2
                                        ; =>    This Loop Header: Depth=3
                                        ;         Child Loop BB2_3777 Depth 4
	global_load_dwordx4 v[8:11], v[46:47], off glc slc
	global_load_dwordx4 v[12:15], v[55:56], off glc slc
	s_mov_b64 s[44:45], -1
	s_waitcnt vmcnt(1)
	v_cmp_ne_u16_sdwa s[42:43], v8, v35 src0_sel:BYTE_0 src1_sel:DWORD
	s_waitcnt vmcnt(0)
	v_and_b32_e32 v1, 7, v12
	v_ffbh_u32_e32 v1, v1
	v_and_b32_e32 v3, 0x7f, v12
	v_min_u32_e32 v1, 32, v1
	v_cmp_eq_u32_e64 s[40:41], s97, v3
	v_cmp_gt_u32_e32 vcc, 8, v3
	v_subrev_u32_e32 v3, 28, v1
	v_cndmask_b32_e32 v3, 0, v3, vcc
	v_lshlrev_b64 v[6:7], v3, v[12:13]
	v_bfe_u32 v4, v12, 3, 4
	v_sub_u32_e32 v1, 29, v1
	v_cndmask_b32_e32 v1, v4, v1, vcc
	v_lshlrev_b32_e32 v3, 20, v6
	v_lshlrev_b32_e32 v4, 24, v12
	v_and_b32_e32 v3, 0x700000, v3
	v_and_b32_e32 v4, 0x80000000, v4
	v_lshl_add_u32 v1, v1, 23, v48
	v_or3_b32 v1, v4, v1, v3
	s_and_b64 vcc, exec, s[52:53]
                                        ; implicit-def: $vgpr7
	s_cbranch_vccz .LBB2_3134
; %bb.3121:                             ;   in Loop: Header=BB2_3120 Depth=3
	v_mov_b32_e32 v6, 0
	s_and_saveexec_b64 s[44:45], s[42:43]
	s_cbranch_execz .LBB2_3127
; %bb.3122:                             ;   in Loop: Header=BB2_3120 Depth=3
	v_cmp_ne_u16_sdwa vcc, v8, s59 src0_sel:BYTE_0 src1_sel:DWORD
	v_bfrev_b32_e32 v6, 1
	s_and_saveexec_b64 s[46:47], vcc
	s_cbranch_execz .LBB2_3126
; %bb.3123:                             ;   in Loop: Header=BB2_3120 Depth=3
	v_and_b32_e32 v7, 0x7f, v8
	v_cmp_ne_u32_e32 vcc, s97, v7
	v_mov_b32_e32 v6, 0x7f800001
	s_and_saveexec_b64 s[54:55], vcc
	s_cbranch_execz .LBB2_3125
; %bb.3124:                             ;   in Loop: Header=BB2_3120 Depth=3
	v_and_b32_e32 v3, 7, v8
	v_ffbh_u32_e32 v3, v3
	v_min_u32_e32 v3, 32, v3
	v_lshrrev_b32_e32 v4, 3, v7
	v_cmp_gt_u32_e32 vcc, 8, v7
	v_subrev_u32_e32 v6, 28, v3
	v_sub_u32_e32 v3, 29, v3
	v_cndmask_b32_e32 v3, v4, v3, vcc
	v_cndmask_b32_e32 v4, 0, v6, vcc
	v_lshlrev_b64 v[6:7], v4, v[8:9]
	v_lshl_add_u32 v3, v3, 23, v48
	v_lshlrev_b32_e32 v4, 20, v6
	v_lshlrev_b32_e32 v6, 24, v8
	v_and_b32_e32 v4, 0x700000, v4
	v_and_b32_e32 v6, 0x80000000, v6
	v_or3_b32 v6, v6, v3, v4
.LBB2_3125:                             ;   in Loop: Header=BB2_3120 Depth=3
	s_or_b64 exec, exec, s[54:55]
.LBB2_3126:                             ;   in Loop: Header=BB2_3120 Depth=3
	s_or_b64 exec, exec, s[46:47]
.LBB2_3127:                             ;   in Loop: Header=BB2_3120 Depth=3
	s_or_b64 exec, exec, s[44:45]
	v_cmp_gt_i16_sdwa s[46:47], v12, s97 src0_sel:BYTE_0 src1_sel:DWORD
	s_mov_b64 s[44:45], 0
	s_and_saveexec_b64 vcc, s[46:47]
	s_xor_b64 s[46:47], exec, vcc
	s_cbranch_execz .LBB2_3779
; %bb.3128:                             ;   in Loop: Header=BB2_3120 Depth=3
	v_cmp_eq_u16_sdwa s[54:55], v12, s59 src0_sel:BYTE_0 src1_sel:DWORD
	s_mov_b64 s[44:45], -1
	s_and_saveexec_b64 vcc, s[54:55]
; %bb.3129:                             ;   in Loop: Header=BB2_3120 Depth=3
	s_xor_b64 s[44:45], exec, -1
; %bb.3130:                             ;   in Loop: Header=BB2_3120 Depth=3
	s_or_b64 exec, exec, vcc
	s_and_b64 s[44:45], s[44:45], exec
	s_or_saveexec_b64 s[46:47], s[46:47]
	v_bfrev_b32_e32 v7, 1
	s_xor_b64 exec, exec, s[46:47]
	s_cbranch_execnz .LBB2_3780
.LBB2_3131:                             ;   in Loop: Header=BB2_3120 Depth=3
	s_or_b64 exec, exec, s[46:47]
	s_and_saveexec_b64 s[46:47], s[44:45]
.LBB2_3132:                             ;   in Loop: Header=BB2_3120 Depth=3
	v_cndmask_b32_e64 v7, v1, v49, s[40:41]
.LBB2_3133:                             ;   in Loop: Header=BB2_3120 Depth=3
	s_or_b64 exec, exec, s[46:47]
	v_max_f32_e32 v3, v7, v7
	v_max_f32_e32 v4, v6, v6
	;; [unrolled: 1-line block ×3, first 2 shown]
	s_mov_b64 s[44:45], 0
.LBB2_3134:                             ;   in Loop: Header=BB2_3120 Depth=3
	s_and_b64 vcc, exec, s[44:45]
	s_cbranch_vccz .LBB2_3148
; %bb.3135:                             ;   in Loop: Header=BB2_3120 Depth=3
	v_mov_b32_e32 v6, 0
	s_and_saveexec_b64 s[44:45], s[42:43]
	s_cbranch_execz .LBB2_3141
; %bb.3136:                             ;   in Loop: Header=BB2_3120 Depth=3
	v_cmp_ne_u16_sdwa s[46:47], v8, s59 src0_sel:BYTE_0 src1_sel:DWORD
	v_bfrev_b32_e32 v6, 1
	s_and_saveexec_b64 s[42:43], s[46:47]
	s_cbranch_execz .LBB2_3140
; %bb.3137:                             ;   in Loop: Header=BB2_3120 Depth=3
	v_and_b32_e32 v7, 0x7f, v8
	v_cmp_ne_u32_e32 vcc, s97, v7
	v_mov_b32_e32 v6, 0x7f800001
	s_and_saveexec_b64 s[46:47], vcc
	s_cbranch_execz .LBB2_3139
; %bb.3138:                             ;   in Loop: Header=BB2_3120 Depth=3
	v_and_b32_e32 v3, 7, v8
	v_ffbh_u32_e32 v3, v3
	v_min_u32_e32 v3, 32, v3
	v_lshrrev_b32_e32 v4, 3, v7
	v_cmp_gt_u32_e32 vcc, 8, v7
	v_subrev_u32_e32 v6, 28, v3
	v_sub_u32_e32 v3, 29, v3
	v_cndmask_b32_e32 v3, v4, v3, vcc
	v_cndmask_b32_e32 v4, 0, v6, vcc
	v_lshlrev_b64 v[6:7], v4, v[8:9]
	v_lshl_add_u32 v3, v3, 23, v48
	v_lshlrev_b32_e32 v4, 20, v6
	v_lshlrev_b32_e32 v6, 24, v8
	v_and_b32_e32 v4, 0x700000, v4
	v_and_b32_e32 v6, 0x80000000, v6
	v_or3_b32 v6, v6, v3, v4
.LBB2_3139:                             ;   in Loop: Header=BB2_3120 Depth=3
	s_or_b64 exec, exec, s[46:47]
.LBB2_3140:                             ;   in Loop: Header=BB2_3120 Depth=3
	s_or_b64 exec, exec, s[42:43]
.LBB2_3141:                             ;   in Loop: Header=BB2_3120 Depth=3
	s_or_b64 exec, exec, s[44:45]
	v_cmp_gt_i16_sdwa s[44:45], v12, s97 src0_sel:BYTE_0 src1_sel:DWORD
	s_mov_b64 s[42:43], 0
	s_and_saveexec_b64 s[46:47], s[44:45]
	s_xor_b64 s[44:45], exec, s[46:47]
	s_cbranch_execz .LBB2_3781
; %bb.3142:                             ;   in Loop: Header=BB2_3120 Depth=3
	v_cmp_eq_u16_sdwa vcc, v12, s59 src0_sel:BYTE_0 src1_sel:DWORD
	s_mov_b64 s[42:43], -1
	s_and_saveexec_b64 s[46:47], vcc
; %bb.3143:                             ;   in Loop: Header=BB2_3120 Depth=3
	s_xor_b64 s[42:43], exec, -1
; %bb.3144:                             ;   in Loop: Header=BB2_3120 Depth=3
	s_or_b64 exec, exec, s[46:47]
	s_and_b64 s[42:43], s[42:43], exec
	s_or_saveexec_b64 s[44:45], s[44:45]
	v_bfrev_b32_e32 v7, 1
	s_xor_b64 exec, exec, s[44:45]
	s_cbranch_execnz .LBB2_3782
.LBB2_3145:                             ;   in Loop: Header=BB2_3120 Depth=3
	s_or_b64 exec, exec, s[44:45]
	s_and_saveexec_b64 s[44:45], s[42:43]
.LBB2_3146:                             ;   in Loop: Header=BB2_3120 Depth=3
	v_cndmask_b32_e64 v7, v1, v49, s[40:41]
.LBB2_3147:                             ;   in Loop: Header=BB2_3120 Depth=3
	s_or_b64 exec, exec, s[44:45]
	v_max_f32_e32 v1, v7, v7
	v_max_f32_e32 v3, v6, v6
	v_min_f32_e32 v7, v3, v1
.LBB2_3148:                             ;   in Loop: Header=BB2_3120 Depth=3
	v_and_b32_e32 v34, 0x7f800000, v7
	v_cmp_ne_u64_e32 vcc, s[90:91], v[34:35]
                                        ; implicit-def: $vgpr6
	s_and_saveexec_b64 s[40:41], vcc
	s_xor_b64 s[42:43], exec, s[40:41]
	s_cbranch_execz .LBB2_3162
; %bb.3149:                             ;   in Loop: Header=BB2_3120 Depth=3
	v_and_b32_e32 v34, 0x7fffffff, v7
	v_cmp_gt_u64_e32 vcc, s[92:93], v[34:35]
	v_and_b32_sdwa v1, v7, s59 dst_sel:DWORD dst_unused:UNUSED_PAD src0_sel:BYTE_3 src1_sel:DWORD
                                        ; implicit-def: $vgpr6
	s_and_saveexec_b64 s[40:41], vcc
	s_xor_b64 s[44:45], exec, s[40:41]
	s_cbranch_execz .LBB2_3159
; %bb.3150:                             ;   in Loop: Header=BB2_3120 Depth=3
	v_mov_b32_e32 v6, 0
	v_cmp_ne_u32_e32 vcc, 0, v7
	s_and_saveexec_b64 s[46:47], vcc
	s_cbranch_execz .LBB2_3158
; %bb.3151:                             ;   in Loop: Header=BB2_3120 Depth=3
	v_bfe_u32 v6, v7, 23, 8
	v_cmp_gt_u32_e64 s[40:41], s56, v6
	v_sub_u32_e32 v4, 0x79, v6
	v_and_b32_e32 v3, 0x7fffff, v7
	v_cmp_eq_u32_e32 vcc, 0, v6
	v_cndmask_b32_e64 v4, 0, v4, s[40:41]
	v_mov_b32_e32 v7, 0x78
	v_or_b32_e32 v16, 0x800000, v3
	v_cndmask_b32_e32 v7, v4, v7, vcc
	v_cndmask_b32_e32 v34, v16, v3, vcc
	v_add_u32_e32 v3, 20, v7
	v_lshlrev_b64 v[24:25], v3, -1
	v_add_u32_e32 v3, 19, v7
	v_lshlrev_b64 v[26:27], v3, 1
	v_lshrrev_b64 v[57:58], v7, v[34:35]
	v_bfi_b32 v25, v25, 0, 0
	v_bfi_b32 v24, v24, 0, v34
	v_cmp_eq_u64_e64 s[40:41], v[24:25], v[26:27]
	v_mov_b32_e32 v59, v58
	v_mov_b32_e32 v58, v57
	s_and_saveexec_b64 s[54:55], s[40:41]
; %bb.3152:                             ;   in Loop: Header=BB2_3120 Depth=3
	v_bfe_u32 v3, v57, 20, 1
	v_add_co_u32_e64 v3, s[40:41], v57, v3
	v_add_co_u32_e64 v58, s[40:41], -1, v3
; %bb.3153:                             ;   in Loop: Header=BB2_3120 Depth=3
	s_or_b64 exec, exec, s[54:55]
	v_add_u32_e32 v3, 0xffffff81, v6
	v_cndmask_b32_e32 v3, v3, v52, vcc
	v_lshrrev_b32_e32 v4, 23, v57
	v_add3_u32 v16, v7, v3, v4
	v_add_u32_e32 v7, 6, v16
	v_and_b32_e32 v3, 0xfffff, v58
	v_add_u32_e32 v34, v3, v57
	v_cmp_ne_u32_e32 vcc, 0, v7
                                        ; implicit-def: $vgpr57_vgpr58
                                        ; implicit-def: $vgpr6
	s_and_saveexec_b64 s[40:41], vcc
	s_xor_b64 s[40:41], exec, s[40:41]
; %bb.3154:                             ;   in Loop: Header=BB2_3120 Depth=3
	v_cmp_lt_u64_e32 vcc, s[94:95], v[34:35]
	v_add_u32_e32 v3, 7, v16
	v_cndmask_b32_e32 v6, v7, v3, vcc
	v_cndmask_b32_e64 v3, 0, 1, vcc
	v_lshrrev_b64 v[57:58], v3, v[34:35]
; %bb.3155:                             ;   in Loop: Header=BB2_3120 Depth=3
	s_andn2_saveexec_b64 s[40:41], s[40:41]
; %bb.3156:                             ;   in Loop: Header=BB2_3120 Depth=3
	v_mov_b32_e32 v58, v35
	v_bfe_u32 v6, v34, 23, 1
	v_mov_b32_e32 v57, v34
; %bb.3157:                             ;   in Loop: Header=BB2_3120 Depth=3
	s_or_b64 exec, exec, s[40:41]
	v_lshrrev_b64 v[24:25], 20, v[57:58]
	v_cmp_gt_i32_e32 vcc, 16, v6
	v_cndmask_b32_e32 v25, 0, v25, vcc
	v_cndmask_b32_e32 v24, 7, v24, vcc
	v_min_i32_e32 v3, 15, v6
	v_cmp_eq_u64_e64 s[40:41], 0, v[24:25]
	v_lshlrev_b32_e32 v3, 3, v3
	v_cmp_eq_u32_e32 vcc, 0, v6
	v_and_b32_e32 v3, 0xf8, v3
	v_and_or_b32 v3, v24, 7, v3
	s_and_b64 s[40:41], vcc, s[40:41]
	v_cndmask_b32_e64 v3, v3, 0, s[40:41]
	v_or_b32_e32 v6, v3, v1
.LBB2_3158:                             ;   in Loop: Header=BB2_3120 Depth=3
	s_or_b64 exec, exec, s[46:47]
                                        ; implicit-def: $vgpr1
.LBB2_3159:                             ;   in Loop: Header=BB2_3120 Depth=3
	s_andn2_saveexec_b64 s[40:41], s[44:45]
; %bb.3160:                             ;   in Loop: Header=BB2_3120 Depth=3
	v_or_b32_e32 v6, 0x7e, v1
; %bb.3161:                             ;   in Loop: Header=BB2_3120 Depth=3
	s_or_b64 exec, exec, s[40:41]
                                        ; implicit-def: $vgpr7
.LBB2_3162:                             ;   in Loop: Header=BB2_3120 Depth=3
	s_andn2_saveexec_b64 s[40:41], s[42:43]
; %bb.3163:                             ;   in Loop: Header=BB2_3120 Depth=3
	v_or_b32_sdwa v6, v7, s97 dst_sel:DWORD dst_unused:UNUSED_PAD src0_sel:BYTE_3 src1_sel:DWORD
; %bb.3164:                             ;   in Loop: Header=BB2_3120 Depth=3
	s_or_b64 exec, exec, s[40:41]
	v_lshrrev_b16_e32 v34, 8, v12
	v_and_b32_e32 v1, 7, v34
	v_and_b32_e32 v3, 0x7f, v34
	v_cmp_eq_u32_e64 s[40:41], s97, v3
	v_cmp_gt_u32_e32 vcc, 8, v3
	v_ffbh_u32_e32 v3, v1
	v_min_u32_e32 v3, 32, v3
	v_subrev_u32_e32 v7, 28, v3
	v_lshlrev_b64 v[24:25], v7, v[34:35]
	v_bfe_u32 v4, v34, 3, 4
	v_sub_u32_e32 v3, 29, v3
	v_and_b32_e32 v7, 7, v24
	v_cndmask_b32_e32 v3, v4, v3, vcc
	v_cndmask_b32_e32 v1, v1, v7, vcc
	v_lshlrev_b32_e32 v4, 24, v34
	v_lshlrev_b32_e32 v1, 20, v1
	v_and_b32_e32 v4, 0x80000000, v4
	v_lshl_add_u32 v3, v3, 23, v48
	v_lshrrev_b16_e32 v30, 8, v8
	v_or3_b32 v1, v4, v3, v1
	v_cmp_ne_u16_e64 s[42:43], 0, v30
	s_mov_b64 s[44:45], -1
	s_and_b64 vcc, exec, s[52:53]
                                        ; implicit-def: $vgpr16
	s_cbranch_vccz .LBB2_3178
; %bb.3165:                             ;   in Loop: Header=BB2_3120 Depth=3
	v_mov_b32_e32 v7, 0
	s_and_saveexec_b64 s[44:45], s[42:43]
	s_cbranch_execz .LBB2_3171
; %bb.3166:                             ;   in Loop: Header=BB2_3120 Depth=3
	v_cmp_ne_u16_e32 vcc, s59, v30
	v_bfrev_b32_e32 v7, 1
	s_and_saveexec_b64 s[46:47], vcc
	s_cbranch_execz .LBB2_3170
; %bb.3167:                             ;   in Loop: Header=BB2_3120 Depth=3
	v_and_b32_e32 v16, 0x7f, v30
	v_cmp_ne_u32_e32 vcc, s97, v16
	v_mov_b32_e32 v7, 0x7f800001
	s_and_saveexec_b64 s[54:55], vcc
	s_cbranch_execz .LBB2_3169
; %bb.3168:                             ;   in Loop: Header=BB2_3120 Depth=3
	v_and_b32_e32 v3, 7, v30
	v_ffbh_u32_e32 v7, v3
	v_min_u32_e32 v7, 32, v7
	v_lshrrev_b32_e32 v4, 3, v16
	v_cmp_gt_u32_e32 vcc, 8, v16
	v_subrev_u32_e32 v16, 28, v7
	v_lshlrev_b64 v[24:25], v16, v[30:31]
	v_sub_u32_e32 v7, 29, v7
	v_and_b32_e32 v16, 7, v24
	v_cndmask_b32_e32 v4, v4, v7, vcc
	v_cndmask_b32_e32 v3, v3, v16, vcc
	v_lshlrev_b32_e32 v7, 16, v8
	v_lshlrev_b32_e32 v3, 20, v3
	v_and_b32_e32 v7, 0x80000000, v7
	v_lshl_add_u32 v4, v4, 23, v48
	v_or3_b32 v7, v7, v4, v3
.LBB2_3169:                             ;   in Loop: Header=BB2_3120 Depth=3
	s_or_b64 exec, exec, s[54:55]
.LBB2_3170:                             ;   in Loop: Header=BB2_3120 Depth=3
	s_or_b64 exec, exec, s[46:47]
.LBB2_3171:                             ;   in Loop: Header=BB2_3120 Depth=3
	s_or_b64 exec, exec, s[44:45]
	v_cmp_lt_i16_e32 vcc, s97, v34
	s_mov_b64 s[44:45], 0
	s_and_saveexec_b64 s[46:47], vcc
	s_xor_b64 s[46:47], exec, s[46:47]
	s_cbranch_execz .LBB2_3783
; %bb.3172:                             ;   in Loop: Header=BB2_3120 Depth=3
	v_cmp_eq_u16_e32 vcc, s59, v34
	s_mov_b64 s[44:45], -1
	s_and_saveexec_b64 s[54:55], vcc
; %bb.3173:                             ;   in Loop: Header=BB2_3120 Depth=3
	s_xor_b64 s[44:45], exec, -1
; %bb.3174:                             ;   in Loop: Header=BB2_3120 Depth=3
	s_or_b64 exec, exec, s[54:55]
	s_and_b64 s[44:45], s[44:45], exec
	s_or_saveexec_b64 s[46:47], s[46:47]
	v_bfrev_b32_e32 v16, 1
	s_xor_b64 exec, exec, s[46:47]
	s_cbranch_execnz .LBB2_3784
.LBB2_3175:                             ;   in Loop: Header=BB2_3120 Depth=3
	s_or_b64 exec, exec, s[46:47]
	s_and_saveexec_b64 s[46:47], s[44:45]
.LBB2_3176:                             ;   in Loop: Header=BB2_3120 Depth=3
	v_cndmask_b32_e64 v16, v1, v49, s[40:41]
.LBB2_3177:                             ;   in Loop: Header=BB2_3120 Depth=3
	s_or_b64 exec, exec, s[46:47]
	v_max_f32_e32 v3, v16, v16
	v_max_f32_e32 v4, v7, v7
	;; [unrolled: 1-line block ×3, first 2 shown]
	s_mov_b64 s[44:45], 0
.LBB2_3178:                             ;   in Loop: Header=BB2_3120 Depth=3
	s_and_b64 vcc, exec, s[44:45]
	s_cbranch_vccz .LBB2_3192
; %bb.3179:                             ;   in Loop: Header=BB2_3120 Depth=3
	v_mov_b32_e32 v7, 0
	s_and_saveexec_b64 s[44:45], s[42:43]
	s_cbranch_execz .LBB2_3185
; %bb.3180:                             ;   in Loop: Header=BB2_3120 Depth=3
	v_cmp_ne_u16_e32 vcc, s59, v30
	v_bfrev_b32_e32 v7, 1
	s_and_saveexec_b64 s[42:43], vcc
	s_cbranch_execz .LBB2_3184
; %bb.3181:                             ;   in Loop: Header=BB2_3120 Depth=3
	v_and_b32_e32 v16, 0x7f, v30
	v_cmp_ne_u32_e32 vcc, s97, v16
	v_mov_b32_e32 v7, 0x7f800001
	s_and_saveexec_b64 s[46:47], vcc
	s_cbranch_execz .LBB2_3183
; %bb.3182:                             ;   in Loop: Header=BB2_3120 Depth=3
	v_and_b32_e32 v3, 7, v30
	v_ffbh_u32_e32 v7, v3
	v_min_u32_e32 v7, 32, v7
	v_lshrrev_b32_e32 v4, 3, v16
	v_cmp_gt_u32_e32 vcc, 8, v16
	v_subrev_u32_e32 v16, 28, v7
	v_lshlrev_b64 v[24:25], v16, v[30:31]
	v_sub_u32_e32 v7, 29, v7
	v_and_b32_e32 v16, 7, v24
	v_cndmask_b32_e32 v4, v4, v7, vcc
	v_cndmask_b32_e32 v3, v3, v16, vcc
	v_lshlrev_b32_e32 v7, 16, v8
	v_lshlrev_b32_e32 v3, 20, v3
	v_and_b32_e32 v7, 0x80000000, v7
	v_lshl_add_u32 v4, v4, 23, v48
	v_or3_b32 v7, v7, v4, v3
.LBB2_3183:                             ;   in Loop: Header=BB2_3120 Depth=3
	s_or_b64 exec, exec, s[46:47]
.LBB2_3184:                             ;   in Loop: Header=BB2_3120 Depth=3
	s_or_b64 exec, exec, s[42:43]
.LBB2_3185:                             ;   in Loop: Header=BB2_3120 Depth=3
	s_or_b64 exec, exec, s[44:45]
	v_cmp_lt_i16_e32 vcc, s97, v34
	s_mov_b64 s[42:43], 0
	s_and_saveexec_b64 s[44:45], vcc
	s_xor_b64 s[44:45], exec, s[44:45]
	s_cbranch_execz .LBB2_3785
; %bb.3186:                             ;   in Loop: Header=BB2_3120 Depth=3
	v_cmp_eq_u16_e32 vcc, s59, v34
	s_mov_b64 s[42:43], -1
	s_and_saveexec_b64 s[46:47], vcc
; %bb.3187:                             ;   in Loop: Header=BB2_3120 Depth=3
	s_xor_b64 s[42:43], exec, -1
; %bb.3188:                             ;   in Loop: Header=BB2_3120 Depth=3
	s_or_b64 exec, exec, s[46:47]
	s_and_b64 s[42:43], s[42:43], exec
	s_or_saveexec_b64 s[44:45], s[44:45]
	v_bfrev_b32_e32 v16, 1
	s_xor_b64 exec, exec, s[44:45]
	s_cbranch_execnz .LBB2_3786
.LBB2_3189:                             ;   in Loop: Header=BB2_3120 Depth=3
	s_or_b64 exec, exec, s[44:45]
	s_and_saveexec_b64 s[44:45], s[42:43]
.LBB2_3190:                             ;   in Loop: Header=BB2_3120 Depth=3
	v_cndmask_b32_e64 v16, v1, v49, s[40:41]
.LBB2_3191:                             ;   in Loop: Header=BB2_3120 Depth=3
	s_or_b64 exec, exec, s[44:45]
	v_max_f32_e32 v1, v16, v16
	v_max_f32_e32 v3, v7, v7
	v_min_f32_e32 v16, v3, v1
.LBB2_3192:                             ;   in Loop: Header=BB2_3120 Depth=3
	v_and_b32_e32 v34, 0x7f800000, v16
	v_cmp_ne_u64_e32 vcc, s[90:91], v[34:35]
                                        ; implicit-def: $vgpr7
	s_and_saveexec_b64 s[40:41], vcc
	s_xor_b64 s[42:43], exec, s[40:41]
	s_cbranch_execz .LBB2_3206
; %bb.3193:                             ;   in Loop: Header=BB2_3120 Depth=3
	v_and_b32_e32 v34, 0x7fffffff, v16
	v_cmp_gt_u64_e32 vcc, s[92:93], v[34:35]
	v_and_b32_sdwa v1, v16, s59 dst_sel:DWORD dst_unused:UNUSED_PAD src0_sel:BYTE_3 src1_sel:DWORD
                                        ; implicit-def: $vgpr7
	s_and_saveexec_b64 s[40:41], vcc
	s_xor_b64 s[44:45], exec, s[40:41]
	s_cbranch_execz .LBB2_3203
; %bb.3194:                             ;   in Loop: Header=BB2_3120 Depth=3
	v_mov_b32_e32 v7, 0
	v_cmp_ne_u32_e32 vcc, 0, v16
	s_and_saveexec_b64 s[46:47], vcc
	s_cbranch_execz .LBB2_3202
; %bb.3195:                             ;   in Loop: Header=BB2_3120 Depth=3
	v_bfe_u32 v7, v16, 23, 8
	v_cmp_gt_u32_e64 s[40:41], s56, v7
	v_sub_u32_e32 v4, 0x79, v7
	v_and_b32_e32 v3, 0x7fffff, v16
	v_cmp_eq_u32_e32 vcc, 0, v7
	v_cndmask_b32_e64 v4, 0, v4, s[40:41]
	v_mov_b32_e32 v16, 0x78
	v_or_b32_e32 v21, 0x800000, v3
	v_cndmask_b32_e32 v16, v4, v16, vcc
	v_cndmask_b32_e32 v34, v21, v3, vcc
	v_add_u32_e32 v3, 20, v16
	v_lshlrev_b64 v[24:25], v3, -1
	v_add_u32_e32 v3, 19, v16
	v_lshlrev_b64 v[26:27], v3, 1
	v_lshrrev_b64 v[57:58], v16, v[34:35]
	v_bfi_b32 v25, v25, 0, 0
	v_bfi_b32 v24, v24, 0, v34
	v_cmp_eq_u64_e64 s[40:41], v[24:25], v[26:27]
	v_mov_b32_e32 v59, v58
	v_mov_b32_e32 v58, v57
	s_and_saveexec_b64 s[54:55], s[40:41]
; %bb.3196:                             ;   in Loop: Header=BB2_3120 Depth=3
	v_bfe_u32 v3, v57, 20, 1
	v_add_co_u32_e64 v3, s[40:41], v57, v3
	v_add_co_u32_e64 v58, s[40:41], -1, v3
; %bb.3197:                             ;   in Loop: Header=BB2_3120 Depth=3
	s_or_b64 exec, exec, s[54:55]
	v_add_u32_e32 v3, 0xffffff81, v7
	v_cndmask_b32_e32 v3, v3, v52, vcc
	v_lshrrev_b32_e32 v4, 23, v57
	v_add3_u32 v21, v16, v3, v4
	v_add_u32_e32 v16, 6, v21
	v_and_b32_e32 v3, 0xfffff, v58
	v_add_u32_e32 v34, v3, v57
	v_cmp_ne_u32_e32 vcc, 0, v16
                                        ; implicit-def: $vgpr57_vgpr58
                                        ; implicit-def: $vgpr7
	s_and_saveexec_b64 s[40:41], vcc
	s_xor_b64 s[40:41], exec, s[40:41]
; %bb.3198:                             ;   in Loop: Header=BB2_3120 Depth=3
	v_cmp_lt_u64_e32 vcc, s[94:95], v[34:35]
	v_add_u32_e32 v3, 7, v21
	v_cndmask_b32_e32 v7, v16, v3, vcc
	v_cndmask_b32_e64 v3, 0, 1, vcc
	v_lshrrev_b64 v[57:58], v3, v[34:35]
; %bb.3199:                             ;   in Loop: Header=BB2_3120 Depth=3
	s_andn2_saveexec_b64 s[40:41], s[40:41]
; %bb.3200:                             ;   in Loop: Header=BB2_3120 Depth=3
	v_mov_b32_e32 v58, v35
	v_bfe_u32 v7, v34, 23, 1
	v_mov_b32_e32 v57, v34
; %bb.3201:                             ;   in Loop: Header=BB2_3120 Depth=3
	s_or_b64 exec, exec, s[40:41]
	v_lshrrev_b64 v[24:25], 20, v[57:58]
	v_cmp_gt_i32_e32 vcc, 16, v7
	v_cndmask_b32_e32 v25, 0, v25, vcc
	v_cndmask_b32_e32 v24, 7, v24, vcc
	v_min_i32_e32 v3, 15, v7
	v_cmp_eq_u64_e64 s[40:41], 0, v[24:25]
	v_lshlrev_b32_e32 v3, 3, v3
	v_cmp_eq_u32_e32 vcc, 0, v7
	v_and_b32_e32 v3, 0xf8, v3
	v_and_or_b32 v3, v24, 7, v3
	s_and_b64 s[40:41], vcc, s[40:41]
	v_cndmask_b32_e64 v3, v3, 0, s[40:41]
	v_or_b32_e32 v7, v3, v1
.LBB2_3202:                             ;   in Loop: Header=BB2_3120 Depth=3
	s_or_b64 exec, exec, s[46:47]
                                        ; implicit-def: $vgpr1
.LBB2_3203:                             ;   in Loop: Header=BB2_3120 Depth=3
	s_andn2_saveexec_b64 s[40:41], s[44:45]
; %bb.3204:                             ;   in Loop: Header=BB2_3120 Depth=3
	v_or_b32_e32 v7, 0x7e, v1
; %bb.3205:                             ;   in Loop: Header=BB2_3120 Depth=3
	s_or_b64 exec, exec, s[40:41]
                                        ; implicit-def: $vgpr16
.LBB2_3206:                             ;   in Loop: Header=BB2_3120 Depth=3
	s_andn2_saveexec_b64 s[40:41], s[42:43]
; %bb.3207:                             ;   in Loop: Header=BB2_3120 Depth=3
	v_or_b32_sdwa v7, v16, s97 dst_sel:DWORD dst_unused:UNUSED_PAD src0_sel:BYTE_3 src1_sel:DWORD
; %bb.3208:                             ;   in Loop: Header=BB2_3120 Depth=3
	s_or_b64 exec, exec, s[40:41]
	v_bfe_u32 v1, v12, 16, 3
	v_bfe_u32 v3, v12, 16, 7
	v_cmp_eq_u32_e64 s[40:41], s97, v3
	v_cmp_gt_u32_e32 vcc, 8, v3
	v_ffbh_u32_e32 v3, v1
	v_min_u32_e32 v3, 32, v3
	v_lshrrev_b32_e32 v30, 16, v12
	v_subrev_u32_e32 v16, 28, v3
	v_lshlrev_b64 v[24:25], v16, v[30:31]
	v_bfe_u32 v4, v30, 3, 4
	v_sub_u32_e32 v3, 29, v3
	v_and_b32_e32 v16, 7, v24
	v_cndmask_b32_e32 v3, v4, v3, vcc
	v_cndmask_b32_e32 v1, v1, v16, vcc
	v_lshlrev_b32_e32 v4, 8, v12
	v_lshlrev_b32_e32 v1, 20, v1
	v_and_b32_e32 v4, 0x80000000, v4
	v_lshl_add_u32 v3, v3, 23, v48
	v_lshrrev_b32_e32 v34, 16, v8
	v_or3_b32 v1, v4, v3, v1
	v_cmp_ne_u16_sdwa s[42:43], v34, v35 src0_sel:BYTE_0 src1_sel:DWORD
	s_mov_b64 s[44:45], -1
	s_and_b64 vcc, exec, s[52:53]
                                        ; implicit-def: $vgpr21
	s_cbranch_vccz .LBB2_3222
; %bb.3209:                             ;   in Loop: Header=BB2_3120 Depth=3
	v_mov_b32_e32 v16, 0
	s_and_saveexec_b64 s[44:45], s[42:43]
	s_cbranch_execz .LBB2_3215
; %bb.3210:                             ;   in Loop: Header=BB2_3120 Depth=3
	v_cmp_ne_u16_sdwa vcc, v34, s59 src0_sel:BYTE_0 src1_sel:DWORD
	v_bfrev_b32_e32 v16, 1
	s_and_saveexec_b64 s[46:47], vcc
	s_cbranch_execz .LBB2_3214
; %bb.3211:                             ;   in Loop: Header=BB2_3120 Depth=3
	v_bfe_u32 v21, v8, 16, 7
	v_cmp_ne_u32_e32 vcc, s97, v21
	v_mov_b32_e32 v16, 0x7f800001
	s_and_saveexec_b64 s[54:55], vcc
	s_cbranch_execz .LBB2_3213
; %bb.3212:                             ;   in Loop: Header=BB2_3120 Depth=3
	v_and_b32_e32 v3, 7, v34
	v_ffbh_u32_e32 v16, v3
	v_min_u32_e32 v16, 32, v16
	v_lshrrev_b32_e32 v4, 3, v21
	v_cmp_gt_u32_e32 vcc, 8, v21
	v_subrev_u32_e32 v21, 28, v16
	v_lshlrev_b64 v[24:25], v21, v[34:35]
	v_sub_u32_e32 v16, 29, v16
	v_and_b32_e32 v21, 7, v24
	v_cndmask_b32_e32 v4, v4, v16, vcc
	v_cndmask_b32_e32 v3, v3, v21, vcc
	v_lshlrev_b32_e32 v16, 24, v34
	v_lshlrev_b32_e32 v3, 20, v3
	v_and_b32_e32 v16, 0x80000000, v16
	v_lshl_add_u32 v4, v4, 23, v48
	v_or3_b32 v16, v16, v4, v3
.LBB2_3213:                             ;   in Loop: Header=BB2_3120 Depth=3
	s_or_b64 exec, exec, s[54:55]
.LBB2_3214:                             ;   in Loop: Header=BB2_3120 Depth=3
	s_or_b64 exec, exec, s[46:47]
.LBB2_3215:                             ;   in Loop: Header=BB2_3120 Depth=3
	s_or_b64 exec, exec, s[44:45]
	v_cmp_gt_i16_sdwa s[46:47], v30, s97 src0_sel:BYTE_0 src1_sel:DWORD
	s_mov_b64 s[44:45], 0
	s_and_saveexec_b64 vcc, s[46:47]
	s_xor_b64 s[46:47], exec, vcc
	s_cbranch_execz .LBB2_3787
; %bb.3216:                             ;   in Loop: Header=BB2_3120 Depth=3
	v_cmp_eq_u16_sdwa s[54:55], v30, s59 src0_sel:BYTE_0 src1_sel:DWORD
	s_mov_b64 s[44:45], -1
	s_and_saveexec_b64 vcc, s[54:55]
; %bb.3217:                             ;   in Loop: Header=BB2_3120 Depth=3
	s_xor_b64 s[44:45], exec, -1
; %bb.3218:                             ;   in Loop: Header=BB2_3120 Depth=3
	s_or_b64 exec, exec, vcc
	s_and_b64 s[44:45], s[44:45], exec
	s_or_saveexec_b64 s[46:47], s[46:47]
	v_bfrev_b32_e32 v21, 1
	s_xor_b64 exec, exec, s[46:47]
	s_cbranch_execnz .LBB2_3788
.LBB2_3219:                             ;   in Loop: Header=BB2_3120 Depth=3
	s_or_b64 exec, exec, s[46:47]
	s_and_saveexec_b64 s[46:47], s[44:45]
.LBB2_3220:                             ;   in Loop: Header=BB2_3120 Depth=3
	v_cndmask_b32_e64 v21, v1, v49, s[40:41]
.LBB2_3221:                             ;   in Loop: Header=BB2_3120 Depth=3
	s_or_b64 exec, exec, s[46:47]
	v_max_f32_e32 v3, v21, v21
	v_max_f32_e32 v4, v16, v16
	;; [unrolled: 1-line block ×3, first 2 shown]
	s_mov_b64 s[44:45], 0
.LBB2_3222:                             ;   in Loop: Header=BB2_3120 Depth=3
	s_and_b64 vcc, exec, s[44:45]
	s_cbranch_vccz .LBB2_3236
; %bb.3223:                             ;   in Loop: Header=BB2_3120 Depth=3
	v_mov_b32_e32 v16, 0
	s_and_saveexec_b64 s[44:45], s[42:43]
	s_cbranch_execz .LBB2_3229
; %bb.3224:                             ;   in Loop: Header=BB2_3120 Depth=3
	v_cmp_ne_u16_sdwa s[46:47], v34, s59 src0_sel:BYTE_0 src1_sel:DWORD
	v_bfrev_b32_e32 v16, 1
	s_and_saveexec_b64 s[42:43], s[46:47]
	s_cbranch_execz .LBB2_3228
; %bb.3225:                             ;   in Loop: Header=BB2_3120 Depth=3
	v_bfe_u32 v21, v8, 16, 7
	v_cmp_ne_u32_e32 vcc, s97, v21
	v_mov_b32_e32 v16, 0x7f800001
	s_and_saveexec_b64 s[46:47], vcc
	s_cbranch_execz .LBB2_3227
; %bb.3226:                             ;   in Loop: Header=BB2_3120 Depth=3
	v_and_b32_e32 v3, 7, v34
	v_ffbh_u32_e32 v16, v3
	v_min_u32_e32 v16, 32, v16
	v_lshrrev_b32_e32 v4, 3, v21
	v_cmp_gt_u32_e32 vcc, 8, v21
	v_subrev_u32_e32 v21, 28, v16
	v_lshlrev_b64 v[24:25], v21, v[34:35]
	v_sub_u32_e32 v16, 29, v16
	v_and_b32_e32 v21, 7, v24
	v_cndmask_b32_e32 v4, v4, v16, vcc
	v_cndmask_b32_e32 v3, v3, v21, vcc
	v_lshlrev_b32_e32 v16, 24, v34
	v_lshlrev_b32_e32 v3, 20, v3
	v_and_b32_e32 v16, 0x80000000, v16
	v_lshl_add_u32 v4, v4, 23, v48
	v_or3_b32 v16, v16, v4, v3
.LBB2_3227:                             ;   in Loop: Header=BB2_3120 Depth=3
	s_or_b64 exec, exec, s[46:47]
.LBB2_3228:                             ;   in Loop: Header=BB2_3120 Depth=3
	s_or_b64 exec, exec, s[42:43]
.LBB2_3229:                             ;   in Loop: Header=BB2_3120 Depth=3
	s_or_b64 exec, exec, s[44:45]
	v_cmp_gt_i16_sdwa s[44:45], v30, s97 src0_sel:BYTE_0 src1_sel:DWORD
	s_mov_b64 s[42:43], 0
	s_and_saveexec_b64 s[46:47], s[44:45]
	s_xor_b64 s[44:45], exec, s[46:47]
	s_cbranch_execz .LBB2_3789
; %bb.3230:                             ;   in Loop: Header=BB2_3120 Depth=3
	v_cmp_eq_u16_sdwa vcc, v30, s59 src0_sel:BYTE_0 src1_sel:DWORD
	s_mov_b64 s[42:43], -1
	s_and_saveexec_b64 s[46:47], vcc
; %bb.3231:                             ;   in Loop: Header=BB2_3120 Depth=3
	s_xor_b64 s[42:43], exec, -1
; %bb.3232:                             ;   in Loop: Header=BB2_3120 Depth=3
	s_or_b64 exec, exec, s[46:47]
	s_and_b64 s[42:43], s[42:43], exec
                                        ; implicit-def: $vgpr30
	s_or_saveexec_b64 s[44:45], s[44:45]
	v_bfrev_b32_e32 v21, 1
	s_xor_b64 exec, exec, s[44:45]
	s_cbranch_execnz .LBB2_3790
.LBB2_3233:                             ;   in Loop: Header=BB2_3120 Depth=3
	s_or_b64 exec, exec, s[44:45]
	s_and_saveexec_b64 s[44:45], s[42:43]
.LBB2_3234:                             ;   in Loop: Header=BB2_3120 Depth=3
	v_cndmask_b32_e64 v21, v1, v49, s[40:41]
.LBB2_3235:                             ;   in Loop: Header=BB2_3120 Depth=3
	s_or_b64 exec, exec, s[44:45]
	v_max_f32_e32 v1, v21, v21
	v_max_f32_e32 v3, v16, v16
	v_min_f32_e32 v21, v3, v1
.LBB2_3236:                             ;   in Loop: Header=BB2_3120 Depth=3
	v_and_b32_e32 v34, 0x7f800000, v21
	v_cmp_ne_u64_e32 vcc, s[90:91], v[34:35]
                                        ; implicit-def: $vgpr16
	s_and_saveexec_b64 s[40:41], vcc
	s_xor_b64 s[42:43], exec, s[40:41]
	s_cbranch_execz .LBB2_3250
; %bb.3237:                             ;   in Loop: Header=BB2_3120 Depth=3
	v_and_b32_e32 v34, 0x7fffffff, v21
	v_cmp_gt_u64_e32 vcc, s[92:93], v[34:35]
	v_and_b32_sdwa v1, v21, s59 dst_sel:DWORD dst_unused:UNUSED_PAD src0_sel:BYTE_3 src1_sel:DWORD
                                        ; implicit-def: $vgpr16
	s_and_saveexec_b64 s[40:41], vcc
	s_xor_b64 s[44:45], exec, s[40:41]
	s_cbranch_execz .LBB2_3247
; %bb.3238:                             ;   in Loop: Header=BB2_3120 Depth=3
	v_mov_b32_e32 v16, 0
	v_cmp_ne_u32_e32 vcc, 0, v21
	s_and_saveexec_b64 s[46:47], vcc
	s_cbranch_execz .LBB2_3246
; %bb.3239:                             ;   in Loop: Header=BB2_3120 Depth=3
	v_bfe_u32 v16, v21, 23, 8
	v_cmp_gt_u32_e64 s[40:41], s56, v16
	v_sub_u32_e32 v4, 0x79, v16
	v_and_b32_e32 v3, 0x7fffff, v21
	v_cmp_eq_u32_e32 vcc, 0, v16
	v_cndmask_b32_e64 v4, 0, v4, s[40:41]
	v_mov_b32_e32 v21, 0x78
	v_or_b32_e32 v24, 0x800000, v3
	v_cndmask_b32_e32 v21, v4, v21, vcc
	v_cndmask_b32_e32 v34, v24, v3, vcc
	v_add_u32_e32 v3, 20, v21
	v_lshlrev_b64 v[24:25], v3, -1
	v_add_u32_e32 v3, 19, v21
	v_lshlrev_b64 v[26:27], v3, 1
	v_lshrrev_b64 v[57:58], v21, v[34:35]
	v_bfi_b32 v25, v25, 0, 0
	v_bfi_b32 v24, v24, 0, v34
	v_cmp_eq_u64_e64 s[40:41], v[24:25], v[26:27]
	v_mov_b32_e32 v59, v58
	v_mov_b32_e32 v58, v57
	s_and_saveexec_b64 s[54:55], s[40:41]
; %bb.3240:                             ;   in Loop: Header=BB2_3120 Depth=3
	v_bfe_u32 v3, v57, 20, 1
	v_add_co_u32_e64 v3, s[40:41], v57, v3
	v_add_co_u32_e64 v58, s[40:41], -1, v3
; %bb.3241:                             ;   in Loop: Header=BB2_3120 Depth=3
	s_or_b64 exec, exec, s[54:55]
	v_add_u32_e32 v3, 0xffffff81, v16
	v_cndmask_b32_e32 v3, v3, v52, vcc
	v_lshrrev_b32_e32 v4, 23, v57
	v_add3_u32 v24, v21, v3, v4
	v_add_u32_e32 v21, 6, v24
	v_and_b32_e32 v3, 0xfffff, v58
	v_add_u32_e32 v34, v3, v57
	v_cmp_ne_u32_e32 vcc, 0, v21
                                        ; implicit-def: $vgpr57_vgpr58
                                        ; implicit-def: $vgpr16
	s_and_saveexec_b64 s[40:41], vcc
	s_xor_b64 s[40:41], exec, s[40:41]
; %bb.3242:                             ;   in Loop: Header=BB2_3120 Depth=3
	v_cmp_lt_u64_e32 vcc, s[94:95], v[34:35]
	v_add_u32_e32 v3, 7, v24
	v_cndmask_b32_e32 v16, v21, v3, vcc
	v_cndmask_b32_e64 v3, 0, 1, vcc
	v_lshrrev_b64 v[57:58], v3, v[34:35]
; %bb.3243:                             ;   in Loop: Header=BB2_3120 Depth=3
	s_andn2_saveexec_b64 s[40:41], s[40:41]
; %bb.3244:                             ;   in Loop: Header=BB2_3120 Depth=3
	v_mov_b32_e32 v58, v35
	v_bfe_u32 v16, v34, 23, 1
	v_mov_b32_e32 v57, v34
; %bb.3245:                             ;   in Loop: Header=BB2_3120 Depth=3
	s_or_b64 exec, exec, s[40:41]
	v_lshrrev_b64 v[24:25], 20, v[57:58]
	v_cmp_gt_i32_e32 vcc, 16, v16
	v_cndmask_b32_e32 v25, 0, v25, vcc
	v_cndmask_b32_e32 v24, 7, v24, vcc
	v_min_i32_e32 v3, 15, v16
	v_cmp_eq_u64_e64 s[40:41], 0, v[24:25]
	v_lshlrev_b32_e32 v3, 3, v3
	v_cmp_eq_u32_e32 vcc, 0, v16
	v_and_b32_e32 v3, 0xf8, v3
	v_and_or_b32 v3, v24, 7, v3
	s_and_b64 s[40:41], vcc, s[40:41]
	v_cndmask_b32_e64 v3, v3, 0, s[40:41]
	v_or_b32_e32 v16, v3, v1
.LBB2_3246:                             ;   in Loop: Header=BB2_3120 Depth=3
	s_or_b64 exec, exec, s[46:47]
                                        ; implicit-def: $vgpr1
.LBB2_3247:                             ;   in Loop: Header=BB2_3120 Depth=3
	s_andn2_saveexec_b64 s[40:41], s[44:45]
; %bb.3248:                             ;   in Loop: Header=BB2_3120 Depth=3
	v_or_b32_e32 v16, 0x7e, v1
; %bb.3249:                             ;   in Loop: Header=BB2_3120 Depth=3
	s_or_b64 exec, exec, s[40:41]
                                        ; implicit-def: $vgpr21
.LBB2_3250:                             ;   in Loop: Header=BB2_3120 Depth=3
	s_andn2_saveexec_b64 s[40:41], s[42:43]
; %bb.3251:                             ;   in Loop: Header=BB2_3120 Depth=3
	v_or_b32_sdwa v16, v21, s97 dst_sel:DWORD dst_unused:UNUSED_PAD src0_sel:BYTE_3 src1_sel:DWORD
; %bb.3252:                             ;   in Loop: Header=BB2_3120 Depth=3
	s_or_b64 exec, exec, s[40:41]
	v_bfe_u32 v3, v12, 24, 3
	v_bfe_u32 v4, v12, 24, 7
	v_cmp_eq_u32_e64 s[44:45], s97, v4
	v_cmp_gt_u32_e32 vcc, 8, v4
	v_ffbh_u32_e32 v4, v3
	v_min_u32_e32 v4, 32, v4
	v_lshrrev_b32_e32 v1, 24, v12
	v_subrev_u32_e32 v24, 28, v4
	v_lshlrev_b64 v[24:25], v24, v[1:2]
	v_bfe_u32 v21, v1, 3, 4
	v_cmp_eq_u32_e64 s[42:43], s59, v1
	v_sub_u32_e32 v1, 29, v4
	v_and_b32_e32 v4, 7, v24
	v_cndmask_b32_e32 v1, v21, v1, vcc
	v_cndmask_b32_e32 v3, v3, v4, vcc
	v_lshlrev_b32_e32 v3, 20, v3
	v_and_b32_e32 v4, 0x80000000, v12
	v_lshl_add_u32 v1, v1, 23, v48
	v_lshrrev_b32_e32 v30, 24, v8
	v_cmp_gt_u32_e64 s[40:41], s61, v12
	v_or3_b32 v1, v4, v1, v3
	v_cmp_lt_u32_e64 s[46:47], s63, v8
	s_mov_b64 s[54:55], -1
	s_and_b64 vcc, exec, s[52:53]
                                        ; implicit-def: $vgpr24
	s_cbranch_vccz .LBB2_3260
; %bb.3253:                             ;   in Loop: Header=BB2_3120 Depth=3
	v_mov_b32_e32 v21, 0
	s_and_saveexec_b64 s[54:55], s[46:47]
	s_cbranch_execz .LBB2_3259
; %bb.3254:                             ;   in Loop: Header=BB2_3120 Depth=3
	v_cmp_ne_u32_e32 vcc, s59, v30
	v_bfrev_b32_e32 v21, 1
	s_and_saveexec_b64 s[64:65], vcc
	s_cbranch_execz .LBB2_3258
; %bb.3255:                             ;   in Loop: Header=BB2_3120 Depth=3
	v_bfe_u32 v24, v8, 24, 7
	v_cmp_ne_u32_e32 vcc, s97, v24
	v_mov_b32_e32 v21, 0x7f800001
	s_and_saveexec_b64 s[66:67], vcc
	s_cbranch_execz .LBB2_3257
; %bb.3256:                             ;   in Loop: Header=BB2_3120 Depth=3
	v_and_b32_e32 v3, 7, v30
	v_ffbh_u32_e32 v21, v3
	v_min_u32_e32 v21, 32, v21
	v_lshrrev_b32_e32 v4, 3, v24
	v_cmp_gt_u32_e32 vcc, 8, v24
	v_subrev_u32_e32 v24, 28, v21
	v_lshlrev_b64 v[24:25], v24, v[30:31]
	v_sub_u32_e32 v21, 29, v21
	v_and_b32_e32 v24, 7, v24
	v_cndmask_b32_e32 v4, v4, v21, vcc
	v_cndmask_b32_e32 v3, v3, v24, vcc
	v_lshlrev_b32_e32 v21, 24, v30
	v_lshlrev_b32_e32 v3, 20, v3
	v_and_b32_e32 v21, 0x80000000, v21
	v_lshl_add_u32 v4, v4, 23, v48
	v_or3_b32 v21, v21, v4, v3
.LBB2_3257:                             ;   in Loop: Header=BB2_3120 Depth=3
	s_or_b64 exec, exec, s[66:67]
.LBB2_3258:                             ;   in Loop: Header=BB2_3120 Depth=3
	s_or_b64 exec, exec, s[64:65]
.LBB2_3259:                             ;   in Loop: Header=BB2_3120 Depth=3
	s_or_b64 exec, exec, s[54:55]
	v_cndmask_b32_e64 v3, v1, v49, s[44:45]
	v_cndmask_b32_e64 v3, v3, v0, s[42:43]
	;; [unrolled: 1-line block ×3, first 2 shown]
	v_max_f32_e32 v3, v3, v3
	v_max_f32_e32 v4, v21, v21
	;; [unrolled: 1-line block ×3, first 2 shown]
	s_mov_b64 s[54:55], 0
.LBB2_3260:                             ;   in Loop: Header=BB2_3120 Depth=3
	s_and_b64 vcc, exec, s[54:55]
	s_cbranch_vccz .LBB2_3268
; %bb.3261:                             ;   in Loop: Header=BB2_3120 Depth=3
	v_mov_b32_e32 v21, 0
	s_and_saveexec_b64 s[54:55], s[46:47]
	s_cbranch_execz .LBB2_3267
; %bb.3262:                             ;   in Loop: Header=BB2_3120 Depth=3
	v_cmp_ne_u32_e32 vcc, s59, v30
	v_bfrev_b32_e32 v21, 1
	s_and_saveexec_b64 s[46:47], vcc
	s_cbranch_execz .LBB2_3266
; %bb.3263:                             ;   in Loop: Header=BB2_3120 Depth=3
	v_bfe_u32 v24, v8, 24, 7
	v_cmp_ne_u32_e32 vcc, s97, v24
	v_mov_b32_e32 v21, 0x7f800001
	s_and_saveexec_b64 s[64:65], vcc
	s_cbranch_execz .LBB2_3265
; %bb.3264:                             ;   in Loop: Header=BB2_3120 Depth=3
	v_and_b32_e32 v3, 7, v30
	v_ffbh_u32_e32 v21, v3
	v_min_u32_e32 v21, 32, v21
	v_lshrrev_b32_e32 v4, 3, v24
	v_cmp_gt_u32_e32 vcc, 8, v24
	v_subrev_u32_e32 v24, 28, v21
	v_lshlrev_b64 v[24:25], v24, v[30:31]
	v_sub_u32_e32 v21, 29, v21
	v_and_b32_e32 v24, 7, v24
	v_cndmask_b32_e32 v4, v4, v21, vcc
	v_cndmask_b32_e32 v3, v3, v24, vcc
	v_lshlrev_b32_e32 v21, 24, v30
	v_lshlrev_b32_e32 v3, 20, v3
	v_and_b32_e32 v21, 0x80000000, v21
	v_lshl_add_u32 v4, v4, 23, v48
	v_or3_b32 v21, v21, v4, v3
.LBB2_3265:                             ;   in Loop: Header=BB2_3120 Depth=3
	s_or_b64 exec, exec, s[64:65]
.LBB2_3266:                             ;   in Loop: Header=BB2_3120 Depth=3
	s_or_b64 exec, exec, s[46:47]
.LBB2_3267:                             ;   in Loop: Header=BB2_3120 Depth=3
	s_or_b64 exec, exec, s[54:55]
	v_cndmask_b32_e64 v1, v1, v49, s[44:45]
	v_cndmask_b32_e64 v1, v1, v0, s[42:43]
	;; [unrolled: 1-line block ×3, first 2 shown]
	v_max_f32_e32 v1, v1, v1
	v_max_f32_e32 v3, v21, v21
	v_min_f32_e32 v24, v3, v1
.LBB2_3268:                             ;   in Loop: Header=BB2_3120 Depth=3
	v_and_b32_e32 v34, 0x7f800000, v24
	v_cmp_ne_u64_e32 vcc, s[90:91], v[34:35]
                                        ; implicit-def: $vgpr21
	s_and_saveexec_b64 s[40:41], vcc
	s_xor_b64 s[42:43], exec, s[40:41]
	s_cbranch_execz .LBB2_3282
; %bb.3269:                             ;   in Loop: Header=BB2_3120 Depth=3
	v_and_b32_e32 v34, 0x7fffffff, v24
	v_cmp_gt_u64_e32 vcc, s[92:93], v[34:35]
	v_and_b32_sdwa v1, v24, s59 dst_sel:DWORD dst_unused:UNUSED_PAD src0_sel:BYTE_3 src1_sel:DWORD
                                        ; implicit-def: $vgpr21
	s_and_saveexec_b64 s[40:41], vcc
	s_xor_b64 s[44:45], exec, s[40:41]
	s_cbranch_execz .LBB2_3279
; %bb.3270:                             ;   in Loop: Header=BB2_3120 Depth=3
	v_mov_b32_e32 v21, 0
	v_cmp_ne_u32_e32 vcc, 0, v24
	s_and_saveexec_b64 s[46:47], vcc
	s_cbranch_execz .LBB2_3278
; %bb.3271:                             ;   in Loop: Header=BB2_3120 Depth=3
	v_bfe_u32 v21, v24, 23, 8
	v_cmp_gt_u32_e64 s[40:41], s56, v21
	v_sub_u32_e32 v4, 0x79, v21
	v_and_b32_e32 v3, 0x7fffff, v24
	v_cmp_eq_u32_e32 vcc, 0, v21
	v_cndmask_b32_e64 v4, 0, v4, s[40:41]
	v_mov_b32_e32 v24, 0x78
	v_or_b32_e32 v25, 0x800000, v3
	v_cndmask_b32_e32 v24, v4, v24, vcc
	v_cndmask_b32_e32 v34, v25, v3, vcc
	v_add_u32_e32 v3, 20, v24
	v_lshlrev_b64 v[25:26], v3, -1
	v_add_u32_e32 v3, 19, v24
	v_lshlrev_b64 v[30:31], v3, 1
	v_lshrrev_b64 v[57:58], v24, v[34:35]
	v_bfi_b32 v26, v26, 0, 0
	v_bfi_b32 v25, v25, 0, v34
	v_cmp_eq_u64_e64 s[40:41], v[25:26], v[30:31]
	v_mov_b32_e32 v59, v58
	v_mov_b32_e32 v58, v57
	s_and_saveexec_b64 s[54:55], s[40:41]
; %bb.3272:                             ;   in Loop: Header=BB2_3120 Depth=3
	v_bfe_u32 v3, v57, 20, 1
	v_add_co_u32_e64 v3, s[40:41], v57, v3
	v_add_co_u32_e64 v58, s[40:41], -1, v3
; %bb.3273:                             ;   in Loop: Header=BB2_3120 Depth=3
	s_or_b64 exec, exec, s[54:55]
	v_add_u32_e32 v3, 0xffffff81, v21
	v_cndmask_b32_e32 v3, v3, v52, vcc
	v_lshrrev_b32_e32 v4, 23, v57
	v_add3_u32 v25, v24, v3, v4
	v_add_u32_e32 v24, 6, v25
	v_and_b32_e32 v3, 0xfffff, v58
	v_add_u32_e32 v34, v3, v57
	v_cmp_ne_u32_e32 vcc, 0, v24
                                        ; implicit-def: $vgpr57_vgpr58
                                        ; implicit-def: $vgpr21
	s_and_saveexec_b64 s[40:41], vcc
	s_xor_b64 s[40:41], exec, s[40:41]
; %bb.3274:                             ;   in Loop: Header=BB2_3120 Depth=3
	v_cmp_lt_u64_e32 vcc, s[94:95], v[34:35]
	v_add_u32_e32 v3, 7, v25
	v_cndmask_b32_e32 v21, v24, v3, vcc
	v_cndmask_b32_e64 v3, 0, 1, vcc
	v_lshrrev_b64 v[57:58], v3, v[34:35]
; %bb.3275:                             ;   in Loop: Header=BB2_3120 Depth=3
	s_andn2_saveexec_b64 s[40:41], s[40:41]
; %bb.3276:                             ;   in Loop: Header=BB2_3120 Depth=3
	v_mov_b32_e32 v58, v35
	v_bfe_u32 v21, v34, 23, 1
	v_mov_b32_e32 v57, v34
; %bb.3277:                             ;   in Loop: Header=BB2_3120 Depth=3
	s_or_b64 exec, exec, s[40:41]
	v_lshrrev_b64 v[24:25], 20, v[57:58]
	v_cmp_gt_i32_e32 vcc, 16, v21
	v_cndmask_b32_e32 v25, 0, v25, vcc
	v_cndmask_b32_e32 v24, 7, v24, vcc
	v_min_i32_e32 v3, 15, v21
	v_cmp_eq_u64_e64 s[40:41], 0, v[24:25]
	v_lshlrev_b32_e32 v3, 3, v3
	v_cmp_eq_u32_e32 vcc, 0, v21
	v_and_b32_e32 v3, 0xf8, v3
	v_and_or_b32 v3, v24, 7, v3
	s_and_b64 s[40:41], vcc, s[40:41]
	v_cndmask_b32_e64 v3, v3, 0, s[40:41]
	v_or_b32_e32 v21, v3, v1
.LBB2_3278:                             ;   in Loop: Header=BB2_3120 Depth=3
	s_or_b64 exec, exec, s[46:47]
                                        ; implicit-def: $vgpr1
.LBB2_3279:                             ;   in Loop: Header=BB2_3120 Depth=3
	s_andn2_saveexec_b64 s[40:41], s[44:45]
; %bb.3280:                             ;   in Loop: Header=BB2_3120 Depth=3
	v_or_b32_e32 v21, 0x7e, v1
; %bb.3281:                             ;   in Loop: Header=BB2_3120 Depth=3
	s_or_b64 exec, exec, s[40:41]
                                        ; implicit-def: $vgpr24
.LBB2_3282:                             ;   in Loop: Header=BB2_3120 Depth=3
	s_andn2_saveexec_b64 s[40:41], s[42:43]
; %bb.3283:                             ;   in Loop: Header=BB2_3120 Depth=3
	v_or_b32_sdwa v21, v24, s97 dst_sel:DWORD dst_unused:UNUSED_PAD src0_sel:BYTE_3 src1_sel:DWORD
; %bb.3284:                             ;   in Loop: Header=BB2_3120 Depth=3
	s_or_b64 exec, exec, s[40:41]
	v_and_b32_e32 v1, 7, v13
	v_ffbh_u32_e32 v1, v1
	v_and_b32_e32 v3, 0x7f, v13
	v_min_u32_e32 v1, 32, v1
	v_cmp_eq_u32_e64 s[40:41], s97, v3
	v_cmp_gt_u32_e32 vcc, 8, v3
	v_subrev_u32_e32 v3, 28, v1
	v_mov_b32_e32 v34, v13
	v_cndmask_b32_e32 v3, 0, v3, vcc
	v_lshlrev_b64 v[24:25], v3, v[34:35]
	v_bfe_u32 v4, v13, 3, 4
	v_sub_u32_e32 v1, 29, v1
	v_cndmask_b32_e32 v1, v4, v1, vcc
	v_lshlrev_b32_e32 v3, 20, v24
	v_lshlrev_b32_e32 v4, 24, v13
	v_and_b32_e32 v3, 0x700000, v3
	v_and_b32_e32 v4, 0x80000000, v4
	v_lshl_add_u32 v1, v1, 23, v48
	v_or3_b32 v1, v4, v1, v3
	v_mov_b32_e32 v57, v9
	v_mov_b32_e32 v58, v35
	v_cmp_ne_u16_sdwa s[42:43], v9, v35 src0_sel:BYTE_0 src1_sel:DWORD
	s_mov_b64 s[44:45], -1
	s_and_b64 vcc, exec, s[52:53]
                                        ; implicit-def: $vgpr24
	s_cbranch_vccz .LBB2_3298
; %bb.3285:                             ;   in Loop: Header=BB2_3120 Depth=3
	v_mov_b32_e32 v24, 0
	s_and_saveexec_b64 s[44:45], s[42:43]
	s_cbranch_execz .LBB2_3291
; %bb.3286:                             ;   in Loop: Header=BB2_3120 Depth=3
	v_cmp_ne_u16_sdwa vcc, v9, s59 src0_sel:BYTE_0 src1_sel:DWORD
	v_bfrev_b32_e32 v24, 1
	s_and_saveexec_b64 s[46:47], vcc
	s_cbranch_execz .LBB2_3290
; %bb.3287:                             ;   in Loop: Header=BB2_3120 Depth=3
	v_and_b32_e32 v25, 0x7f, v9
	v_cmp_ne_u32_e32 vcc, s97, v25
	v_mov_b32_e32 v24, 0x7f800001
	s_and_saveexec_b64 s[54:55], vcc
	s_cbranch_execz .LBB2_3289
; %bb.3288:                             ;   in Loop: Header=BB2_3120 Depth=3
	v_and_b32_e32 v3, 7, v9
	v_ffbh_u32_e32 v3, v3
	v_min_u32_e32 v3, 32, v3
	v_lshrrev_b32_e32 v4, 3, v25
	v_cmp_gt_u32_e32 vcc, 8, v25
	v_subrev_u32_e32 v24, 28, v3
	v_sub_u32_e32 v3, 29, v3
	v_cndmask_b32_e32 v3, v4, v3, vcc
	v_cndmask_b32_e32 v4, 0, v24, vcc
	v_lshlrev_b64 v[24:25], v4, v[57:58]
	v_lshl_add_u32 v3, v3, 23, v48
	v_lshlrev_b32_e32 v4, 20, v24
	v_lshlrev_b32_e32 v24, 24, v57
	v_and_b32_e32 v4, 0x700000, v4
	v_and_b32_e32 v24, 0x80000000, v24
	v_or3_b32 v24, v24, v3, v4
.LBB2_3289:                             ;   in Loop: Header=BB2_3120 Depth=3
	s_or_b64 exec, exec, s[54:55]
.LBB2_3290:                             ;   in Loop: Header=BB2_3120 Depth=3
	s_or_b64 exec, exec, s[46:47]
.LBB2_3291:                             ;   in Loop: Header=BB2_3120 Depth=3
	s_or_b64 exec, exec, s[44:45]
	v_cmp_gt_i16_sdwa s[46:47], v13, s97 src0_sel:BYTE_0 src1_sel:DWORD
	s_mov_b64 s[44:45], 0
	s_and_saveexec_b64 vcc, s[46:47]
	s_xor_b64 s[46:47], exec, vcc
	s_cbranch_execz .LBB2_3791
; %bb.3292:                             ;   in Loop: Header=BB2_3120 Depth=3
	v_cmp_eq_u16_sdwa s[54:55], v13, s59 src0_sel:BYTE_0 src1_sel:DWORD
	s_mov_b64 s[44:45], -1
	s_and_saveexec_b64 vcc, s[54:55]
; %bb.3293:                             ;   in Loop: Header=BB2_3120 Depth=3
	s_xor_b64 s[44:45], exec, -1
; %bb.3294:                             ;   in Loop: Header=BB2_3120 Depth=3
	s_or_b64 exec, exec, vcc
	s_and_b64 s[44:45], s[44:45], exec
	s_or_saveexec_b64 s[46:47], s[46:47]
	v_bfrev_b32_e32 v25, 1
	s_xor_b64 exec, exec, s[46:47]
	s_cbranch_execnz .LBB2_3792
.LBB2_3295:                             ;   in Loop: Header=BB2_3120 Depth=3
	s_or_b64 exec, exec, s[46:47]
	s_and_saveexec_b64 s[46:47], s[44:45]
.LBB2_3296:                             ;   in Loop: Header=BB2_3120 Depth=3
	v_cndmask_b32_e64 v25, v1, v49, s[40:41]
.LBB2_3297:                             ;   in Loop: Header=BB2_3120 Depth=3
	s_or_b64 exec, exec, s[46:47]
	v_max_f32_e32 v3, v25, v25
	v_max_f32_e32 v4, v24, v24
	;; [unrolled: 1-line block ×3, first 2 shown]
	s_mov_b64 s[44:45], 0
.LBB2_3298:                             ;   in Loop: Header=BB2_3120 Depth=3
	s_and_b64 vcc, exec, s[44:45]
	s_cbranch_vccz .LBB2_3312
; %bb.3299:                             ;   in Loop: Header=BB2_3120 Depth=3
	v_mov_b32_e32 v24, 0
	s_and_saveexec_b64 s[44:45], s[42:43]
	s_cbranch_execz .LBB2_3305
; %bb.3300:                             ;   in Loop: Header=BB2_3120 Depth=3
	v_cmp_ne_u16_sdwa s[46:47], v9, s59 src0_sel:BYTE_0 src1_sel:DWORD
	v_bfrev_b32_e32 v24, 1
	s_and_saveexec_b64 s[42:43], s[46:47]
	s_cbranch_execz .LBB2_3304
; %bb.3301:                             ;   in Loop: Header=BB2_3120 Depth=3
	v_and_b32_e32 v25, 0x7f, v9
	v_cmp_ne_u32_e32 vcc, s97, v25
	v_mov_b32_e32 v24, 0x7f800001
	s_and_saveexec_b64 s[46:47], vcc
	s_cbranch_execz .LBB2_3303
; %bb.3302:                             ;   in Loop: Header=BB2_3120 Depth=3
	v_and_b32_e32 v3, 7, v9
	v_ffbh_u32_e32 v3, v3
	v_min_u32_e32 v3, 32, v3
	v_lshrrev_b32_e32 v4, 3, v25
	v_cmp_gt_u32_e32 vcc, 8, v25
	v_subrev_u32_e32 v24, 28, v3
	v_sub_u32_e32 v3, 29, v3
	v_cndmask_b32_e32 v3, v4, v3, vcc
	v_cndmask_b32_e32 v4, 0, v24, vcc
	v_lshlrev_b64 v[24:25], v4, v[57:58]
	v_lshl_add_u32 v3, v3, 23, v48
	v_lshlrev_b32_e32 v4, 20, v24
	v_lshlrev_b32_e32 v24, 24, v57
	v_and_b32_e32 v4, 0x700000, v4
	v_and_b32_e32 v24, 0x80000000, v24
	v_or3_b32 v24, v24, v3, v4
.LBB2_3303:                             ;   in Loop: Header=BB2_3120 Depth=3
	s_or_b64 exec, exec, s[46:47]
.LBB2_3304:                             ;   in Loop: Header=BB2_3120 Depth=3
	s_or_b64 exec, exec, s[42:43]
.LBB2_3305:                             ;   in Loop: Header=BB2_3120 Depth=3
	s_or_b64 exec, exec, s[44:45]
	v_cmp_gt_i16_sdwa s[44:45], v13, s97 src0_sel:BYTE_0 src1_sel:DWORD
	s_mov_b64 s[42:43], 0
	s_and_saveexec_b64 s[46:47], s[44:45]
	s_xor_b64 s[44:45], exec, s[46:47]
	s_cbranch_execz .LBB2_3793
; %bb.3306:                             ;   in Loop: Header=BB2_3120 Depth=3
	v_cmp_eq_u16_sdwa vcc, v13, s59 src0_sel:BYTE_0 src1_sel:DWORD
	s_mov_b64 s[42:43], -1
	s_and_saveexec_b64 s[46:47], vcc
; %bb.3307:                             ;   in Loop: Header=BB2_3120 Depth=3
	s_xor_b64 s[42:43], exec, -1
; %bb.3308:                             ;   in Loop: Header=BB2_3120 Depth=3
	s_or_b64 exec, exec, s[46:47]
	s_and_b64 s[42:43], s[42:43], exec
	s_or_saveexec_b64 s[44:45], s[44:45]
	v_bfrev_b32_e32 v25, 1
	s_xor_b64 exec, exec, s[44:45]
	s_cbranch_execnz .LBB2_3794
.LBB2_3309:                             ;   in Loop: Header=BB2_3120 Depth=3
	s_or_b64 exec, exec, s[44:45]
	s_and_saveexec_b64 s[44:45], s[42:43]
.LBB2_3310:                             ;   in Loop: Header=BB2_3120 Depth=3
	v_cndmask_b32_e64 v25, v1, v49, s[40:41]
.LBB2_3311:                             ;   in Loop: Header=BB2_3120 Depth=3
	s_or_b64 exec, exec, s[44:45]
	v_max_f32_e32 v1, v25, v25
	v_max_f32_e32 v3, v24, v24
	v_min_f32_e32 v24, v3, v1
.LBB2_3312:                             ;   in Loop: Header=BB2_3120 Depth=3
	v_and_b32_e32 v25, 0x7f800000, v24
	v_mov_b32_e32 v26, v35
	v_cmp_ne_u64_e32 vcc, s[90:91], v[25:26]
                                        ; implicit-def: $vgpr26
	s_and_saveexec_b64 s[40:41], vcc
	s_xor_b64 s[42:43], exec, s[40:41]
	s_cbranch_execz .LBB2_3326
; %bb.3313:                             ;   in Loop: Header=BB2_3120 Depth=3
	v_and_b32_e32 v25, 0x7fffffff, v24
	v_mov_b32_e32 v26, v35
	v_cmp_gt_u64_e32 vcc, s[92:93], v[25:26]
	v_and_b32_sdwa v1, v24, s59 dst_sel:DWORD dst_unused:UNUSED_PAD src0_sel:BYTE_3 src1_sel:DWORD
                                        ; implicit-def: $vgpr26
	s_and_saveexec_b64 s[40:41], vcc
	s_xor_b64 s[44:45], exec, s[40:41]
	s_cbranch_execz .LBB2_3323
; %bb.3314:                             ;   in Loop: Header=BB2_3120 Depth=3
	v_mov_b32_e32 v26, 0
	v_cmp_ne_u32_e32 vcc, 0, v24
	s_and_saveexec_b64 s[46:47], vcc
	s_cbranch_execz .LBB2_3322
; %bb.3315:                             ;   in Loop: Header=BB2_3120 Depth=3
	v_and_b32_e32 v3, 0x7fffff, v24
	v_bfe_u32 v24, v24, 23, 8
	v_cmp_gt_u32_e64 s[40:41], s56, v24
	v_sub_u32_e32 v4, 0x79, v24
	v_cmp_eq_u32_e32 vcc, 0, v24
	v_cndmask_b32_e64 v4, 0, v4, s[40:41]
	v_mov_b32_e32 v25, 0x78
	v_or_b32_e32 v26, 0x800000, v3
	v_cndmask_b32_e32 v25, v4, v25, vcc
	v_cndmask_b32_e32 v26, v26, v3, vcc
	v_add_u32_e32 v3, 20, v25
	v_mov_b32_e32 v27, v35
	v_lshlrev_b64 v[30:31], v3, -1
	v_add_u32_e32 v3, 19, v25
	v_lshlrev_b64 v[42:43], v3, 1
	v_lshrrev_b64 v[58:59], v25, v[26:27]
	v_bfi_b32 v31, v31, 0, 0
	v_bfi_b32 v30, v30, 0, v26
	v_cmp_eq_u64_e64 s[40:41], v[30:31], v[42:43]
	v_mov_b32_e32 v60, v59
	v_mov_b32_e32 v59, v58
	s_and_saveexec_b64 s[54:55], s[40:41]
; %bb.3316:                             ;   in Loop: Header=BB2_3120 Depth=3
	v_bfe_u32 v3, v58, 20, 1
	v_add_co_u32_e64 v3, s[40:41], v58, v3
	v_add_co_u32_e64 v59, s[40:41], -1, v3
; %bb.3317:                             ;   in Loop: Header=BB2_3120 Depth=3
	s_or_b64 exec, exec, s[54:55]
	v_add_u32_e32 v3, 0xffffff81, v24
	v_cndmask_b32_e32 v3, v3, v52, vcc
	v_lshrrev_b32_e32 v4, 23, v58
	v_add3_u32 v26, v25, v3, v4
	v_add_u32_e32 v25, 6, v26
	v_and_b32_e32 v3, 0xfffff, v59
	v_add_u32_e32 v58, v3, v58
	v_mov_b32_e32 v59, v35
	v_cmp_ne_u32_e32 vcc, 0, v25
                                        ; implicit-def: $vgpr24
	s_and_saveexec_b64 s[40:41], vcc
	s_xor_b64 s[40:41], exec, s[40:41]
; %bb.3318:                             ;   in Loop: Header=BB2_3120 Depth=3
	v_cmp_lt_u64_e32 vcc, s[94:95], v[58:59]
	v_add_u32_e32 v3, 7, v26
	v_cndmask_b32_e32 v24, v25, v3, vcc
	v_cndmask_b32_e64 v3, 0, 1, vcc
	v_lshrrev_b64 v[58:59], v3, v[58:59]
; %bb.3319:                             ;   in Loop: Header=BB2_3120 Depth=3
	s_andn2_saveexec_b64 s[40:41], s[40:41]
; %bb.3320:                             ;   in Loop: Header=BB2_3120 Depth=3
	v_bfe_u32 v24, v58, 23, 1
; %bb.3321:                             ;   in Loop: Header=BB2_3120 Depth=3
	s_or_b64 exec, exec, s[40:41]
	v_lshrrev_b64 v[25:26], 20, v[58:59]
	v_cmp_gt_i32_e32 vcc, 16, v24
	v_cndmask_b32_e32 v26, 0, v26, vcc
	v_cndmask_b32_e32 v25, 7, v25, vcc
	v_min_i32_e32 v3, 15, v24
	v_cmp_eq_u64_e64 s[40:41], 0, v[25:26]
	v_lshlrev_b32_e32 v3, 3, v3
	v_cmp_eq_u32_e32 vcc, 0, v24
	v_and_b32_e32 v3, 0xf8, v3
	v_and_or_b32 v3, v25, 7, v3
	s_and_b64 s[40:41], vcc, s[40:41]
	v_cndmask_b32_e64 v3, v3, 0, s[40:41]
	v_or_b32_e32 v26, v3, v1
.LBB2_3322:                             ;   in Loop: Header=BB2_3120 Depth=3
	s_or_b64 exec, exec, s[46:47]
                                        ; implicit-def: $vgpr1
.LBB2_3323:                             ;   in Loop: Header=BB2_3120 Depth=3
	s_andn2_saveexec_b64 s[40:41], s[44:45]
; %bb.3324:                             ;   in Loop: Header=BB2_3120 Depth=3
	v_or_b32_e32 v26, 0x7e, v1
; %bb.3325:                             ;   in Loop: Header=BB2_3120 Depth=3
	s_or_b64 exec, exec, s[40:41]
                                        ; implicit-def: $vgpr24
.LBB2_3326:                             ;   in Loop: Header=BB2_3120 Depth=3
	s_andn2_saveexec_b64 s[40:41], s[42:43]
; %bb.3327:                             ;   in Loop: Header=BB2_3120 Depth=3
	v_or_b32_sdwa v26, v24, s97 dst_sel:DWORD dst_unused:UNUSED_PAD src0_sel:BYTE_3 src1_sel:DWORD
; %bb.3328:                             ;   in Loop: Header=BB2_3120 Depth=3
	s_or_b64 exec, exec, s[40:41]
	v_lshrrev_b16_e32 v34, 8, v34
	v_and_b32_e32 v1, 7, v34
	v_and_b32_e32 v3, 0x7f, v34
	v_cmp_eq_u32_e64 s[40:41], s97, v3
	v_cmp_gt_u32_e32 vcc, 8, v3
	v_ffbh_u32_e32 v3, v1
	v_min_u32_e32 v3, 32, v3
	v_subrev_u32_e32 v24, 28, v3
	v_lshlrev_b64 v[24:25], v24, v[34:35]
	v_bfe_u32 v4, v34, 3, 4
	v_sub_u32_e32 v3, 29, v3
	v_and_b32_e32 v24, 7, v24
	v_cndmask_b32_e32 v3, v4, v3, vcc
	v_cndmask_b32_e32 v1, v1, v24, vcc
	v_lshlrev_b32_e32 v4, 24, v34
	v_lshrrev_b16_e32 v30, 8, v57
	v_lshlrev_b32_e32 v1, 20, v1
	v_and_b32_e32 v4, 0x80000000, v4
	v_lshl_add_u32 v3, v3, 23, v48
	v_or3_b32 v1, v4, v3, v1
	v_cmp_ne_u16_e64 s[42:43], 0, v30
	s_mov_b64 s[44:45], -1
	s_and_b64 vcc, exec, s[52:53]
                                        ; implicit-def: $vgpr24
	s_cbranch_vccz .LBB2_3342
; %bb.3329:                             ;   in Loop: Header=BB2_3120 Depth=3
	v_mov_b32_e32 v24, 0
	s_and_saveexec_b64 s[44:45], s[42:43]
	s_cbranch_execz .LBB2_3335
; %bb.3330:                             ;   in Loop: Header=BB2_3120 Depth=3
	v_cmp_ne_u16_e32 vcc, s59, v30
	v_bfrev_b32_e32 v24, 1
	s_and_saveexec_b64 s[46:47], vcc
	s_cbranch_execz .LBB2_3334
; %bb.3331:                             ;   in Loop: Header=BB2_3120 Depth=3
	v_and_b32_e32 v25, 0x7f, v30
	v_cmp_ne_u32_e32 vcc, s97, v25
	v_mov_b32_e32 v24, 0x7f800001
	s_and_saveexec_b64 s[54:55], vcc
	s_cbranch_execz .LBB2_3333
; %bb.3332:                             ;   in Loop: Header=BB2_3120 Depth=3
	v_and_b32_e32 v3, 7, v30
	v_ffbh_u32_e32 v24, v3
	v_min_u32_e32 v27, 32, v24
	v_subrev_u32_e32 v24, 28, v27
	v_lshrrev_b32_e32 v4, 3, v25
	v_cmp_gt_u32_e32 vcc, 8, v25
	v_lshlrev_b64 v[24:25], v24, v[30:31]
	v_sub_u32_e32 v25, 29, v27
	v_and_b32_e32 v24, 7, v24
	v_cndmask_b32_e32 v4, v4, v25, vcc
	v_cndmask_b32_e32 v3, v3, v24, vcc
	v_lshlrev_b32_e32 v24, 16, v57
	v_lshlrev_b32_e32 v3, 20, v3
	v_and_b32_e32 v24, 0x80000000, v24
	v_lshl_add_u32 v4, v4, 23, v48
	v_or3_b32 v24, v24, v4, v3
.LBB2_3333:                             ;   in Loop: Header=BB2_3120 Depth=3
	s_or_b64 exec, exec, s[54:55]
.LBB2_3334:                             ;   in Loop: Header=BB2_3120 Depth=3
	s_or_b64 exec, exec, s[46:47]
.LBB2_3335:                             ;   in Loop: Header=BB2_3120 Depth=3
	s_or_b64 exec, exec, s[44:45]
	v_cmp_lt_i16_e32 vcc, s97, v34
	s_mov_b64 s[44:45], 0
	s_and_saveexec_b64 s[46:47], vcc
	s_xor_b64 s[46:47], exec, s[46:47]
	s_cbranch_execz .LBB2_3795
; %bb.3336:                             ;   in Loop: Header=BB2_3120 Depth=3
	v_cmp_eq_u16_e32 vcc, s59, v34
	s_mov_b64 s[44:45], -1
	s_and_saveexec_b64 s[54:55], vcc
; %bb.3337:                             ;   in Loop: Header=BB2_3120 Depth=3
	s_xor_b64 s[44:45], exec, -1
; %bb.3338:                             ;   in Loop: Header=BB2_3120 Depth=3
	s_or_b64 exec, exec, s[54:55]
	s_and_b64 s[44:45], s[44:45], exec
	s_or_saveexec_b64 s[46:47], s[46:47]
	v_bfrev_b32_e32 v25, 1
	s_xor_b64 exec, exec, s[46:47]
	s_cbranch_execnz .LBB2_3796
.LBB2_3339:                             ;   in Loop: Header=BB2_3120 Depth=3
	s_or_b64 exec, exec, s[46:47]
	s_and_saveexec_b64 s[46:47], s[44:45]
.LBB2_3340:                             ;   in Loop: Header=BB2_3120 Depth=3
	v_cndmask_b32_e64 v25, v1, v49, s[40:41]
.LBB2_3341:                             ;   in Loop: Header=BB2_3120 Depth=3
	s_or_b64 exec, exec, s[46:47]
	v_max_f32_e32 v3, v25, v25
	v_max_f32_e32 v4, v24, v24
	;; [unrolled: 1-line block ×3, first 2 shown]
	s_mov_b64 s[44:45], 0
.LBB2_3342:                             ;   in Loop: Header=BB2_3120 Depth=3
	s_and_b64 vcc, exec, s[44:45]
	s_cbranch_vccz .LBB2_3356
; %bb.3343:                             ;   in Loop: Header=BB2_3120 Depth=3
	v_mov_b32_e32 v24, 0
	s_and_saveexec_b64 s[44:45], s[42:43]
	s_cbranch_execz .LBB2_3349
; %bb.3344:                             ;   in Loop: Header=BB2_3120 Depth=3
	v_cmp_ne_u16_e32 vcc, s59, v30
	v_bfrev_b32_e32 v24, 1
	s_and_saveexec_b64 s[42:43], vcc
	s_cbranch_execz .LBB2_3348
; %bb.3345:                             ;   in Loop: Header=BB2_3120 Depth=3
	v_and_b32_e32 v25, 0x7f, v30
	v_cmp_ne_u32_e32 vcc, s97, v25
	v_mov_b32_e32 v24, 0x7f800001
	s_and_saveexec_b64 s[46:47], vcc
	s_cbranch_execz .LBB2_3347
; %bb.3346:                             ;   in Loop: Header=BB2_3120 Depth=3
	v_and_b32_e32 v3, 7, v30
	v_ffbh_u32_e32 v24, v3
	v_min_u32_e32 v27, 32, v24
	v_subrev_u32_e32 v24, 28, v27
	v_lshrrev_b32_e32 v4, 3, v25
	v_cmp_gt_u32_e32 vcc, 8, v25
	v_lshlrev_b64 v[24:25], v24, v[30:31]
	v_sub_u32_e32 v25, 29, v27
	v_and_b32_e32 v24, 7, v24
	v_cndmask_b32_e32 v4, v4, v25, vcc
	v_cndmask_b32_e32 v3, v3, v24, vcc
	v_lshlrev_b32_e32 v24, 16, v57
	v_lshlrev_b32_e32 v3, 20, v3
	v_and_b32_e32 v24, 0x80000000, v24
	v_lshl_add_u32 v4, v4, 23, v48
	v_or3_b32 v24, v24, v4, v3
.LBB2_3347:                             ;   in Loop: Header=BB2_3120 Depth=3
	s_or_b64 exec, exec, s[46:47]
.LBB2_3348:                             ;   in Loop: Header=BB2_3120 Depth=3
	s_or_b64 exec, exec, s[42:43]
.LBB2_3349:                             ;   in Loop: Header=BB2_3120 Depth=3
	s_or_b64 exec, exec, s[44:45]
	v_cmp_lt_i16_e32 vcc, s97, v34
	s_mov_b64 s[42:43], 0
	s_and_saveexec_b64 s[44:45], vcc
	s_xor_b64 s[44:45], exec, s[44:45]
	s_cbranch_execz .LBB2_3797
; %bb.3350:                             ;   in Loop: Header=BB2_3120 Depth=3
	v_cmp_eq_u16_e32 vcc, s59, v34
	s_mov_b64 s[42:43], -1
	s_and_saveexec_b64 s[46:47], vcc
; %bb.3351:                             ;   in Loop: Header=BB2_3120 Depth=3
	s_xor_b64 s[42:43], exec, -1
; %bb.3352:                             ;   in Loop: Header=BB2_3120 Depth=3
	s_or_b64 exec, exec, s[46:47]
	s_and_b64 s[42:43], s[42:43], exec
	s_or_saveexec_b64 s[44:45], s[44:45]
	v_bfrev_b32_e32 v25, 1
	s_xor_b64 exec, exec, s[44:45]
	s_cbranch_execnz .LBB2_3798
.LBB2_3353:                             ;   in Loop: Header=BB2_3120 Depth=3
	s_or_b64 exec, exec, s[44:45]
	s_and_saveexec_b64 s[44:45], s[42:43]
.LBB2_3354:                             ;   in Loop: Header=BB2_3120 Depth=3
	v_cndmask_b32_e64 v25, v1, v49, s[40:41]
.LBB2_3355:                             ;   in Loop: Header=BB2_3120 Depth=3
	s_or_b64 exec, exec, s[44:45]
	v_max_f32_e32 v1, v25, v25
	v_max_f32_e32 v3, v24, v24
	v_min_f32_e32 v24, v3, v1
.LBB2_3356:                             ;   in Loop: Header=BB2_3120 Depth=3
	v_and_b32_e32 v34, 0x7f800000, v24
	v_cmp_ne_u64_e32 vcc, s[90:91], v[34:35]
                                        ; implicit-def: $vgpr27
	s_and_saveexec_b64 s[40:41], vcc
	s_xor_b64 s[42:43], exec, s[40:41]
	s_cbranch_execz .LBB2_3370
; %bb.3357:                             ;   in Loop: Header=BB2_3120 Depth=3
	v_and_b32_e32 v34, 0x7fffffff, v24
	v_cmp_gt_u64_e32 vcc, s[92:93], v[34:35]
	v_and_b32_sdwa v1, v24, s59 dst_sel:DWORD dst_unused:UNUSED_PAD src0_sel:BYTE_3 src1_sel:DWORD
                                        ; implicit-def: $vgpr27
	s_and_saveexec_b64 s[40:41], vcc
	s_xor_b64 s[44:45], exec, s[40:41]
	s_cbranch_execz .LBB2_3367
; %bb.3358:                             ;   in Loop: Header=BB2_3120 Depth=3
	v_mov_b32_e32 v27, 0
	v_cmp_ne_u32_e32 vcc, 0, v24
	s_and_saveexec_b64 s[46:47], vcc
	s_cbranch_execz .LBB2_3366
; %bb.3359:                             ;   in Loop: Header=BB2_3120 Depth=3
	v_and_b32_e32 v3, 0x7fffff, v24
	v_bfe_u32 v24, v24, 23, 8
	v_cmp_gt_u32_e64 s[40:41], s56, v24
	v_sub_u32_e32 v4, 0x79, v24
	v_cmp_eq_u32_e32 vcc, 0, v24
	v_cndmask_b32_e64 v4, 0, v4, s[40:41]
	v_mov_b32_e32 v25, 0x78
	v_or_b32_e32 v27, 0x800000, v3
	v_cndmask_b32_e32 v25, v4, v25, vcc
	v_cndmask_b32_e32 v34, v27, v3, vcc
	v_add_u32_e32 v3, 20, v25
	v_lshlrev_b64 v[30:31], v3, -1
	v_add_u32_e32 v3, 19, v25
	v_lshlrev_b64 v[42:43], v3, 1
	v_lshrrev_b64 v[57:58], v25, v[34:35]
	v_bfi_b32 v31, v31, 0, 0
	v_bfi_b32 v30, v30, 0, v34
	v_cmp_eq_u64_e64 s[40:41], v[30:31], v[42:43]
	v_mov_b32_e32 v59, v58
	v_mov_b32_e32 v58, v57
	s_and_saveexec_b64 s[54:55], s[40:41]
; %bb.3360:                             ;   in Loop: Header=BB2_3120 Depth=3
	v_bfe_u32 v3, v57, 20, 1
	v_add_co_u32_e64 v3, s[40:41], v57, v3
	v_add_co_u32_e64 v58, s[40:41], -1, v3
; %bb.3361:                             ;   in Loop: Header=BB2_3120 Depth=3
	s_or_b64 exec, exec, s[54:55]
	v_add_u32_e32 v3, 0xffffff81, v24
	v_cndmask_b32_e32 v3, v3, v52, vcc
	v_lshrrev_b32_e32 v4, 23, v57
	v_add3_u32 v27, v25, v3, v4
	v_add_u32_e32 v25, 6, v27
	v_and_b32_e32 v3, 0xfffff, v58
	v_add_u32_e32 v34, v3, v57
	v_cmp_ne_u32_e32 vcc, 0, v25
                                        ; implicit-def: $vgpr57_vgpr58
                                        ; implicit-def: $vgpr24
	s_and_saveexec_b64 s[40:41], vcc
	s_xor_b64 s[40:41], exec, s[40:41]
; %bb.3362:                             ;   in Loop: Header=BB2_3120 Depth=3
	v_cmp_lt_u64_e32 vcc, s[94:95], v[34:35]
	v_add_u32_e32 v3, 7, v27
	v_cndmask_b32_e32 v24, v25, v3, vcc
	v_cndmask_b32_e64 v3, 0, 1, vcc
	v_lshrrev_b64 v[57:58], v3, v[34:35]
; %bb.3363:                             ;   in Loop: Header=BB2_3120 Depth=3
	s_andn2_saveexec_b64 s[40:41], s[40:41]
; %bb.3364:                             ;   in Loop: Header=BB2_3120 Depth=3
	v_mov_b32_e32 v58, v35
	v_bfe_u32 v24, v34, 23, 1
	v_mov_b32_e32 v57, v34
; %bb.3365:                             ;   in Loop: Header=BB2_3120 Depth=3
	s_or_b64 exec, exec, s[40:41]
	v_lshrrev_b64 v[30:31], 20, v[57:58]
	v_cmp_gt_i32_e32 vcc, 16, v24
	v_cndmask_b32_e32 v31, 0, v31, vcc
	v_cndmask_b32_e32 v30, 7, v30, vcc
	v_min_i32_e32 v3, 15, v24
	v_cmp_eq_u64_e64 s[40:41], 0, v[30:31]
	v_lshlrev_b32_e32 v3, 3, v3
	v_cmp_eq_u32_e32 vcc, 0, v24
	v_and_b32_e32 v3, 0xf8, v3
	v_and_or_b32 v3, v30, 7, v3
	s_and_b64 s[40:41], vcc, s[40:41]
	v_cndmask_b32_e64 v3, v3, 0, s[40:41]
	v_or_b32_e32 v27, v3, v1
.LBB2_3366:                             ;   in Loop: Header=BB2_3120 Depth=3
	s_or_b64 exec, exec, s[46:47]
                                        ; implicit-def: $vgpr1
.LBB2_3367:                             ;   in Loop: Header=BB2_3120 Depth=3
	s_andn2_saveexec_b64 s[40:41], s[44:45]
; %bb.3368:                             ;   in Loop: Header=BB2_3120 Depth=3
	v_or_b32_e32 v27, 0x7e, v1
; %bb.3369:                             ;   in Loop: Header=BB2_3120 Depth=3
	s_or_b64 exec, exec, s[40:41]
                                        ; implicit-def: $vgpr24
.LBB2_3370:                             ;   in Loop: Header=BB2_3120 Depth=3
	s_andn2_saveexec_b64 s[40:41], s[42:43]
; %bb.3371:                             ;   in Loop: Header=BB2_3120 Depth=3
	v_or_b32_sdwa v27, v24, s97 dst_sel:DWORD dst_unused:UNUSED_PAD src0_sel:BYTE_3 src1_sel:DWORD
; %bb.3372:                             ;   in Loop: Header=BB2_3120 Depth=3
	s_or_b64 exec, exec, s[40:41]
	v_bfe_u32 v1, v13, 16, 3
	v_bfe_u32 v3, v13, 16, 7
	v_cmp_eq_u32_e64 s[40:41], s97, v3
	v_cmp_gt_u32_e32 vcc, 8, v3
	v_ffbh_u32_e32 v3, v1
	v_min_u32_e32 v3, 32, v3
	v_lshrrev_b32_e32 v30, 16, v13
	v_subrev_u32_e32 v24, 28, v3
	v_lshlrev_b64 v[24:25], v24, v[30:31]
	v_bfe_u32 v4, v30, 3, 4
	v_sub_u32_e32 v3, 29, v3
	v_and_b32_e32 v24, 7, v24
	v_cndmask_b32_e32 v3, v4, v3, vcc
	v_cndmask_b32_e32 v1, v1, v24, vcc
	v_lshlrev_b32_e32 v4, 8, v13
	v_lshlrev_b32_e32 v1, 20, v1
	v_and_b32_e32 v4, 0x80000000, v4
	v_lshl_add_u32 v3, v3, 23, v48
	v_lshrrev_b32_e32 v34, 16, v9
	v_or3_b32 v1, v4, v3, v1
	v_cmp_ne_u16_sdwa s[42:43], v34, v35 src0_sel:BYTE_0 src1_sel:DWORD
	s_mov_b64 s[44:45], -1
	s_and_b64 vcc, exec, s[52:53]
                                        ; implicit-def: $vgpr24
	s_cbranch_vccz .LBB2_3386
; %bb.3373:                             ;   in Loop: Header=BB2_3120 Depth=3
	v_mov_b32_e32 v24, 0
	s_and_saveexec_b64 s[44:45], s[42:43]
	s_cbranch_execz .LBB2_3379
; %bb.3374:                             ;   in Loop: Header=BB2_3120 Depth=3
	v_cmp_ne_u16_sdwa vcc, v34, s59 src0_sel:BYTE_0 src1_sel:DWORD
	v_bfrev_b32_e32 v24, 1
	s_and_saveexec_b64 s[46:47], vcc
	s_cbranch_execz .LBB2_3378
; %bb.3375:                             ;   in Loop: Header=BB2_3120 Depth=3
	v_bfe_u32 v25, v9, 16, 7
	v_cmp_ne_u32_e32 vcc, s97, v25
	v_mov_b32_e32 v24, 0x7f800001
	s_and_saveexec_b64 s[54:55], vcc
	s_cbranch_execz .LBB2_3377
; %bb.3376:                             ;   in Loop: Header=BB2_3120 Depth=3
	v_and_b32_e32 v3, 7, v34
	v_ffbh_u32_e32 v24, v3
	v_min_u32_e32 v31, 32, v24
	v_subrev_u32_e32 v24, 28, v31
	v_lshrrev_b32_e32 v4, 3, v25
	v_cmp_gt_u32_e32 vcc, 8, v25
	v_lshlrev_b64 v[24:25], v24, v[34:35]
	v_sub_u32_e32 v25, 29, v31
	v_and_b32_e32 v24, 7, v24
	v_cndmask_b32_e32 v4, v4, v25, vcc
	v_cndmask_b32_e32 v3, v3, v24, vcc
	v_lshlrev_b32_e32 v24, 24, v34
	v_lshlrev_b32_e32 v3, 20, v3
	v_and_b32_e32 v24, 0x80000000, v24
	v_lshl_add_u32 v4, v4, 23, v48
	v_or3_b32 v24, v24, v4, v3
.LBB2_3377:                             ;   in Loop: Header=BB2_3120 Depth=3
	s_or_b64 exec, exec, s[54:55]
.LBB2_3378:                             ;   in Loop: Header=BB2_3120 Depth=3
	s_or_b64 exec, exec, s[46:47]
.LBB2_3379:                             ;   in Loop: Header=BB2_3120 Depth=3
	s_or_b64 exec, exec, s[44:45]
	v_cmp_gt_i16_sdwa s[46:47], v30, s97 src0_sel:BYTE_0 src1_sel:DWORD
	s_mov_b64 s[44:45], 0
	s_and_saveexec_b64 vcc, s[46:47]
	s_xor_b64 s[46:47], exec, vcc
	s_cbranch_execz .LBB2_3799
; %bb.3380:                             ;   in Loop: Header=BB2_3120 Depth=3
	v_cmp_eq_u16_sdwa s[54:55], v30, s59 src0_sel:BYTE_0 src1_sel:DWORD
	s_mov_b64 s[44:45], -1
	s_and_saveexec_b64 vcc, s[54:55]
; %bb.3381:                             ;   in Loop: Header=BB2_3120 Depth=3
	s_xor_b64 s[44:45], exec, -1
; %bb.3382:                             ;   in Loop: Header=BB2_3120 Depth=3
	s_or_b64 exec, exec, vcc
	s_and_b64 s[44:45], s[44:45], exec
	s_or_saveexec_b64 s[46:47], s[46:47]
	v_bfrev_b32_e32 v25, 1
	s_xor_b64 exec, exec, s[46:47]
	s_cbranch_execnz .LBB2_3800
.LBB2_3383:                             ;   in Loop: Header=BB2_3120 Depth=3
	s_or_b64 exec, exec, s[46:47]
	s_and_saveexec_b64 s[46:47], s[44:45]
.LBB2_3384:                             ;   in Loop: Header=BB2_3120 Depth=3
	v_cndmask_b32_e64 v25, v1, v49, s[40:41]
.LBB2_3385:                             ;   in Loop: Header=BB2_3120 Depth=3
	s_or_b64 exec, exec, s[46:47]
	v_max_f32_e32 v3, v25, v25
	v_max_f32_e32 v4, v24, v24
	;; [unrolled: 1-line block ×3, first 2 shown]
	s_mov_b64 s[44:45], 0
.LBB2_3386:                             ;   in Loop: Header=BB2_3120 Depth=3
	s_and_b64 vcc, exec, s[44:45]
	s_cbranch_vccz .LBB2_3400
; %bb.3387:                             ;   in Loop: Header=BB2_3120 Depth=3
	v_mov_b32_e32 v24, 0
	s_and_saveexec_b64 s[44:45], s[42:43]
	s_cbranch_execz .LBB2_3393
; %bb.3388:                             ;   in Loop: Header=BB2_3120 Depth=3
	v_cmp_ne_u16_sdwa s[46:47], v34, s59 src0_sel:BYTE_0 src1_sel:DWORD
	v_bfrev_b32_e32 v24, 1
	s_and_saveexec_b64 s[42:43], s[46:47]
	s_cbranch_execz .LBB2_3392
; %bb.3389:                             ;   in Loop: Header=BB2_3120 Depth=3
	v_bfe_u32 v25, v9, 16, 7
	v_cmp_ne_u32_e32 vcc, s97, v25
	v_mov_b32_e32 v24, 0x7f800001
	s_and_saveexec_b64 s[46:47], vcc
	s_cbranch_execz .LBB2_3391
; %bb.3390:                             ;   in Loop: Header=BB2_3120 Depth=3
	v_and_b32_e32 v3, 7, v34
	v_ffbh_u32_e32 v24, v3
	v_min_u32_e32 v31, 32, v24
	v_subrev_u32_e32 v24, 28, v31
	v_lshrrev_b32_e32 v4, 3, v25
	v_cmp_gt_u32_e32 vcc, 8, v25
	v_lshlrev_b64 v[24:25], v24, v[34:35]
	v_sub_u32_e32 v25, 29, v31
	v_and_b32_e32 v24, 7, v24
	v_cndmask_b32_e32 v4, v4, v25, vcc
	v_cndmask_b32_e32 v3, v3, v24, vcc
	v_lshlrev_b32_e32 v24, 24, v34
	v_lshlrev_b32_e32 v3, 20, v3
	v_and_b32_e32 v24, 0x80000000, v24
	v_lshl_add_u32 v4, v4, 23, v48
	v_or3_b32 v24, v24, v4, v3
.LBB2_3391:                             ;   in Loop: Header=BB2_3120 Depth=3
	s_or_b64 exec, exec, s[46:47]
.LBB2_3392:                             ;   in Loop: Header=BB2_3120 Depth=3
	s_or_b64 exec, exec, s[42:43]
.LBB2_3393:                             ;   in Loop: Header=BB2_3120 Depth=3
	s_or_b64 exec, exec, s[44:45]
	v_cmp_gt_i16_sdwa s[44:45], v30, s97 src0_sel:BYTE_0 src1_sel:DWORD
	s_mov_b64 s[42:43], 0
	s_and_saveexec_b64 s[46:47], s[44:45]
	s_xor_b64 s[44:45], exec, s[46:47]
	s_cbranch_execz .LBB2_3801
; %bb.3394:                             ;   in Loop: Header=BB2_3120 Depth=3
	v_cmp_eq_u16_sdwa vcc, v30, s59 src0_sel:BYTE_0 src1_sel:DWORD
	s_mov_b64 s[42:43], -1
	s_and_saveexec_b64 s[46:47], vcc
; %bb.3395:                             ;   in Loop: Header=BB2_3120 Depth=3
	s_xor_b64 s[42:43], exec, -1
; %bb.3396:                             ;   in Loop: Header=BB2_3120 Depth=3
	s_or_b64 exec, exec, s[46:47]
	s_and_b64 s[42:43], s[42:43], exec
                                        ; implicit-def: $vgpr30
	s_or_saveexec_b64 s[44:45], s[44:45]
	v_bfrev_b32_e32 v25, 1
	s_xor_b64 exec, exec, s[44:45]
	s_cbranch_execnz .LBB2_3802
.LBB2_3397:                             ;   in Loop: Header=BB2_3120 Depth=3
	s_or_b64 exec, exec, s[44:45]
	s_and_saveexec_b64 s[44:45], s[42:43]
.LBB2_3398:                             ;   in Loop: Header=BB2_3120 Depth=3
	v_cndmask_b32_e64 v25, v1, v49, s[40:41]
.LBB2_3399:                             ;   in Loop: Header=BB2_3120 Depth=3
	s_or_b64 exec, exec, s[44:45]
	v_max_f32_e32 v1, v25, v25
	v_max_f32_e32 v3, v24, v24
	v_min_f32_e32 v24, v3, v1
.LBB2_3400:                             ;   in Loop: Header=BB2_3120 Depth=3
	v_and_b32_e32 v34, 0x7f800000, v24
	v_cmp_ne_u64_e32 vcc, s[90:91], v[34:35]
                                        ; implicit-def: $vgpr31
	s_and_saveexec_b64 s[40:41], vcc
	s_xor_b64 s[42:43], exec, s[40:41]
	s_cbranch_execz .LBB2_3414
; %bb.3401:                             ;   in Loop: Header=BB2_3120 Depth=3
	v_and_b32_e32 v34, 0x7fffffff, v24
	v_cmp_gt_u64_e32 vcc, s[92:93], v[34:35]
	v_and_b32_sdwa v1, v24, s59 dst_sel:DWORD dst_unused:UNUSED_PAD src0_sel:BYTE_3 src1_sel:DWORD
                                        ; implicit-def: $vgpr31
	s_and_saveexec_b64 s[40:41], vcc
	s_xor_b64 s[44:45], exec, s[40:41]
	s_cbranch_execz .LBB2_3411
; %bb.3402:                             ;   in Loop: Header=BB2_3120 Depth=3
	v_mov_b32_e32 v31, 0
	v_cmp_ne_u32_e32 vcc, 0, v24
	s_and_saveexec_b64 s[46:47], vcc
	s_cbranch_execz .LBB2_3410
; %bb.3403:                             ;   in Loop: Header=BB2_3120 Depth=3
	v_and_b32_e32 v3, 0x7fffff, v24
	v_bfe_u32 v24, v24, 23, 8
	v_cmp_gt_u32_e64 s[40:41], s56, v24
	v_sub_u32_e32 v4, 0x79, v24
	v_cmp_eq_u32_e32 vcc, 0, v24
	v_cndmask_b32_e64 v4, 0, v4, s[40:41]
	v_mov_b32_e32 v25, 0x78
	v_or_b32_e32 v30, 0x800000, v3
	v_cndmask_b32_e32 v25, v4, v25, vcc
	v_cndmask_b32_e32 v34, v30, v3, vcc
	v_add_u32_e32 v3, 20, v25
	v_lshlrev_b64 v[30:31], v3, -1
	v_add_u32_e32 v3, 19, v25
	v_lshlrev_b64 v[42:43], v3, 1
	v_lshrrev_b64 v[57:58], v25, v[34:35]
	v_bfi_b32 v31, v31, 0, 0
	v_bfi_b32 v30, v30, 0, v34
	v_cmp_eq_u64_e64 s[40:41], v[30:31], v[42:43]
	v_mov_b32_e32 v59, v58
	v_mov_b32_e32 v58, v57
	s_and_saveexec_b64 s[54:55], s[40:41]
; %bb.3404:                             ;   in Loop: Header=BB2_3120 Depth=3
	v_bfe_u32 v3, v57, 20, 1
	v_add_co_u32_e64 v3, s[40:41], v57, v3
	v_add_co_u32_e64 v58, s[40:41], -1, v3
; %bb.3405:                             ;   in Loop: Header=BB2_3120 Depth=3
	s_or_b64 exec, exec, s[54:55]
	v_add_u32_e32 v3, 0xffffff81, v24
	v_cndmask_b32_e32 v3, v3, v52, vcc
	v_lshrrev_b32_e32 v4, 23, v57
	v_add3_u32 v30, v25, v3, v4
	v_add_u32_e32 v25, 6, v30
	v_and_b32_e32 v3, 0xfffff, v58
	v_add_u32_e32 v34, v3, v57
	v_cmp_ne_u32_e32 vcc, 0, v25
                                        ; implicit-def: $vgpr57_vgpr58
                                        ; implicit-def: $vgpr24
	s_and_saveexec_b64 s[40:41], vcc
	s_xor_b64 s[40:41], exec, s[40:41]
; %bb.3406:                             ;   in Loop: Header=BB2_3120 Depth=3
	v_cmp_lt_u64_e32 vcc, s[94:95], v[34:35]
	v_add_u32_e32 v3, 7, v30
	v_cndmask_b32_e32 v24, v25, v3, vcc
	v_cndmask_b32_e64 v3, 0, 1, vcc
	v_lshrrev_b64 v[57:58], v3, v[34:35]
; %bb.3407:                             ;   in Loop: Header=BB2_3120 Depth=3
	s_andn2_saveexec_b64 s[40:41], s[40:41]
; %bb.3408:                             ;   in Loop: Header=BB2_3120 Depth=3
	v_mov_b32_e32 v58, v35
	v_bfe_u32 v24, v34, 23, 1
	v_mov_b32_e32 v57, v34
; %bb.3409:                             ;   in Loop: Header=BB2_3120 Depth=3
	s_or_b64 exec, exec, s[40:41]
	v_lshrrev_b64 v[30:31], 20, v[57:58]
	v_cmp_gt_i32_e32 vcc, 16, v24
	v_cndmask_b32_e32 v31, 0, v31, vcc
	v_cndmask_b32_e32 v30, 7, v30, vcc
	v_min_i32_e32 v3, 15, v24
	v_cmp_eq_u64_e64 s[40:41], 0, v[30:31]
	v_lshlrev_b32_e32 v3, 3, v3
	v_cmp_eq_u32_e32 vcc, 0, v24
	v_and_b32_e32 v3, 0xf8, v3
	v_and_or_b32 v3, v30, 7, v3
	s_and_b64 s[40:41], vcc, s[40:41]
	v_cndmask_b32_e64 v3, v3, 0, s[40:41]
	v_or_b32_e32 v31, v3, v1
.LBB2_3410:                             ;   in Loop: Header=BB2_3120 Depth=3
	s_or_b64 exec, exec, s[46:47]
                                        ; implicit-def: $vgpr1
.LBB2_3411:                             ;   in Loop: Header=BB2_3120 Depth=3
	s_andn2_saveexec_b64 s[40:41], s[44:45]
; %bb.3412:                             ;   in Loop: Header=BB2_3120 Depth=3
	v_or_b32_e32 v31, 0x7e, v1
; %bb.3413:                             ;   in Loop: Header=BB2_3120 Depth=3
	s_or_b64 exec, exec, s[40:41]
                                        ; implicit-def: $vgpr24
.LBB2_3414:                             ;   in Loop: Header=BB2_3120 Depth=3
	s_andn2_saveexec_b64 s[40:41], s[42:43]
; %bb.3415:                             ;   in Loop: Header=BB2_3120 Depth=3
	v_or_b32_sdwa v31, v24, s97 dst_sel:DWORD dst_unused:UNUSED_PAD src0_sel:BYTE_3 src1_sel:DWORD
; %bb.3416:                             ;   in Loop: Header=BB2_3120 Depth=3
	s_or_b64 exec, exec, s[40:41]
	v_bfe_u32 v3, v13, 24, 3
	v_bfe_u32 v4, v13, 24, 7
	v_cmp_eq_u32_e64 s[44:45], s97, v4
	v_cmp_gt_u32_e32 vcc, 8, v4
	v_ffbh_u32_e32 v4, v3
	v_min_u32_e32 v4, 32, v4
	v_lshrrev_b32_e32 v1, 24, v13
	v_subrev_u32_e32 v24, 28, v4
	v_lshlrev_b64 v[24:25], v24, v[1:2]
	v_cmp_gt_u64_e64 s[40:41], s[60:61], v[12:13]
	v_bfe_u32 v12, v1, 3, 4
	v_cmp_eq_u32_e64 s[42:43], s59, v1
	v_sub_u32_e32 v1, 29, v4
	v_and_b32_e32 v4, 7, v24
	v_cndmask_b32_e32 v1, v12, v1, vcc
	v_cndmask_b32_e32 v3, v3, v4, vcc
	v_lshlrev_b32_e32 v3, 20, v3
	v_and_b32_e32 v4, 0x80000000, v13
	v_lshl_add_u32 v1, v1, 23, v48
	v_cmp_lt_u64_e64 s[46:47], s[62:63], v[8:9]
	v_lshrrev_b32_e32 v30, 24, v9
	v_or3_b32 v1, v4, v1, v3
	s_mov_b64 s[54:55], -1
	s_and_b64 vcc, exec, s[52:53]
                                        ; implicit-def: $vgpr8
	s_cbranch_vccz .LBB2_3424
; %bb.3417:                             ;   in Loop: Header=BB2_3120 Depth=3
	v_mov_b32_e32 v8, 0
	s_and_saveexec_b64 s[54:55], s[46:47]
	s_cbranch_execz .LBB2_3423
; %bb.3418:                             ;   in Loop: Header=BB2_3120 Depth=3
	v_cmp_ne_u32_e32 vcc, s59, v30
	v_bfrev_b32_e32 v8, 1
	s_and_saveexec_b64 s[64:65], vcc
	s_cbranch_execz .LBB2_3422
; %bb.3419:                             ;   in Loop: Header=BB2_3120 Depth=3
	v_bfe_u32 v12, v9, 24, 7
	v_cmp_ne_u32_e32 vcc, s97, v12
	v_mov_b32_e32 v8, 0x7f800001
	s_and_saveexec_b64 s[66:67], vcc
	s_cbranch_execz .LBB2_3421
; %bb.3420:                             ;   in Loop: Header=BB2_3120 Depth=3
	v_and_b32_e32 v3, 7, v30
	v_ffbh_u32_e32 v8, v3
	v_min_u32_e32 v8, 32, v8
	v_lshrrev_b32_e32 v4, 3, v12
	v_cmp_gt_u32_e32 vcc, 8, v12
	v_subrev_u32_e32 v12, 28, v8
	v_lshlrev_b64 v[12:13], v12, v[30:31]
	v_sub_u32_e32 v8, 29, v8
	v_and_b32_e32 v12, 7, v12
	v_cndmask_b32_e32 v4, v4, v8, vcc
	v_cndmask_b32_e32 v3, v3, v12, vcc
	v_lshlrev_b32_e32 v8, 24, v30
	v_lshlrev_b32_e32 v3, 20, v3
	v_and_b32_e32 v8, 0x80000000, v8
	v_lshl_add_u32 v4, v4, 23, v48
	v_or3_b32 v8, v8, v4, v3
.LBB2_3421:                             ;   in Loop: Header=BB2_3120 Depth=3
	s_or_b64 exec, exec, s[66:67]
.LBB2_3422:                             ;   in Loop: Header=BB2_3120 Depth=3
	s_or_b64 exec, exec, s[64:65]
.LBB2_3423:                             ;   in Loop: Header=BB2_3120 Depth=3
	s_or_b64 exec, exec, s[54:55]
	v_cndmask_b32_e64 v3, v1, v49, s[44:45]
	v_cndmask_b32_e64 v3, v3, v0, s[42:43]
	;; [unrolled: 1-line block ×3, first 2 shown]
	v_max_f32_e32 v3, v3, v3
	v_max_f32_e32 v4, v8, v8
	;; [unrolled: 1-line block ×3, first 2 shown]
	s_mov_b64 s[54:55], 0
.LBB2_3424:                             ;   in Loop: Header=BB2_3120 Depth=3
	s_and_b64 vcc, exec, s[54:55]
	s_cbranch_vccz .LBB2_3432
; %bb.3425:                             ;   in Loop: Header=BB2_3120 Depth=3
	v_mov_b32_e32 v8, 0
	s_and_saveexec_b64 s[54:55], s[46:47]
	s_cbranch_execz .LBB2_3431
; %bb.3426:                             ;   in Loop: Header=BB2_3120 Depth=3
	v_cmp_ne_u32_e32 vcc, s59, v30
	v_bfrev_b32_e32 v8, 1
	s_and_saveexec_b64 s[46:47], vcc
	s_cbranch_execz .LBB2_3430
; %bb.3427:                             ;   in Loop: Header=BB2_3120 Depth=3
	v_bfe_u32 v9, v9, 24, 7
	v_cmp_ne_u32_e32 vcc, s97, v9
	v_mov_b32_e32 v8, 0x7f800001
	s_and_saveexec_b64 s[64:65], vcc
	s_cbranch_execz .LBB2_3429
; %bb.3428:                             ;   in Loop: Header=BB2_3120 Depth=3
	v_and_b32_e32 v3, 7, v30
	v_ffbh_u32_e32 v8, v3
	v_min_u32_e32 v12, 32, v8
	v_subrev_u32_e32 v8, 28, v12
	v_lshrrev_b32_e32 v4, 3, v9
	v_cmp_gt_u32_e32 vcc, 8, v9
	v_lshlrev_b64 v[8:9], v8, v[30:31]
	v_sub_u32_e32 v9, 29, v12
	v_and_b32_e32 v8, 7, v8
	v_cndmask_b32_e32 v4, v4, v9, vcc
	v_cndmask_b32_e32 v3, v3, v8, vcc
	v_lshlrev_b32_e32 v8, 24, v30
	v_lshlrev_b32_e32 v3, 20, v3
	v_and_b32_e32 v8, 0x80000000, v8
	v_lshl_add_u32 v4, v4, 23, v48
	v_or3_b32 v8, v8, v4, v3
.LBB2_3429:                             ;   in Loop: Header=BB2_3120 Depth=3
	s_or_b64 exec, exec, s[64:65]
.LBB2_3430:                             ;   in Loop: Header=BB2_3120 Depth=3
	s_or_b64 exec, exec, s[46:47]
.LBB2_3431:                             ;   in Loop: Header=BB2_3120 Depth=3
	s_or_b64 exec, exec, s[54:55]
	v_cndmask_b32_e64 v1, v1, v49, s[44:45]
	v_cndmask_b32_e64 v1, v1, v0, s[42:43]
	;; [unrolled: 1-line block ×3, first 2 shown]
	v_max_f32_e32 v1, v1, v1
	v_max_f32_e32 v3, v8, v8
	v_min_f32_e32 v8, v3, v1
.LBB2_3432:                             ;   in Loop: Header=BB2_3120 Depth=3
	v_and_b32_e32 v34, 0x7f800000, v8
	v_cmp_ne_u64_e32 vcc, s[90:91], v[34:35]
                                        ; implicit-def: $vgpr30
	s_and_saveexec_b64 s[40:41], vcc
	s_xor_b64 s[42:43], exec, s[40:41]
	s_cbranch_execz .LBB2_3446
; %bb.3433:                             ;   in Loop: Header=BB2_3120 Depth=3
	v_and_b32_e32 v34, 0x7fffffff, v8
	v_cmp_gt_u64_e32 vcc, s[92:93], v[34:35]
	v_and_b32_sdwa v1, v8, s59 dst_sel:DWORD dst_unused:UNUSED_PAD src0_sel:BYTE_3 src1_sel:DWORD
                                        ; implicit-def: $vgpr30
	s_and_saveexec_b64 s[40:41], vcc
	s_xor_b64 s[44:45], exec, s[40:41]
	s_cbranch_execz .LBB2_3443
; %bb.3434:                             ;   in Loop: Header=BB2_3120 Depth=3
	v_mov_b32_e32 v30, 0
	v_cmp_ne_u32_e32 vcc, 0, v8
	s_and_saveexec_b64 s[46:47], vcc
	s_cbranch_execz .LBB2_3442
; %bb.3435:                             ;   in Loop: Header=BB2_3120 Depth=3
	v_bfe_u32 v24, v8, 23, 8
	v_cmp_gt_u32_e64 s[40:41], s56, v24
	v_sub_u32_e32 v4, 0x79, v24
	v_and_b32_e32 v3, 0x7fffff, v8
	v_cmp_eq_u32_e32 vcc, 0, v24
	v_cndmask_b32_e64 v4, 0, v4, s[40:41]
	v_mov_b32_e32 v9, 0x78
	v_or_b32_e32 v8, 0x800000, v3
	v_cndmask_b32_e32 v25, v4, v9, vcc
	v_cndmask_b32_e32 v34, v8, v3, vcc
	v_add_u32_e32 v3, 20, v25
	v_lshlrev_b64 v[8:9], v3, -1
	v_add_u32_e32 v3, 19, v25
	v_lshlrev_b64 v[12:13], v3, 1
	v_bfi_b32 v9, v9, 0, 0
	v_bfi_b32 v8, v8, 0, v34
	v_cmp_eq_u64_e64 s[40:41], v[8:9], v[12:13]
	v_lshrrev_b64 v[8:9], v25, v[34:35]
	v_mov_b32_e32 v13, v9
	v_mov_b32_e32 v12, v8
	s_and_saveexec_b64 s[54:55], s[40:41]
; %bb.3436:                             ;   in Loop: Header=BB2_3120 Depth=3
	v_bfe_u32 v3, v8, 20, 1
	v_add_co_u32_e64 v3, s[40:41], v8, v3
	v_add_co_u32_e64 v12, s[40:41], -1, v3
; %bb.3437:                             ;   in Loop: Header=BB2_3120 Depth=3
	s_or_b64 exec, exec, s[54:55]
	v_add_u32_e32 v3, 0xffffff81, v24
	v_cndmask_b32_e32 v3, v3, v52, vcc
	v_lshrrev_b32_e32 v4, 23, v8
	v_add3_u32 v24, v25, v3, v4
	v_add_u32_e32 v13, 6, v24
	v_and_b32_e32 v3, 0xfffff, v12
	v_add_u32_e32 v34, v3, v8
	v_cmp_ne_u32_e32 vcc, 0, v13
                                        ; implicit-def: $vgpr8_vgpr9
                                        ; implicit-def: $vgpr12
	s_and_saveexec_b64 s[40:41], vcc
	s_xor_b64 s[40:41], exec, s[40:41]
; %bb.3438:                             ;   in Loop: Header=BB2_3120 Depth=3
	v_cmp_lt_u64_e32 vcc, s[94:95], v[34:35]
	v_add_u32_e32 v3, 7, v24
	v_cndmask_b32_e32 v12, v13, v3, vcc
	v_cndmask_b32_e64 v3, 0, 1, vcc
	v_lshrrev_b64 v[8:9], v3, v[34:35]
; %bb.3439:                             ;   in Loop: Header=BB2_3120 Depth=3
	s_andn2_saveexec_b64 s[40:41], s[40:41]
; %bb.3440:                             ;   in Loop: Header=BB2_3120 Depth=3
	v_mov_b32_e32 v8, v34
	v_bfe_u32 v12, v34, 23, 1
	v_mov_b32_e32 v9, v35
; %bb.3441:                             ;   in Loop: Header=BB2_3120 Depth=3
	s_or_b64 exec, exec, s[40:41]
	v_lshrrev_b64 v[8:9], 20, v[8:9]
	v_cmp_gt_i32_e32 vcc, 16, v12
	v_cndmask_b32_e32 v9, 0, v9, vcc
	v_cndmask_b32_e32 v8, 7, v8, vcc
	v_min_i32_e32 v3, 15, v12
	v_cmp_eq_u64_e64 s[40:41], 0, v[8:9]
	v_lshlrev_b32_e32 v3, 3, v3
	v_cmp_eq_u32_e32 vcc, 0, v12
	v_and_b32_e32 v3, 0xf8, v3
	v_and_or_b32 v3, v8, 7, v3
	s_and_b64 s[40:41], vcc, s[40:41]
	v_cndmask_b32_e64 v3, v3, 0, s[40:41]
	v_or_b32_e32 v30, v3, v1
.LBB2_3442:                             ;   in Loop: Header=BB2_3120 Depth=3
	s_or_b64 exec, exec, s[46:47]
                                        ; implicit-def: $vgpr1
.LBB2_3443:                             ;   in Loop: Header=BB2_3120 Depth=3
	s_andn2_saveexec_b64 s[40:41], s[44:45]
; %bb.3444:                             ;   in Loop: Header=BB2_3120 Depth=3
	v_or_b32_e32 v30, 0x7e, v1
; %bb.3445:                             ;   in Loop: Header=BB2_3120 Depth=3
	s_or_b64 exec, exec, s[40:41]
                                        ; implicit-def: $vgpr8
.LBB2_3446:                             ;   in Loop: Header=BB2_3120 Depth=3
	s_andn2_saveexec_b64 s[40:41], s[42:43]
; %bb.3447:                             ;   in Loop: Header=BB2_3120 Depth=3
	v_or_b32_sdwa v30, v8, s97 dst_sel:DWORD dst_unused:UNUSED_PAD src0_sel:BYTE_3 src1_sel:DWORD
; %bb.3448:                             ;   in Loop: Header=BB2_3120 Depth=3
	s_or_b64 exec, exec, s[40:41]
	v_and_b32_e32 v1, 7, v14
	v_ffbh_u32_e32 v1, v1
	v_and_b32_e32 v3, 0x7f, v14
	v_min_u32_e32 v1, 32, v1
	v_cmp_eq_u32_e64 s[40:41], s97, v3
	v_cmp_gt_u32_e32 vcc, 8, v3
	v_subrev_u32_e32 v3, 28, v1
	v_cndmask_b32_e32 v3, 0, v3, vcc
	v_lshlrev_b64 v[8:9], v3, v[14:15]
	v_bfe_u32 v4, v14, 3, 4
	v_sub_u32_e32 v1, 29, v1
	v_cndmask_b32_e32 v1, v4, v1, vcc
	v_lshlrev_b32_e32 v3, 20, v8
	v_lshlrev_b32_e32 v4, 24, v14
	v_and_b32_e32 v3, 0x700000, v3
	v_and_b32_e32 v4, 0x80000000, v4
	v_lshl_add_u32 v1, v1, 23, v48
	v_or3_b32 v1, v4, v1, v3
	v_cmp_ne_u16_sdwa s[42:43], v10, v35 src0_sel:BYTE_0 src1_sel:DWORD
	s_mov_b64 s[44:45], -1
	s_and_b64 vcc, exec, s[52:53]
                                        ; implicit-def: $vgpr8
	s_cbranch_vccz .LBB2_3462
; %bb.3449:                             ;   in Loop: Header=BB2_3120 Depth=3
	v_mov_b32_e32 v8, 0
	s_and_saveexec_b64 s[44:45], s[42:43]
	s_cbranch_execz .LBB2_3455
; %bb.3450:                             ;   in Loop: Header=BB2_3120 Depth=3
	v_cmp_ne_u16_sdwa vcc, v10, s59 src0_sel:BYTE_0 src1_sel:DWORD
	v_bfrev_b32_e32 v8, 1
	s_and_saveexec_b64 s[46:47], vcc
	s_cbranch_execz .LBB2_3454
; %bb.3451:                             ;   in Loop: Header=BB2_3120 Depth=3
	v_and_b32_e32 v9, 0x7f, v10
	v_cmp_ne_u32_e32 vcc, s97, v9
	v_mov_b32_e32 v8, 0x7f800001
	s_and_saveexec_b64 s[54:55], vcc
	s_cbranch_execz .LBB2_3453
; %bb.3452:                             ;   in Loop: Header=BB2_3120 Depth=3
	v_and_b32_e32 v3, 7, v10
	v_ffbh_u32_e32 v3, v3
	v_min_u32_e32 v3, 32, v3
	v_lshrrev_b32_e32 v4, 3, v9
	v_cmp_gt_u32_e32 vcc, 8, v9
	v_subrev_u32_e32 v8, 28, v3
	v_sub_u32_e32 v3, 29, v3
	v_cndmask_b32_e32 v3, v4, v3, vcc
	v_cndmask_b32_e32 v4, 0, v8, vcc
	v_lshlrev_b64 v[8:9], v4, v[10:11]
	v_lshl_add_u32 v3, v3, 23, v48
	v_lshlrev_b32_e32 v4, 20, v8
	v_lshlrev_b32_e32 v8, 24, v10
	v_and_b32_e32 v4, 0x700000, v4
	v_and_b32_e32 v8, 0x80000000, v8
	v_or3_b32 v8, v8, v3, v4
.LBB2_3453:                             ;   in Loop: Header=BB2_3120 Depth=3
	s_or_b64 exec, exec, s[54:55]
.LBB2_3454:                             ;   in Loop: Header=BB2_3120 Depth=3
	s_or_b64 exec, exec, s[46:47]
.LBB2_3455:                             ;   in Loop: Header=BB2_3120 Depth=3
	s_or_b64 exec, exec, s[44:45]
	v_cmp_gt_i16_sdwa s[46:47], v14, s97 src0_sel:BYTE_0 src1_sel:DWORD
	s_mov_b64 s[44:45], 0
	s_and_saveexec_b64 vcc, s[46:47]
	s_xor_b64 s[46:47], exec, vcc
	s_cbranch_execz .LBB2_3803
; %bb.3456:                             ;   in Loop: Header=BB2_3120 Depth=3
	v_cmp_eq_u16_sdwa s[54:55], v14, s59 src0_sel:BYTE_0 src1_sel:DWORD
	s_mov_b64 s[44:45], -1
	s_and_saveexec_b64 vcc, s[54:55]
; %bb.3457:                             ;   in Loop: Header=BB2_3120 Depth=3
	s_xor_b64 s[44:45], exec, -1
; %bb.3458:                             ;   in Loop: Header=BB2_3120 Depth=3
	s_or_b64 exec, exec, vcc
	s_and_b64 s[44:45], s[44:45], exec
	s_or_saveexec_b64 s[46:47], s[46:47]
	v_bfrev_b32_e32 v9, 1
	s_xor_b64 exec, exec, s[46:47]
	s_cbranch_execnz .LBB2_3804
.LBB2_3459:                             ;   in Loop: Header=BB2_3120 Depth=3
	s_or_b64 exec, exec, s[46:47]
	s_and_saveexec_b64 s[46:47], s[44:45]
.LBB2_3460:                             ;   in Loop: Header=BB2_3120 Depth=3
	v_cndmask_b32_e64 v9, v1, v49, s[40:41]
.LBB2_3461:                             ;   in Loop: Header=BB2_3120 Depth=3
	s_or_b64 exec, exec, s[46:47]
	v_max_f32_e32 v3, v9, v9
	v_max_f32_e32 v4, v8, v8
	;; [unrolled: 1-line block ×3, first 2 shown]
	s_mov_b64 s[44:45], 0
.LBB2_3462:                             ;   in Loop: Header=BB2_3120 Depth=3
	s_and_b64 vcc, exec, s[44:45]
	s_cbranch_vccz .LBB2_3476
; %bb.3463:                             ;   in Loop: Header=BB2_3120 Depth=3
	v_mov_b32_e32 v8, 0
	s_and_saveexec_b64 s[44:45], s[42:43]
	s_cbranch_execz .LBB2_3469
; %bb.3464:                             ;   in Loop: Header=BB2_3120 Depth=3
	v_cmp_ne_u16_sdwa s[46:47], v10, s59 src0_sel:BYTE_0 src1_sel:DWORD
	v_bfrev_b32_e32 v8, 1
	s_and_saveexec_b64 s[42:43], s[46:47]
	s_cbranch_execz .LBB2_3468
; %bb.3465:                             ;   in Loop: Header=BB2_3120 Depth=3
	v_and_b32_e32 v9, 0x7f, v10
	v_cmp_ne_u32_e32 vcc, s97, v9
	v_mov_b32_e32 v8, 0x7f800001
	s_and_saveexec_b64 s[46:47], vcc
	s_cbranch_execz .LBB2_3467
; %bb.3466:                             ;   in Loop: Header=BB2_3120 Depth=3
	v_and_b32_e32 v3, 7, v10
	v_ffbh_u32_e32 v3, v3
	v_min_u32_e32 v3, 32, v3
	v_lshrrev_b32_e32 v4, 3, v9
	v_cmp_gt_u32_e32 vcc, 8, v9
	v_subrev_u32_e32 v8, 28, v3
	v_sub_u32_e32 v3, 29, v3
	v_cndmask_b32_e32 v3, v4, v3, vcc
	v_cndmask_b32_e32 v4, 0, v8, vcc
	v_lshlrev_b64 v[8:9], v4, v[10:11]
	v_lshl_add_u32 v3, v3, 23, v48
	v_lshlrev_b32_e32 v4, 20, v8
	v_lshlrev_b32_e32 v8, 24, v10
	v_and_b32_e32 v4, 0x700000, v4
	v_and_b32_e32 v8, 0x80000000, v8
	v_or3_b32 v8, v8, v3, v4
.LBB2_3467:                             ;   in Loop: Header=BB2_3120 Depth=3
	s_or_b64 exec, exec, s[46:47]
.LBB2_3468:                             ;   in Loop: Header=BB2_3120 Depth=3
	s_or_b64 exec, exec, s[42:43]
.LBB2_3469:                             ;   in Loop: Header=BB2_3120 Depth=3
	s_or_b64 exec, exec, s[44:45]
	v_cmp_gt_i16_sdwa s[44:45], v14, s97 src0_sel:BYTE_0 src1_sel:DWORD
	s_mov_b64 s[42:43], 0
	s_and_saveexec_b64 s[46:47], s[44:45]
	s_xor_b64 s[44:45], exec, s[46:47]
	s_cbranch_execz .LBB2_3805
; %bb.3470:                             ;   in Loop: Header=BB2_3120 Depth=3
	v_cmp_eq_u16_sdwa vcc, v14, s59 src0_sel:BYTE_0 src1_sel:DWORD
	s_mov_b64 s[42:43], -1
	s_and_saveexec_b64 s[46:47], vcc
; %bb.3471:                             ;   in Loop: Header=BB2_3120 Depth=3
	s_xor_b64 s[42:43], exec, -1
; %bb.3472:                             ;   in Loop: Header=BB2_3120 Depth=3
	s_or_b64 exec, exec, s[46:47]
	s_and_b64 s[42:43], s[42:43], exec
	s_or_saveexec_b64 s[44:45], s[44:45]
	v_bfrev_b32_e32 v9, 1
	s_xor_b64 exec, exec, s[44:45]
	s_cbranch_execnz .LBB2_3806
.LBB2_3473:                             ;   in Loop: Header=BB2_3120 Depth=3
	s_or_b64 exec, exec, s[44:45]
	s_and_saveexec_b64 s[44:45], s[42:43]
.LBB2_3474:                             ;   in Loop: Header=BB2_3120 Depth=3
	v_cndmask_b32_e64 v9, v1, v49, s[40:41]
.LBB2_3475:                             ;   in Loop: Header=BB2_3120 Depth=3
	s_or_b64 exec, exec, s[44:45]
	v_max_f32_e32 v1, v9, v9
	v_max_f32_e32 v3, v8, v8
	v_min_f32_e32 v8, v3, v1
.LBB2_3476:                             ;   in Loop: Header=BB2_3120 Depth=3
	v_and_b32_e32 v34, 0x7f800000, v8
	v_cmp_ne_u64_e32 vcc, s[90:91], v[34:35]
                                        ; implicit-def: $vgpr36
	s_and_saveexec_b64 s[40:41], vcc
	s_xor_b64 s[42:43], exec, s[40:41]
	s_cbranch_execz .LBB2_3490
; %bb.3477:                             ;   in Loop: Header=BB2_3120 Depth=3
	v_and_b32_e32 v34, 0x7fffffff, v8
	v_cmp_gt_u64_e32 vcc, s[92:93], v[34:35]
	v_and_b32_sdwa v1, v8, s59 dst_sel:DWORD dst_unused:UNUSED_PAD src0_sel:BYTE_3 src1_sel:DWORD
                                        ; implicit-def: $vgpr36
	s_and_saveexec_b64 s[40:41], vcc
	s_xor_b64 s[44:45], exec, s[40:41]
	s_cbranch_execz .LBB2_3487
; %bb.3478:                             ;   in Loop: Header=BB2_3120 Depth=3
	v_mov_b32_e32 v36, 0
	v_cmp_ne_u32_e32 vcc, 0, v8
	s_and_saveexec_b64 s[46:47], vcc
	s_cbranch_execz .LBB2_3486
; %bb.3479:                             ;   in Loop: Header=BB2_3120 Depth=3
	v_bfe_u32 v24, v8, 23, 8
	v_cmp_gt_u32_e64 s[40:41], s56, v24
	v_sub_u32_e32 v4, 0x79, v24
	v_and_b32_e32 v3, 0x7fffff, v8
	v_cmp_eq_u32_e32 vcc, 0, v24
	v_cndmask_b32_e64 v4, 0, v4, s[40:41]
	v_mov_b32_e32 v9, 0x78
	v_or_b32_e32 v8, 0x800000, v3
	v_cndmask_b32_e32 v25, v4, v9, vcc
	v_cndmask_b32_e32 v34, v8, v3, vcc
	v_add_u32_e32 v3, 20, v25
	v_lshlrev_b64 v[8:9], v3, -1
	v_add_u32_e32 v3, 19, v25
	v_lshlrev_b64 v[12:13], v3, 1
	v_bfi_b32 v9, v9, 0, 0
	v_bfi_b32 v8, v8, 0, v34
	v_cmp_eq_u64_e64 s[40:41], v[8:9], v[12:13]
	v_lshrrev_b64 v[8:9], v25, v[34:35]
	v_mov_b32_e32 v13, v9
	v_mov_b32_e32 v12, v8
	s_and_saveexec_b64 s[54:55], s[40:41]
; %bb.3480:                             ;   in Loop: Header=BB2_3120 Depth=3
	v_bfe_u32 v3, v8, 20, 1
	v_add_co_u32_e64 v3, s[40:41], v8, v3
	v_add_co_u32_e64 v12, s[40:41], -1, v3
; %bb.3481:                             ;   in Loop: Header=BB2_3120 Depth=3
	s_or_b64 exec, exec, s[54:55]
	v_add_u32_e32 v3, 0xffffff81, v24
	v_cndmask_b32_e32 v3, v3, v52, vcc
	v_lshrrev_b32_e32 v4, 23, v8
	v_add3_u32 v24, v25, v3, v4
	v_add_u32_e32 v13, 6, v24
	v_and_b32_e32 v3, 0xfffff, v12
	v_add_u32_e32 v34, v3, v8
	v_cmp_ne_u32_e32 vcc, 0, v13
                                        ; implicit-def: $vgpr8_vgpr9
                                        ; implicit-def: $vgpr12
	s_and_saveexec_b64 s[40:41], vcc
	s_xor_b64 s[40:41], exec, s[40:41]
; %bb.3482:                             ;   in Loop: Header=BB2_3120 Depth=3
	v_cmp_lt_u64_e32 vcc, s[94:95], v[34:35]
	v_add_u32_e32 v3, 7, v24
	v_cndmask_b32_e32 v12, v13, v3, vcc
	v_cndmask_b32_e64 v3, 0, 1, vcc
	v_lshrrev_b64 v[8:9], v3, v[34:35]
; %bb.3483:                             ;   in Loop: Header=BB2_3120 Depth=3
	s_andn2_saveexec_b64 s[40:41], s[40:41]
; %bb.3484:                             ;   in Loop: Header=BB2_3120 Depth=3
	v_mov_b32_e32 v8, v34
	v_bfe_u32 v12, v34, 23, 1
	v_mov_b32_e32 v9, v35
; %bb.3485:                             ;   in Loop: Header=BB2_3120 Depth=3
	s_or_b64 exec, exec, s[40:41]
	v_lshrrev_b64 v[8:9], 20, v[8:9]
	v_cmp_gt_i32_e32 vcc, 16, v12
	v_cndmask_b32_e32 v9, 0, v9, vcc
	v_cndmask_b32_e32 v8, 7, v8, vcc
	v_min_i32_e32 v3, 15, v12
	v_cmp_eq_u64_e64 s[40:41], 0, v[8:9]
	v_lshlrev_b32_e32 v3, 3, v3
	v_cmp_eq_u32_e32 vcc, 0, v12
	v_and_b32_e32 v3, 0xf8, v3
	v_and_or_b32 v3, v8, 7, v3
	s_and_b64 s[40:41], vcc, s[40:41]
	v_cndmask_b32_e64 v3, v3, 0, s[40:41]
	v_or_b32_e32 v36, v3, v1
.LBB2_3486:                             ;   in Loop: Header=BB2_3120 Depth=3
	s_or_b64 exec, exec, s[46:47]
                                        ; implicit-def: $vgpr1
.LBB2_3487:                             ;   in Loop: Header=BB2_3120 Depth=3
	s_andn2_saveexec_b64 s[40:41], s[44:45]
; %bb.3488:                             ;   in Loop: Header=BB2_3120 Depth=3
	v_or_b32_e32 v36, 0x7e, v1
; %bb.3489:                             ;   in Loop: Header=BB2_3120 Depth=3
	s_or_b64 exec, exec, s[40:41]
                                        ; implicit-def: $vgpr8
.LBB2_3490:                             ;   in Loop: Header=BB2_3120 Depth=3
	s_andn2_saveexec_b64 s[40:41], s[42:43]
; %bb.3491:                             ;   in Loop: Header=BB2_3120 Depth=3
	v_or_b32_sdwa v36, v8, s97 dst_sel:DWORD dst_unused:UNUSED_PAD src0_sel:BYTE_3 src1_sel:DWORD
; %bb.3492:                             ;   in Loop: Header=BB2_3120 Depth=3
	s_or_b64 exec, exec, s[40:41]
	v_lshrrev_b16_e32 v34, 8, v14
	v_and_b32_e32 v1, 7, v34
	v_and_b32_e32 v3, 0x7f, v34
	v_cmp_eq_u32_e64 s[40:41], s97, v3
	v_cmp_gt_u32_e32 vcc, 8, v3
	v_ffbh_u32_e32 v3, v1
	v_min_u32_e32 v3, 32, v3
	v_subrev_u32_e32 v9, 28, v3
	v_lshlrev_b64 v[12:13], v9, v[34:35]
	v_bfe_u32 v4, v34, 3, 4
	v_sub_u32_e32 v3, 29, v3
	v_and_b32_e32 v9, 7, v12
	v_cndmask_b32_e32 v3, v4, v3, vcc
	v_cndmask_b32_e32 v1, v1, v9, vcc
	v_lshlrev_b32_e32 v4, 24, v34
	v_lshrrev_b16_e32 v8, 8, v10
	v_lshlrev_b32_e32 v1, 20, v1
	v_and_b32_e32 v4, 0x80000000, v4
	v_lshl_add_u32 v3, v3, 23, v48
	v_or3_b32 v1, v4, v3, v1
	v_cmp_ne_u16_e64 s[42:43], 0, v8
	s_mov_b64 s[44:45], -1
	s_and_b64 vcc, exec, s[52:53]
                                        ; implicit-def: $vgpr9
	s_cbranch_vccz .LBB2_3506
; %bb.3493:                             ;   in Loop: Header=BB2_3120 Depth=3
	v_mov_b32_e32 v9, 0
	s_and_saveexec_b64 s[44:45], s[42:43]
	s_cbranch_execz .LBB2_3499
; %bb.3494:                             ;   in Loop: Header=BB2_3120 Depth=3
	v_cmp_ne_u16_e32 vcc, s59, v8
	v_bfrev_b32_e32 v9, 1
	s_and_saveexec_b64 s[46:47], vcc
	s_cbranch_execz .LBB2_3498
; %bb.3495:                             ;   in Loop: Header=BB2_3120 Depth=3
	v_and_b32_e32 v12, 0x7f, v8
	v_cmp_ne_u32_e32 vcc, s97, v12
	v_mov_b32_e32 v9, 0x7f800001
	s_and_saveexec_b64 s[54:55], vcc
	s_cbranch_execz .LBB2_3497
; %bb.3496:                             ;   in Loop: Header=BB2_3120 Depth=3
	v_and_b32_e32 v3, 7, v8
	v_ffbh_u32_e32 v9, v3
	v_min_u32_e32 v9, 32, v9
	v_lshrrev_b32_e32 v4, 3, v12
	v_cmp_gt_u32_e32 vcc, 8, v12
	v_subrev_u32_e32 v12, 28, v9
	v_lshlrev_b64 v[12:13], v12, v[8:9]
	v_sub_u32_e32 v9, 29, v9
	v_and_b32_e32 v12, 7, v12
	v_cndmask_b32_e32 v4, v4, v9, vcc
	v_cndmask_b32_e32 v3, v3, v12, vcc
	v_lshlrev_b32_e32 v9, 16, v10
	v_lshlrev_b32_e32 v3, 20, v3
	v_and_b32_e32 v9, 0x80000000, v9
	v_lshl_add_u32 v4, v4, 23, v48
	v_or3_b32 v9, v9, v4, v3
.LBB2_3497:                             ;   in Loop: Header=BB2_3120 Depth=3
	s_or_b64 exec, exec, s[54:55]
.LBB2_3498:                             ;   in Loop: Header=BB2_3120 Depth=3
	s_or_b64 exec, exec, s[46:47]
.LBB2_3499:                             ;   in Loop: Header=BB2_3120 Depth=3
	s_or_b64 exec, exec, s[44:45]
	v_cmp_lt_i16_e32 vcc, s97, v34
	s_mov_b64 s[44:45], 0
	s_and_saveexec_b64 s[46:47], vcc
	s_xor_b64 s[46:47], exec, s[46:47]
	s_cbranch_execz .LBB2_3807
; %bb.3500:                             ;   in Loop: Header=BB2_3120 Depth=3
	v_cmp_eq_u16_e32 vcc, s59, v34
	s_mov_b64 s[44:45], -1
	s_and_saveexec_b64 s[54:55], vcc
; %bb.3501:                             ;   in Loop: Header=BB2_3120 Depth=3
	s_xor_b64 s[44:45], exec, -1
; %bb.3502:                             ;   in Loop: Header=BB2_3120 Depth=3
	s_or_b64 exec, exec, s[54:55]
	s_and_b64 s[44:45], s[44:45], exec
	s_or_saveexec_b64 s[46:47], s[46:47]
	v_bfrev_b32_e32 v12, 1
	s_xor_b64 exec, exec, s[46:47]
	s_cbranch_execnz .LBB2_3808
.LBB2_3503:                             ;   in Loop: Header=BB2_3120 Depth=3
	s_or_b64 exec, exec, s[46:47]
	s_and_saveexec_b64 s[46:47], s[44:45]
.LBB2_3504:                             ;   in Loop: Header=BB2_3120 Depth=3
	v_cndmask_b32_e64 v12, v1, v49, s[40:41]
.LBB2_3505:                             ;   in Loop: Header=BB2_3120 Depth=3
	s_or_b64 exec, exec, s[46:47]
	v_max_f32_e32 v3, v12, v12
	v_max_f32_e32 v4, v9, v9
	;; [unrolled: 1-line block ×3, first 2 shown]
	s_mov_b64 s[44:45], 0
.LBB2_3506:                             ;   in Loop: Header=BB2_3120 Depth=3
	s_and_b64 vcc, exec, s[44:45]
	s_cbranch_vccz .LBB2_3520
; %bb.3507:                             ;   in Loop: Header=BB2_3120 Depth=3
	v_mov_b32_e32 v9, 0
	s_and_saveexec_b64 s[44:45], s[42:43]
	s_cbranch_execz .LBB2_3513
; %bb.3508:                             ;   in Loop: Header=BB2_3120 Depth=3
	v_cmp_ne_u16_e32 vcc, s59, v8
	v_bfrev_b32_e32 v9, 1
	s_and_saveexec_b64 s[42:43], vcc
	s_cbranch_execz .LBB2_3512
; %bb.3509:                             ;   in Loop: Header=BB2_3120 Depth=3
	v_and_b32_e32 v12, 0x7f, v8
	v_cmp_ne_u32_e32 vcc, s97, v12
	v_mov_b32_e32 v9, 0x7f800001
	s_and_saveexec_b64 s[46:47], vcc
	s_cbranch_execz .LBB2_3511
; %bb.3510:                             ;   in Loop: Header=BB2_3120 Depth=3
	v_and_b32_e32 v3, 7, v8
	v_ffbh_u32_e32 v9, v3
	v_lshrrev_b32_e32 v4, 3, v12
	v_cmp_gt_u32_e32 vcc, 8, v12
	v_min_u32_e32 v12, 32, v9
	v_subrev_u32_e32 v9, 28, v12
	v_lshlrev_b64 v[8:9], v9, v[8:9]
	v_sub_u32_e32 v9, 29, v12
	v_and_b32_e32 v8, 7, v8
	v_cndmask_b32_e32 v4, v4, v9, vcc
	v_cndmask_b32_e32 v3, v3, v8, vcc
	v_lshlrev_b32_e32 v8, 16, v10
	v_lshlrev_b32_e32 v3, 20, v3
	v_and_b32_e32 v8, 0x80000000, v8
	v_lshl_add_u32 v4, v4, 23, v48
	v_or3_b32 v9, v8, v4, v3
.LBB2_3511:                             ;   in Loop: Header=BB2_3120 Depth=3
	s_or_b64 exec, exec, s[46:47]
.LBB2_3512:                             ;   in Loop: Header=BB2_3120 Depth=3
	s_or_b64 exec, exec, s[42:43]
.LBB2_3513:                             ;   in Loop: Header=BB2_3120 Depth=3
	s_or_b64 exec, exec, s[44:45]
	v_cmp_lt_i16_e32 vcc, s97, v34
	s_mov_b64 s[42:43], 0
	s_and_saveexec_b64 s[44:45], vcc
	s_xor_b64 s[44:45], exec, s[44:45]
	s_cbranch_execz .LBB2_3809
; %bb.3514:                             ;   in Loop: Header=BB2_3120 Depth=3
	v_cmp_eq_u16_e32 vcc, s59, v34
	s_mov_b64 s[42:43], -1
	s_and_saveexec_b64 s[46:47], vcc
; %bb.3515:                             ;   in Loop: Header=BB2_3120 Depth=3
	s_xor_b64 s[42:43], exec, -1
; %bb.3516:                             ;   in Loop: Header=BB2_3120 Depth=3
	s_or_b64 exec, exec, s[46:47]
	s_and_b64 s[42:43], s[42:43], exec
	s_or_saveexec_b64 s[44:45], s[44:45]
	v_bfrev_b32_e32 v8, 1
	s_xor_b64 exec, exec, s[44:45]
	s_cbranch_execnz .LBB2_3810
.LBB2_3517:                             ;   in Loop: Header=BB2_3120 Depth=3
	s_or_b64 exec, exec, s[44:45]
	s_and_saveexec_b64 s[44:45], s[42:43]
.LBB2_3518:                             ;   in Loop: Header=BB2_3120 Depth=3
	v_cndmask_b32_e64 v8, v1, v49, s[40:41]
.LBB2_3519:                             ;   in Loop: Header=BB2_3120 Depth=3
	s_or_b64 exec, exec, s[44:45]
	v_max_f32_e32 v1, v8, v8
	v_max_f32_e32 v3, v9, v9
	v_min_f32_e32 v9, v3, v1
.LBB2_3520:                             ;   in Loop: Header=BB2_3120 Depth=3
	v_and_b32_e32 v34, 0x7f800000, v9
	v_cmp_ne_u64_e32 vcc, s[90:91], v[34:35]
                                        ; implicit-def: $vgpr39
	s_and_saveexec_b64 s[40:41], vcc
	s_xor_b64 s[42:43], exec, s[40:41]
	s_cbranch_execz .LBB2_3534
; %bb.3521:                             ;   in Loop: Header=BB2_3120 Depth=3
	v_and_b32_e32 v34, 0x7fffffff, v9
	v_cmp_gt_u64_e32 vcc, s[92:93], v[34:35]
	v_and_b32_sdwa v1, v9, s59 dst_sel:DWORD dst_unused:UNUSED_PAD src0_sel:BYTE_3 src1_sel:DWORD
                                        ; implicit-def: $vgpr39
	s_and_saveexec_b64 s[40:41], vcc
	s_xor_b64 s[44:45], exec, s[40:41]
	s_cbranch_execz .LBB2_3531
; %bb.3522:                             ;   in Loop: Header=BB2_3120 Depth=3
	v_mov_b32_e32 v39, 0
	v_cmp_ne_u32_e32 vcc, 0, v9
	s_and_saveexec_b64 s[46:47], vcc
	s_cbranch_execz .LBB2_3530
; %bb.3523:                             ;   in Loop: Header=BB2_3120 Depth=3
	v_bfe_u32 v24, v9, 23, 8
	v_cmp_gt_u32_e64 s[40:41], s56, v24
	v_sub_u32_e32 v4, 0x79, v24
	v_and_b32_e32 v3, 0x7fffff, v9
	v_cmp_eq_u32_e32 vcc, 0, v24
	v_cndmask_b32_e64 v4, 0, v4, s[40:41]
	v_mov_b32_e32 v9, 0x78
	v_or_b32_e32 v8, 0x800000, v3
	v_cndmask_b32_e32 v25, v4, v9, vcc
	v_cndmask_b32_e32 v34, v8, v3, vcc
	v_add_u32_e32 v3, 20, v25
	v_lshlrev_b64 v[8:9], v3, -1
	v_add_u32_e32 v3, 19, v25
	v_lshlrev_b64 v[12:13], v3, 1
	v_bfi_b32 v9, v9, 0, 0
	v_bfi_b32 v8, v8, 0, v34
	v_cmp_eq_u64_e64 s[40:41], v[8:9], v[12:13]
	v_lshrrev_b64 v[8:9], v25, v[34:35]
	v_mov_b32_e32 v13, v9
	v_mov_b32_e32 v12, v8
	s_and_saveexec_b64 s[54:55], s[40:41]
; %bb.3524:                             ;   in Loop: Header=BB2_3120 Depth=3
	v_bfe_u32 v3, v8, 20, 1
	v_add_co_u32_e64 v3, s[40:41], v8, v3
	v_add_co_u32_e64 v12, s[40:41], -1, v3
; %bb.3525:                             ;   in Loop: Header=BB2_3120 Depth=3
	s_or_b64 exec, exec, s[54:55]
	v_add_u32_e32 v3, 0xffffff81, v24
	v_cndmask_b32_e32 v3, v3, v52, vcc
	v_lshrrev_b32_e32 v4, 23, v8
	v_add3_u32 v24, v25, v3, v4
	v_add_u32_e32 v13, 6, v24
	v_and_b32_e32 v3, 0xfffff, v12
	v_add_u32_e32 v34, v3, v8
	v_cmp_ne_u32_e32 vcc, 0, v13
                                        ; implicit-def: $vgpr8_vgpr9
                                        ; implicit-def: $vgpr12
	s_and_saveexec_b64 s[40:41], vcc
	s_xor_b64 s[40:41], exec, s[40:41]
; %bb.3526:                             ;   in Loop: Header=BB2_3120 Depth=3
	v_cmp_lt_u64_e32 vcc, s[94:95], v[34:35]
	v_add_u32_e32 v3, 7, v24
	v_cndmask_b32_e32 v12, v13, v3, vcc
	v_cndmask_b32_e64 v3, 0, 1, vcc
	v_lshrrev_b64 v[8:9], v3, v[34:35]
; %bb.3527:                             ;   in Loop: Header=BB2_3120 Depth=3
	s_andn2_saveexec_b64 s[40:41], s[40:41]
; %bb.3528:                             ;   in Loop: Header=BB2_3120 Depth=3
	v_mov_b32_e32 v8, v34
	v_bfe_u32 v12, v34, 23, 1
	v_mov_b32_e32 v9, v35
; %bb.3529:                             ;   in Loop: Header=BB2_3120 Depth=3
	s_or_b64 exec, exec, s[40:41]
	v_lshrrev_b64 v[8:9], 20, v[8:9]
	v_cmp_gt_i32_e32 vcc, 16, v12
	v_cndmask_b32_e32 v9, 0, v9, vcc
	v_cndmask_b32_e32 v8, 7, v8, vcc
	v_min_i32_e32 v3, 15, v12
	v_cmp_eq_u64_e64 s[40:41], 0, v[8:9]
	v_lshlrev_b32_e32 v3, 3, v3
	v_cmp_eq_u32_e32 vcc, 0, v12
	v_and_b32_e32 v3, 0xf8, v3
	v_and_or_b32 v3, v8, 7, v3
	s_and_b64 s[40:41], vcc, s[40:41]
	v_cndmask_b32_e64 v3, v3, 0, s[40:41]
	v_or_b32_e32 v39, v3, v1
.LBB2_3530:                             ;   in Loop: Header=BB2_3120 Depth=3
	s_or_b64 exec, exec, s[46:47]
                                        ; implicit-def: $vgpr1
.LBB2_3531:                             ;   in Loop: Header=BB2_3120 Depth=3
	s_andn2_saveexec_b64 s[40:41], s[44:45]
; %bb.3532:                             ;   in Loop: Header=BB2_3120 Depth=3
	v_or_b32_e32 v39, 0x7e, v1
; %bb.3533:                             ;   in Loop: Header=BB2_3120 Depth=3
	s_or_b64 exec, exec, s[40:41]
                                        ; implicit-def: $vgpr9
.LBB2_3534:                             ;   in Loop: Header=BB2_3120 Depth=3
	s_andn2_saveexec_b64 s[40:41], s[42:43]
; %bb.3535:                             ;   in Loop: Header=BB2_3120 Depth=3
	v_or_b32_sdwa v39, v9, s97 dst_sel:DWORD dst_unused:UNUSED_PAD src0_sel:BYTE_3 src1_sel:DWORD
; %bb.3536:                             ;   in Loop: Header=BB2_3120 Depth=3
	s_or_b64 exec, exec, s[40:41]
	v_bfe_u32 v1, v14, 16, 3
	v_bfe_u32 v3, v14, 16, 7
	v_cmp_eq_u32_e64 s[40:41], s97, v3
	v_cmp_gt_u32_e32 vcc, 8, v3
	v_ffbh_u32_e32 v3, v1
	v_min_u32_e32 v3, 32, v3
	v_lshrrev_b32_e32 v8, 16, v14
	v_subrev_u32_e32 v9, 28, v3
	v_lshlrev_b64 v[12:13], v9, v[8:9]
	v_bfe_u32 v4, v8, 3, 4
	v_sub_u32_e32 v3, 29, v3
	v_and_b32_e32 v9, 7, v12
	v_cndmask_b32_e32 v3, v4, v3, vcc
	v_cndmask_b32_e32 v1, v1, v9, vcc
	v_lshlrev_b32_e32 v4, 8, v14
	v_lshlrev_b32_e32 v1, 20, v1
	v_and_b32_e32 v4, 0x80000000, v4
	v_lshl_add_u32 v3, v3, 23, v48
	v_lshrrev_b32_e32 v9, 16, v10
	v_or3_b32 v1, v4, v3, v1
	v_cmp_ne_u16_sdwa s[42:43], v9, v35 src0_sel:BYTE_0 src1_sel:DWORD
	s_mov_b64 s[44:45], -1
	s_and_b64 vcc, exec, s[52:53]
                                        ; implicit-def: $vgpr12
	s_cbranch_vccz .LBB2_3550
; %bb.3537:                             ;   in Loop: Header=BB2_3120 Depth=3
	v_mov_b32_e32 v12, 0
	s_and_saveexec_b64 s[44:45], s[42:43]
	s_cbranch_execz .LBB2_3543
; %bb.3538:                             ;   in Loop: Header=BB2_3120 Depth=3
	v_cmp_ne_u16_sdwa vcc, v9, s59 src0_sel:BYTE_0 src1_sel:DWORD
	v_bfrev_b32_e32 v12, 1
	s_and_saveexec_b64 s[46:47], vcc
	s_cbranch_execz .LBB2_3542
; %bb.3539:                             ;   in Loop: Header=BB2_3120 Depth=3
	v_bfe_u32 v13, v10, 16, 7
	v_cmp_ne_u32_e32 vcc, s97, v13
	v_mov_b32_e32 v12, 0x7f800001
	s_and_saveexec_b64 s[54:55], vcc
	s_cbranch_execz .LBB2_3541
; %bb.3540:                             ;   in Loop: Header=BB2_3120 Depth=3
	v_and_b32_e32 v3, 7, v9
	v_ffbh_u32_e32 v12, v3
	v_min_u32_e32 v24, 32, v12
	v_subrev_u32_e32 v12, 28, v24
	v_lshrrev_b32_e32 v4, 3, v13
	v_cmp_gt_u32_e32 vcc, 8, v13
	v_lshlrev_b64 v[12:13], v12, v[9:10]
	v_sub_u32_e32 v13, 29, v24
	v_and_b32_e32 v12, 7, v12
	v_cndmask_b32_e32 v4, v4, v13, vcc
	v_cndmask_b32_e32 v3, v3, v12, vcc
	v_lshlrev_b32_e32 v12, 24, v9
	v_lshlrev_b32_e32 v3, 20, v3
	v_and_b32_e32 v12, 0x80000000, v12
	v_lshl_add_u32 v4, v4, 23, v48
	v_or3_b32 v12, v12, v4, v3
.LBB2_3541:                             ;   in Loop: Header=BB2_3120 Depth=3
	s_or_b64 exec, exec, s[54:55]
.LBB2_3542:                             ;   in Loop: Header=BB2_3120 Depth=3
	s_or_b64 exec, exec, s[46:47]
.LBB2_3543:                             ;   in Loop: Header=BB2_3120 Depth=3
	s_or_b64 exec, exec, s[44:45]
	v_cmp_gt_i16_sdwa s[46:47], v8, s97 src0_sel:BYTE_0 src1_sel:DWORD
	s_mov_b64 s[44:45], 0
	s_and_saveexec_b64 vcc, s[46:47]
	s_xor_b64 s[46:47], exec, vcc
	s_cbranch_execz .LBB2_3811
; %bb.3544:                             ;   in Loop: Header=BB2_3120 Depth=3
	v_cmp_eq_u16_sdwa s[54:55], v8, s59 src0_sel:BYTE_0 src1_sel:DWORD
	s_mov_b64 s[44:45], -1
	s_and_saveexec_b64 vcc, s[54:55]
; %bb.3545:                             ;   in Loop: Header=BB2_3120 Depth=3
	s_xor_b64 s[44:45], exec, -1
; %bb.3546:                             ;   in Loop: Header=BB2_3120 Depth=3
	s_or_b64 exec, exec, vcc
	s_and_b64 s[44:45], s[44:45], exec
	s_or_saveexec_b64 s[46:47], s[46:47]
	v_bfrev_b32_e32 v13, 1
	s_xor_b64 exec, exec, s[46:47]
	s_cbranch_execnz .LBB2_3812
.LBB2_3547:                             ;   in Loop: Header=BB2_3120 Depth=3
	s_or_b64 exec, exec, s[46:47]
	s_and_saveexec_b64 s[46:47], s[44:45]
.LBB2_3548:                             ;   in Loop: Header=BB2_3120 Depth=3
	v_cndmask_b32_e64 v13, v1, v49, s[40:41]
.LBB2_3549:                             ;   in Loop: Header=BB2_3120 Depth=3
	s_or_b64 exec, exec, s[46:47]
	v_max_f32_e32 v3, v13, v13
	v_max_f32_e32 v4, v12, v12
	;; [unrolled: 1-line block ×3, first 2 shown]
	s_mov_b64 s[44:45], 0
.LBB2_3550:                             ;   in Loop: Header=BB2_3120 Depth=3
	s_and_b64 vcc, exec, s[44:45]
	s_cbranch_vccz .LBB2_3564
; %bb.3551:                             ;   in Loop: Header=BB2_3120 Depth=3
	v_mov_b32_e32 v12, 0
	s_and_saveexec_b64 s[44:45], s[42:43]
	s_cbranch_execz .LBB2_3557
; %bb.3552:                             ;   in Loop: Header=BB2_3120 Depth=3
	v_cmp_ne_u16_sdwa s[46:47], v9, s59 src0_sel:BYTE_0 src1_sel:DWORD
	v_bfrev_b32_e32 v12, 1
	s_and_saveexec_b64 s[42:43], s[46:47]
	s_cbranch_execz .LBB2_3556
; %bb.3553:                             ;   in Loop: Header=BB2_3120 Depth=3
	v_bfe_u32 v13, v10, 16, 7
	v_cmp_ne_u32_e32 vcc, s97, v13
	v_mov_b32_e32 v12, 0x7f800001
	s_and_saveexec_b64 s[46:47], vcc
	s_cbranch_execz .LBB2_3555
; %bb.3554:                             ;   in Loop: Header=BB2_3120 Depth=3
	v_and_b32_e32 v3, 7, v9
	v_ffbh_u32_e32 v12, v3
	v_min_u32_e32 v24, 32, v12
	v_subrev_u32_e32 v12, 28, v24
	v_lshrrev_b32_e32 v4, 3, v13
	v_cmp_gt_u32_e32 vcc, 8, v13
	v_lshlrev_b64 v[12:13], v12, v[9:10]
	v_sub_u32_e32 v13, 29, v24
	v_and_b32_e32 v12, 7, v12
	v_cndmask_b32_e32 v4, v4, v13, vcc
	v_cndmask_b32_e32 v3, v3, v12, vcc
	v_lshlrev_b32_e32 v9, 24, v9
	v_lshlrev_b32_e32 v3, 20, v3
	v_and_b32_e32 v9, 0x80000000, v9
	v_lshl_add_u32 v4, v4, 23, v48
	v_or3_b32 v12, v9, v4, v3
.LBB2_3555:                             ;   in Loop: Header=BB2_3120 Depth=3
	s_or_b64 exec, exec, s[46:47]
.LBB2_3556:                             ;   in Loop: Header=BB2_3120 Depth=3
	s_or_b64 exec, exec, s[42:43]
.LBB2_3557:                             ;   in Loop: Header=BB2_3120 Depth=3
	s_or_b64 exec, exec, s[44:45]
	v_cmp_gt_i16_sdwa s[44:45], v8, s97 src0_sel:BYTE_0 src1_sel:DWORD
	s_mov_b64 s[42:43], 0
	s_and_saveexec_b64 s[46:47], s[44:45]
	s_xor_b64 s[44:45], exec, s[46:47]
	s_cbranch_execz .LBB2_3813
; %bb.3558:                             ;   in Loop: Header=BB2_3120 Depth=3
	v_cmp_eq_u16_sdwa vcc, v8, s59 src0_sel:BYTE_0 src1_sel:DWORD
	s_mov_b64 s[42:43], -1
	s_and_saveexec_b64 s[46:47], vcc
; %bb.3559:                             ;   in Loop: Header=BB2_3120 Depth=3
	s_xor_b64 s[42:43], exec, -1
; %bb.3560:                             ;   in Loop: Header=BB2_3120 Depth=3
	s_or_b64 exec, exec, s[46:47]
	s_and_b64 s[42:43], s[42:43], exec
                                        ; implicit-def: $vgpr8
	s_or_saveexec_b64 s[44:45], s[44:45]
	v_bfrev_b32_e32 v9, 1
	s_xor_b64 exec, exec, s[44:45]
	s_cbranch_execnz .LBB2_3814
.LBB2_3561:                             ;   in Loop: Header=BB2_3120 Depth=3
	s_or_b64 exec, exec, s[44:45]
	s_and_saveexec_b64 s[44:45], s[42:43]
.LBB2_3562:                             ;   in Loop: Header=BB2_3120 Depth=3
	v_cndmask_b32_e64 v9, v1, v49, s[40:41]
.LBB2_3563:                             ;   in Loop: Header=BB2_3120 Depth=3
	s_or_b64 exec, exec, s[44:45]
	v_max_f32_e32 v1, v9, v9
	v_max_f32_e32 v3, v12, v12
	v_min_f32_e32 v12, v3, v1
.LBB2_3564:                             ;   in Loop: Header=BB2_3120 Depth=3
	v_and_b32_e32 v34, 0x7f800000, v12
	v_cmp_ne_u64_e32 vcc, s[90:91], v[34:35]
                                        ; implicit-def: $vgpr1
	s_and_saveexec_b64 s[40:41], vcc
	s_xor_b64 s[42:43], exec, s[40:41]
	s_cbranch_execz .LBB2_3578
; %bb.3565:                             ;   in Loop: Header=BB2_3120 Depth=3
	v_and_b32_e32 v34, 0x7fffffff, v12
	v_cmp_gt_u64_e32 vcc, s[92:93], v[34:35]
	v_and_b32_sdwa v24, v12, s59 dst_sel:DWORD dst_unused:UNUSED_PAD src0_sel:BYTE_3 src1_sel:DWORD
                                        ; implicit-def: $vgpr1
	s_and_saveexec_b64 s[40:41], vcc
	s_xor_b64 s[44:45], exec, s[40:41]
	s_cbranch_execz .LBB2_3575
; %bb.3566:                             ;   in Loop: Header=BB2_3120 Depth=3
	v_mov_b32_e32 v1, 0
	v_cmp_ne_u32_e32 vcc, 0, v12
	s_and_saveexec_b64 s[46:47], vcc
	s_cbranch_execz .LBB2_3574
; %bb.3567:                             ;   in Loop: Header=BB2_3120 Depth=3
	v_bfe_u32 v1, v12, 23, 8
	v_cmp_gt_u32_e64 s[40:41], s56, v1
	v_sub_u32_e32 v4, 0x79, v1
	v_and_b32_e32 v3, 0x7fffff, v12
	v_cmp_eq_u32_e32 vcc, 0, v1
	v_cndmask_b32_e64 v4, 0, v4, s[40:41]
	v_mov_b32_e32 v9, 0x78
	v_or_b32_e32 v8, 0x800000, v3
	v_cndmask_b32_e32 v25, v4, v9, vcc
	v_cndmask_b32_e32 v34, v8, v3, vcc
	v_add_u32_e32 v3, 20, v25
	v_lshlrev_b64 v[8:9], v3, -1
	v_add_u32_e32 v3, 19, v25
	v_lshlrev_b64 v[12:13], v3, 1
	v_bfi_b32 v9, v9, 0, 0
	v_bfi_b32 v8, v8, 0, v34
	v_cmp_eq_u64_e64 s[40:41], v[8:9], v[12:13]
	v_lshrrev_b64 v[8:9], v25, v[34:35]
	v_mov_b32_e32 v13, v9
	v_mov_b32_e32 v12, v8
	s_and_saveexec_b64 s[54:55], s[40:41]
; %bb.3568:                             ;   in Loop: Header=BB2_3120 Depth=3
	v_bfe_u32 v3, v8, 20, 1
	v_add_co_u32_e64 v3, s[40:41], v8, v3
	v_add_co_u32_e64 v12, s[40:41], -1, v3
; %bb.3569:                             ;   in Loop: Header=BB2_3120 Depth=3
	s_or_b64 exec, exec, s[54:55]
	v_add_u32_e32 v1, 0xffffff81, v1
	v_cndmask_b32_e32 v1, v1, v52, vcc
	v_lshrrev_b32_e32 v3, 23, v8
	v_add3_u32 v25, v25, v1, v3
	v_add_u32_e32 v13, 6, v25
	v_and_b32_e32 v1, 0xfffff, v12
	v_add_u32_e32 v34, v1, v8
	v_cmp_ne_u32_e32 vcc, 0, v13
                                        ; implicit-def: $vgpr8_vgpr9
                                        ; implicit-def: $vgpr1
	s_and_saveexec_b64 s[40:41], vcc
	s_xor_b64 s[40:41], exec, s[40:41]
; %bb.3570:                             ;   in Loop: Header=BB2_3120 Depth=3
	v_cmp_lt_u64_e32 vcc, s[94:95], v[34:35]
	v_add_u32_e32 v1, 7, v25
	v_cndmask_b32_e64 v3, 0, 1, vcc
	v_cndmask_b32_e32 v1, v13, v1, vcc
	v_lshrrev_b64 v[8:9], v3, v[34:35]
; %bb.3571:                             ;   in Loop: Header=BB2_3120 Depth=3
	s_andn2_saveexec_b64 s[40:41], s[40:41]
; %bb.3572:                             ;   in Loop: Header=BB2_3120 Depth=3
	v_mov_b32_e32 v8, v34
	v_bfe_u32 v1, v34, 23, 1
	v_mov_b32_e32 v9, v35
; %bb.3573:                             ;   in Loop: Header=BB2_3120 Depth=3
	s_or_b64 exec, exec, s[40:41]
	v_lshrrev_b64 v[8:9], 20, v[8:9]
	v_cmp_gt_i32_e32 vcc, 16, v1
	v_cndmask_b32_e32 v9, 0, v9, vcc
	v_cndmask_b32_e32 v8, 7, v8, vcc
	v_cmp_eq_u32_e32 vcc, 0, v1
	v_min_i32_e32 v1, 15, v1
	v_cmp_eq_u64_e64 s[40:41], 0, v[8:9]
	v_lshlrev_b32_e32 v1, 3, v1
	v_and_b32_e32 v1, 0xf8, v1
	v_and_or_b32 v1, v8, 7, v1
	s_and_b64 s[40:41], vcc, s[40:41]
	v_cndmask_b32_e64 v1, v1, 0, s[40:41]
	v_or_b32_e32 v1, v1, v24
.LBB2_3574:                             ;   in Loop: Header=BB2_3120 Depth=3
	s_or_b64 exec, exec, s[46:47]
                                        ; implicit-def: $vgpr24
.LBB2_3575:                             ;   in Loop: Header=BB2_3120 Depth=3
	s_andn2_saveexec_b64 s[40:41], s[44:45]
; %bb.3576:                             ;   in Loop: Header=BB2_3120 Depth=3
	v_or_b32_e32 v1, 0x7e, v24
; %bb.3577:                             ;   in Loop: Header=BB2_3120 Depth=3
	s_or_b64 exec, exec, s[40:41]
                                        ; implicit-def: $vgpr12
.LBB2_3578:                             ;   in Loop: Header=BB2_3120 Depth=3
	s_andn2_saveexec_b64 s[40:41], s[42:43]
; %bb.3579:                             ;   in Loop: Header=BB2_3120 Depth=3
	v_or_b32_sdwa v1, v12, s97 dst_sel:DWORD dst_unused:UNUSED_PAD src0_sel:BYTE_3 src1_sel:DWORD
; %bb.3580:                             ;   in Loop: Header=BB2_3120 Depth=3
	s_or_b64 exec, exec, s[40:41]
	v_bfe_u32 v3, v14, 24, 3
	v_bfe_u32 v4, v14, 24, 7
	v_cmp_eq_u32_e64 s[44:45], s97, v4
	v_cmp_gt_u32_e32 vcc, 8, v4
	v_ffbh_u32_e32 v4, v3
	v_min_u32_e32 v4, 32, v4
	v_lshrrev_b32_e32 v9, 24, v14
	v_subrev_u32_e32 v12, 28, v4
	v_lshlrev_b64 v[12:13], v12, v[9:10]
	v_bfe_u32 v24, v9, 3, 4
	v_cmp_eq_u32_e64 s[42:43], s59, v9
	v_sub_u32_e32 v4, 29, v4
	v_and_b32_e32 v9, 7, v12
	v_cndmask_b32_e32 v4, v24, v4, vcc
	v_cndmask_b32_e32 v3, v3, v9, vcc
	v_lshlrev_b32_e32 v3, 20, v3
	v_and_b32_e32 v9, 0x80000000, v14
	v_lshl_add_u32 v4, v4, 23, v48
	v_lshrrev_b32_e32 v8, 24, v10
	v_cmp_gt_u32_e64 s[40:41], s61, v14
	v_or3_b32 v9, v9, v4, v3
	v_cmp_lt_u32_e64 s[46:47], s63, v10
	s_mov_b64 s[54:55], -1
	s_and_b64 vcc, exec, s[52:53]
                                        ; implicit-def: $vgpr12
	s_cbranch_vccz .LBB2_3588
; %bb.3581:                             ;   in Loop: Header=BB2_3120 Depth=3
	v_mov_b32_e32 v12, 0
	s_and_saveexec_b64 s[54:55], s[46:47]
	s_cbranch_execz .LBB2_3587
; %bb.3582:                             ;   in Loop: Header=BB2_3120 Depth=3
	v_cmp_ne_u32_e32 vcc, s59, v8
	v_bfrev_b32_e32 v12, 1
	s_and_saveexec_b64 s[64:65], vcc
	s_cbranch_execz .LBB2_3586
; %bb.3583:                             ;   in Loop: Header=BB2_3120 Depth=3
	v_bfe_u32 v13, v10, 24, 7
	v_cmp_ne_u32_e32 vcc, s97, v13
	v_mov_b32_e32 v12, 0x7f800001
	s_and_saveexec_b64 s[66:67], vcc
	s_cbranch_execz .LBB2_3585
; %bb.3584:                             ;   in Loop: Header=BB2_3120 Depth=3
	v_and_b32_e32 v3, 7, v8
	v_ffbh_u32_e32 v12, v3
	v_min_u32_e32 v24, 32, v12
	v_subrev_u32_e32 v12, 28, v24
	v_lshrrev_b32_e32 v4, 3, v13
	v_cmp_gt_u32_e32 vcc, 8, v13
	v_lshlrev_b64 v[12:13], v12, v[8:9]
	v_sub_u32_e32 v13, 29, v24
	v_and_b32_e32 v12, 7, v12
	v_cndmask_b32_e32 v4, v4, v13, vcc
	v_cndmask_b32_e32 v3, v3, v12, vcc
	v_lshlrev_b32_e32 v12, 24, v8
	v_lshlrev_b32_e32 v3, 20, v3
	v_and_b32_e32 v12, 0x80000000, v12
	v_lshl_add_u32 v4, v4, 23, v48
	v_or3_b32 v12, v12, v4, v3
.LBB2_3585:                             ;   in Loop: Header=BB2_3120 Depth=3
	s_or_b64 exec, exec, s[66:67]
.LBB2_3586:                             ;   in Loop: Header=BB2_3120 Depth=3
	s_or_b64 exec, exec, s[64:65]
.LBB2_3587:                             ;   in Loop: Header=BB2_3120 Depth=3
	s_or_b64 exec, exec, s[54:55]
	v_cndmask_b32_e64 v3, v9, v49, s[44:45]
	v_cndmask_b32_e64 v3, v3, v0, s[42:43]
	;; [unrolled: 1-line block ×3, first 2 shown]
	v_max_f32_e32 v3, v3, v3
	v_max_f32_e32 v4, v12, v12
	;; [unrolled: 1-line block ×3, first 2 shown]
	s_mov_b64 s[54:55], 0
.LBB2_3588:                             ;   in Loop: Header=BB2_3120 Depth=3
	s_and_b64 vcc, exec, s[54:55]
	s_cbranch_vccz .LBB2_3596
; %bb.3589:                             ;   in Loop: Header=BB2_3120 Depth=3
	v_mov_b32_e32 v12, 0
	s_and_saveexec_b64 s[54:55], s[46:47]
	s_cbranch_execz .LBB2_3595
; %bb.3590:                             ;   in Loop: Header=BB2_3120 Depth=3
	v_cmp_ne_u32_e32 vcc, s59, v8
	v_bfrev_b32_e32 v12, 1
	s_and_saveexec_b64 s[46:47], vcc
	s_cbranch_execz .LBB2_3594
; %bb.3591:                             ;   in Loop: Header=BB2_3120 Depth=3
	v_bfe_u32 v13, v10, 24, 7
	v_cmp_ne_u32_e32 vcc, s97, v13
	v_mov_b32_e32 v12, 0x7f800001
	s_and_saveexec_b64 s[64:65], vcc
	s_cbranch_execz .LBB2_3593
; %bb.3592:                             ;   in Loop: Header=BB2_3120 Depth=3
	v_and_b32_e32 v3, 7, v8
	v_ffbh_u32_e32 v12, v3
	v_min_u32_e32 v24, 32, v12
	v_subrev_u32_e32 v12, 28, v24
	v_lshrrev_b32_e32 v4, 3, v13
	v_cmp_gt_u32_e32 vcc, 8, v13
	v_lshlrev_b64 v[12:13], v12, v[8:9]
	v_sub_u32_e32 v13, 29, v24
	v_and_b32_e32 v12, 7, v12
	v_cndmask_b32_e32 v4, v4, v13, vcc
	v_cndmask_b32_e32 v3, v3, v12, vcc
	v_lshlrev_b32_e32 v8, 24, v8
	v_lshlrev_b32_e32 v3, 20, v3
	v_and_b32_e32 v8, 0x80000000, v8
	v_lshl_add_u32 v4, v4, 23, v48
	v_or3_b32 v12, v8, v4, v3
.LBB2_3593:                             ;   in Loop: Header=BB2_3120 Depth=3
	s_or_b64 exec, exec, s[64:65]
.LBB2_3594:                             ;   in Loop: Header=BB2_3120 Depth=3
	s_or_b64 exec, exec, s[46:47]
.LBB2_3595:                             ;   in Loop: Header=BB2_3120 Depth=3
	s_or_b64 exec, exec, s[54:55]
	v_cndmask_b32_e64 v3, v9, v49, s[44:45]
	v_cndmask_b32_e64 v3, v3, v0, s[42:43]
	;; [unrolled: 1-line block ×3, first 2 shown]
	v_max_f32_e32 v3, v3, v3
	v_max_f32_e32 v4, v12, v12
	v_min_f32_e32 v12, v4, v3
.LBB2_3596:                             ;   in Loop: Header=BB2_3120 Depth=3
	v_and_b32_e32 v34, 0x7f800000, v12
	v_cmp_ne_u64_e32 vcc, s[90:91], v[34:35]
                                        ; implicit-def: $vgpr59
	s_and_saveexec_b64 s[40:41], vcc
	s_xor_b64 s[42:43], exec, s[40:41]
	s_cbranch_execz .LBB2_3610
; %bb.3597:                             ;   in Loop: Header=BB2_3120 Depth=3
	v_and_b32_e32 v34, 0x7fffffff, v12
	v_cmp_gt_u64_e32 vcc, s[92:93], v[34:35]
	v_and_b32_sdwa v24, v12, s59 dst_sel:DWORD dst_unused:UNUSED_PAD src0_sel:BYTE_3 src1_sel:DWORD
                                        ; implicit-def: $vgpr59
	s_and_saveexec_b64 s[40:41], vcc
	s_xor_b64 s[44:45], exec, s[40:41]
	s_cbranch_execz .LBB2_3607
; %bb.3598:                             ;   in Loop: Header=BB2_3120 Depth=3
	v_mov_b32_e32 v59, 0
	v_cmp_ne_u32_e32 vcc, 0, v12
	s_and_saveexec_b64 s[46:47], vcc
	s_cbranch_execz .LBB2_3606
; %bb.3599:                             ;   in Loop: Header=BB2_3120 Depth=3
	v_bfe_u32 v25, v12, 23, 8
	v_cmp_gt_u32_e64 s[40:41], s56, v25
	v_sub_u32_e32 v4, 0x79, v25
	v_and_b32_e32 v3, 0x7fffff, v12
	v_cmp_eq_u32_e32 vcc, 0, v25
	v_cndmask_b32_e64 v4, 0, v4, s[40:41]
	v_mov_b32_e32 v9, 0x78
	v_or_b32_e32 v8, 0x800000, v3
	v_cndmask_b32_e32 v57, v4, v9, vcc
	v_cndmask_b32_e32 v34, v8, v3, vcc
	v_add_u32_e32 v3, 20, v57
	v_lshlrev_b64 v[8:9], v3, -1
	v_add_u32_e32 v3, 19, v57
	v_lshlrev_b64 v[12:13], v3, 1
	v_bfi_b32 v9, v9, 0, 0
	v_bfi_b32 v8, v8, 0, v34
	v_cmp_eq_u64_e64 s[40:41], v[8:9], v[12:13]
	v_lshrrev_b64 v[8:9], v57, v[34:35]
	v_mov_b32_e32 v13, v9
	v_mov_b32_e32 v12, v8
	s_and_saveexec_b64 s[54:55], s[40:41]
; %bb.3600:                             ;   in Loop: Header=BB2_3120 Depth=3
	v_bfe_u32 v3, v8, 20, 1
	v_add_co_u32_e64 v3, s[40:41], v8, v3
	v_add_co_u32_e64 v12, s[40:41], -1, v3
; %bb.3601:                             ;   in Loop: Header=BB2_3120 Depth=3
	s_or_b64 exec, exec, s[54:55]
	v_add_u32_e32 v3, 0xffffff81, v25
	v_cndmask_b32_e32 v3, v3, v52, vcc
	v_lshrrev_b32_e32 v4, 23, v8
	v_add3_u32 v25, v57, v3, v4
	v_add_u32_e32 v13, 6, v25
	v_and_b32_e32 v3, 0xfffff, v12
	v_add_u32_e32 v34, v3, v8
	v_cmp_ne_u32_e32 vcc, 0, v13
                                        ; implicit-def: $vgpr8_vgpr9
                                        ; implicit-def: $vgpr12
	s_and_saveexec_b64 s[40:41], vcc
	s_xor_b64 s[40:41], exec, s[40:41]
; %bb.3602:                             ;   in Loop: Header=BB2_3120 Depth=3
	v_cmp_lt_u64_e32 vcc, s[94:95], v[34:35]
	v_add_u32_e32 v3, 7, v25
	v_cndmask_b32_e32 v12, v13, v3, vcc
	v_cndmask_b32_e64 v3, 0, 1, vcc
	v_lshrrev_b64 v[8:9], v3, v[34:35]
; %bb.3603:                             ;   in Loop: Header=BB2_3120 Depth=3
	s_andn2_saveexec_b64 s[40:41], s[40:41]
; %bb.3604:                             ;   in Loop: Header=BB2_3120 Depth=3
	v_mov_b32_e32 v8, v34
	v_bfe_u32 v12, v34, 23, 1
	v_mov_b32_e32 v9, v35
; %bb.3605:                             ;   in Loop: Header=BB2_3120 Depth=3
	s_or_b64 exec, exec, s[40:41]
	v_lshrrev_b64 v[8:9], 20, v[8:9]
	v_cmp_gt_i32_e32 vcc, 16, v12
	v_cndmask_b32_e32 v9, 0, v9, vcc
	v_cndmask_b32_e32 v8, 7, v8, vcc
	v_min_i32_e32 v3, 15, v12
	v_cmp_eq_u64_e64 s[40:41], 0, v[8:9]
	v_lshlrev_b32_e32 v3, 3, v3
	v_cmp_eq_u32_e32 vcc, 0, v12
	v_and_b32_e32 v3, 0xf8, v3
	v_and_or_b32 v3, v8, 7, v3
	s_and_b64 s[40:41], vcc, s[40:41]
	v_cndmask_b32_e64 v3, v3, 0, s[40:41]
	v_or_b32_e32 v59, v3, v24
.LBB2_3606:                             ;   in Loop: Header=BB2_3120 Depth=3
	s_or_b64 exec, exec, s[46:47]
                                        ; implicit-def: $vgpr24
.LBB2_3607:                             ;   in Loop: Header=BB2_3120 Depth=3
	s_andn2_saveexec_b64 s[40:41], s[44:45]
; %bb.3608:                             ;   in Loop: Header=BB2_3120 Depth=3
	v_or_b32_e32 v59, 0x7e, v24
; %bb.3609:                             ;   in Loop: Header=BB2_3120 Depth=3
	s_or_b64 exec, exec, s[40:41]
                                        ; implicit-def: $vgpr12
.LBB2_3610:                             ;   in Loop: Header=BB2_3120 Depth=3
	s_andn2_saveexec_b64 s[40:41], s[42:43]
; %bb.3611:                             ;   in Loop: Header=BB2_3120 Depth=3
	v_or_b32_sdwa v59, v12, s97 dst_sel:DWORD dst_unused:UNUSED_PAD src0_sel:BYTE_3 src1_sel:DWORD
; %bb.3612:                             ;   in Loop: Header=BB2_3120 Depth=3
	s_or_b64 exec, exec, s[40:41]
	v_and_b32_e32 v3, 7, v15
	v_ffbh_u32_e32 v3, v3
	v_and_b32_e32 v4, 0x7f, v15
	v_min_u32_e32 v3, 32, v3
	v_cmp_eq_u32_e64 s[40:41], s97, v4
	v_cmp_gt_u32_e32 vcc, 8, v4
	v_subrev_u32_e32 v4, 28, v3
	v_mov_b32_e32 v8, v15
	v_mov_b32_e32 v9, v35
	v_bfe_u32 v12, v15, 3, 4
	v_sub_u32_e32 v3, 29, v3
	v_cndmask_b32_e32 v4, 0, v4, vcc
	v_cndmask_b32_e32 v3, v12, v3, vcc
	v_lshlrev_b64 v[12:13], v4, v[8:9]
	v_lshlrev_b32_e32 v9, 24, v15
	v_lshlrev_b32_e32 v4, 20, v12
	v_and_b32_e32 v4, 0x700000, v4
	v_and_b32_e32 v9, 0x80000000, v9
	v_lshl_add_u32 v3, v3, 23, v48
	v_mov_b32_e32 v34, v11
	v_or3_b32 v9, v9, v3, v4
	v_cmp_ne_u16_sdwa s[42:43], v11, v35 src0_sel:BYTE_0 src1_sel:DWORD
	s_mov_b64 s[44:45], -1
	s_and_b64 vcc, exec, s[52:53]
                                        ; implicit-def: $vgpr12
	s_cbranch_vccz .LBB2_3626
; %bb.3613:                             ;   in Loop: Header=BB2_3120 Depth=3
	v_mov_b32_e32 v12, 0
	s_and_saveexec_b64 s[44:45], s[42:43]
	s_cbranch_execz .LBB2_3619
; %bb.3614:                             ;   in Loop: Header=BB2_3120 Depth=3
	v_cmp_ne_u16_sdwa vcc, v11, s59 src0_sel:BYTE_0 src1_sel:DWORD
	v_bfrev_b32_e32 v12, 1
	s_and_saveexec_b64 s[46:47], vcc
	s_cbranch_execz .LBB2_3618
; %bb.3615:                             ;   in Loop: Header=BB2_3120 Depth=3
	v_and_b32_e32 v13, 0x7f, v11
	v_cmp_ne_u32_e32 vcc, s97, v13
	v_mov_b32_e32 v12, 0x7f800001
	s_and_saveexec_b64 s[54:55], vcc
	s_cbranch_execz .LBB2_3617
; %bb.3616:                             ;   in Loop: Header=BB2_3120 Depth=3
	v_and_b32_e32 v3, 7, v11
	v_ffbh_u32_e32 v3, v3
	v_min_u32_e32 v3, 32, v3
	v_lshrrev_b32_e32 v4, 3, v13
	v_cmp_gt_u32_e32 vcc, 8, v13
	v_subrev_u32_e32 v12, 28, v3
	v_sub_u32_e32 v3, 29, v3
	v_cndmask_b32_e32 v3, v4, v3, vcc
	v_cndmask_b32_e32 v4, 0, v12, vcc
	v_lshlrev_b64 v[12:13], v4, v[34:35]
	v_lshl_add_u32 v3, v3, 23, v48
	v_lshlrev_b32_e32 v4, 20, v12
	v_lshlrev_b32_e32 v12, 24, v34
	v_and_b32_e32 v4, 0x700000, v4
	v_and_b32_e32 v12, 0x80000000, v12
	v_or3_b32 v12, v12, v3, v4
.LBB2_3617:                             ;   in Loop: Header=BB2_3120 Depth=3
	s_or_b64 exec, exec, s[54:55]
.LBB2_3618:                             ;   in Loop: Header=BB2_3120 Depth=3
	s_or_b64 exec, exec, s[46:47]
.LBB2_3619:                             ;   in Loop: Header=BB2_3120 Depth=3
	s_or_b64 exec, exec, s[44:45]
	v_cmp_gt_i16_sdwa s[46:47], v15, s97 src0_sel:BYTE_0 src1_sel:DWORD
	s_mov_b64 s[44:45], 0
	s_and_saveexec_b64 vcc, s[46:47]
	s_xor_b64 s[46:47], exec, vcc
	s_cbranch_execz .LBB2_3815
; %bb.3620:                             ;   in Loop: Header=BB2_3120 Depth=3
	v_cmp_eq_u16_sdwa s[54:55], v15, s59 src0_sel:BYTE_0 src1_sel:DWORD
	s_mov_b64 s[44:45], -1
	s_and_saveexec_b64 vcc, s[54:55]
; %bb.3621:                             ;   in Loop: Header=BB2_3120 Depth=3
	s_xor_b64 s[44:45], exec, -1
; %bb.3622:                             ;   in Loop: Header=BB2_3120 Depth=3
	s_or_b64 exec, exec, vcc
	s_and_b64 s[44:45], s[44:45], exec
	s_or_saveexec_b64 s[46:47], s[46:47]
	v_bfrev_b32_e32 v13, 1
	s_xor_b64 exec, exec, s[46:47]
	s_cbranch_execnz .LBB2_3816
.LBB2_3623:                             ;   in Loop: Header=BB2_3120 Depth=3
	s_or_b64 exec, exec, s[46:47]
	s_and_saveexec_b64 s[46:47], s[44:45]
.LBB2_3624:                             ;   in Loop: Header=BB2_3120 Depth=3
	v_cndmask_b32_e64 v13, v9, v49, s[40:41]
.LBB2_3625:                             ;   in Loop: Header=BB2_3120 Depth=3
	s_or_b64 exec, exec, s[46:47]
	v_max_f32_e32 v3, v13, v13
	v_max_f32_e32 v4, v12, v12
	;; [unrolled: 1-line block ×3, first 2 shown]
	s_mov_b64 s[44:45], 0
.LBB2_3626:                             ;   in Loop: Header=BB2_3120 Depth=3
	s_and_b64 vcc, exec, s[44:45]
	s_cbranch_vccz .LBB2_3640
; %bb.3627:                             ;   in Loop: Header=BB2_3120 Depth=3
	v_mov_b32_e32 v12, 0
	s_and_saveexec_b64 s[44:45], s[42:43]
	s_cbranch_execz .LBB2_3633
; %bb.3628:                             ;   in Loop: Header=BB2_3120 Depth=3
	v_cmp_ne_u16_sdwa s[46:47], v11, s59 src0_sel:BYTE_0 src1_sel:DWORD
	v_bfrev_b32_e32 v12, 1
	s_and_saveexec_b64 s[42:43], s[46:47]
	s_cbranch_execz .LBB2_3632
; %bb.3629:                             ;   in Loop: Header=BB2_3120 Depth=3
	v_and_b32_e32 v13, 0x7f, v11
	v_cmp_ne_u32_e32 vcc, s97, v13
	v_mov_b32_e32 v12, 0x7f800001
	s_and_saveexec_b64 s[46:47], vcc
	s_cbranch_execz .LBB2_3631
; %bb.3630:                             ;   in Loop: Header=BB2_3120 Depth=3
	v_and_b32_e32 v3, 7, v11
	v_ffbh_u32_e32 v3, v3
	v_min_u32_e32 v3, 32, v3
	v_lshrrev_b32_e32 v4, 3, v13
	v_cmp_gt_u32_e32 vcc, 8, v13
	v_subrev_u32_e32 v12, 28, v3
	v_sub_u32_e32 v3, 29, v3
	v_cndmask_b32_e32 v3, v4, v3, vcc
	v_cndmask_b32_e32 v4, 0, v12, vcc
	v_lshlrev_b64 v[12:13], v4, v[34:35]
	v_lshl_add_u32 v3, v3, 23, v48
	v_lshlrev_b32_e32 v4, 20, v12
	v_lshlrev_b32_e32 v12, 24, v34
	v_and_b32_e32 v4, 0x700000, v4
	v_and_b32_e32 v12, 0x80000000, v12
	v_or3_b32 v12, v12, v3, v4
.LBB2_3631:                             ;   in Loop: Header=BB2_3120 Depth=3
	s_or_b64 exec, exec, s[46:47]
.LBB2_3632:                             ;   in Loop: Header=BB2_3120 Depth=3
	s_or_b64 exec, exec, s[42:43]
.LBB2_3633:                             ;   in Loop: Header=BB2_3120 Depth=3
	s_or_b64 exec, exec, s[44:45]
	v_cmp_gt_i16_sdwa s[44:45], v15, s97 src0_sel:BYTE_0 src1_sel:DWORD
	s_mov_b64 s[42:43], 0
	s_and_saveexec_b64 s[46:47], s[44:45]
	s_xor_b64 s[44:45], exec, s[46:47]
	s_cbranch_execz .LBB2_3817
; %bb.3634:                             ;   in Loop: Header=BB2_3120 Depth=3
	v_cmp_eq_u16_sdwa vcc, v15, s59 src0_sel:BYTE_0 src1_sel:DWORD
	s_mov_b64 s[42:43], -1
	s_and_saveexec_b64 s[46:47], vcc
; %bb.3635:                             ;   in Loop: Header=BB2_3120 Depth=3
	s_xor_b64 s[42:43], exec, -1
; %bb.3636:                             ;   in Loop: Header=BB2_3120 Depth=3
	s_or_b64 exec, exec, s[46:47]
	s_and_b64 s[42:43], s[42:43], exec
	s_or_saveexec_b64 s[44:45], s[44:45]
	v_bfrev_b32_e32 v13, 1
	s_xor_b64 exec, exec, s[44:45]
	s_cbranch_execnz .LBB2_3818
.LBB2_3637:                             ;   in Loop: Header=BB2_3120 Depth=3
	s_or_b64 exec, exec, s[44:45]
	s_and_saveexec_b64 s[44:45], s[42:43]
.LBB2_3638:                             ;   in Loop: Header=BB2_3120 Depth=3
	v_cndmask_b32_e64 v13, v9, v49, s[40:41]
.LBB2_3639:                             ;   in Loop: Header=BB2_3120 Depth=3
	s_or_b64 exec, exec, s[44:45]
	v_max_f32_e32 v3, v13, v13
	v_max_f32_e32 v4, v12, v12
	v_min_f32_e32 v12, v4, v3
.LBB2_3640:                             ;   in Loop: Header=BB2_3120 Depth=3
	v_and_b32_e32 v24, 0x7f800000, v12
	v_mov_b32_e32 v25, v35
	v_cmp_ne_u64_e32 vcc, s[90:91], v[24:25]
                                        ; implicit-def: $vgpr24
	s_and_saveexec_b64 s[40:41], vcc
	s_xor_b64 s[42:43], exec, s[40:41]
	s_cbranch_execz .LBB2_3654
; %bb.3641:                             ;   in Loop: Header=BB2_3120 Depth=3
	v_and_b32_e32 v24, 0x7fffffff, v12
	v_mov_b32_e32 v25, v35
	v_cmp_gt_u64_e32 vcc, s[92:93], v[24:25]
	v_and_b32_sdwa v9, v12, s59 dst_sel:DWORD dst_unused:UNUSED_PAD src0_sel:BYTE_3 src1_sel:DWORD
                                        ; implicit-def: $vgpr24
	s_and_saveexec_b64 s[40:41], vcc
	s_xor_b64 s[44:45], exec, s[40:41]
	s_cbranch_execz .LBB2_3651
; %bb.3642:                             ;   in Loop: Header=BB2_3120 Depth=3
	v_mov_b32_e32 v24, 0
	v_cmp_ne_u32_e32 vcc, 0, v12
	s_and_saveexec_b64 s[46:47], vcc
	s_cbranch_execz .LBB2_3650
; %bb.3643:                             ;   in Loop: Header=BB2_3120 Depth=3
	v_bfe_u32 v24, v12, 23, 8
	v_cmp_gt_u32_e64 s[40:41], s56, v24
	v_sub_u32_e32 v4, 0x79, v24
	v_and_b32_e32 v3, 0x7fffff, v12
	v_cmp_eq_u32_e32 vcc, 0, v24
	v_cndmask_b32_e64 v4, 0, v4, s[40:41]
	v_mov_b32_e32 v13, 0x78
	v_or_b32_e32 v12, 0x800000, v3
	v_cndmask_b32_e32 v25, v4, v13, vcc
	v_cndmask_b32_e32 v12, v12, v3, vcc
	v_add_u32_e32 v3, 20, v25
	v_lshlrev_b64 v[42:43], v3, -1
	v_mov_b32_e32 v13, v35
	v_add_u32_e32 v3, 19, v25
	v_bfi_b32 v42, v42, 0, v12
	v_lshlrev_b64 v[57:58], v3, 1
	v_lshrrev_b64 v[12:13], v25, v[12:13]
	v_bfi_b32 v43, v43, 0, 0
	v_cmp_eq_u64_e64 s[40:41], v[42:43], v[57:58]
	v_mov_b32_e32 v58, v13
	v_mov_b32_e32 v57, v12
	s_and_saveexec_b64 s[54:55], s[40:41]
; %bb.3644:                             ;   in Loop: Header=BB2_3120 Depth=3
	v_bfe_u32 v3, v12, 20, 1
	v_add_co_u32_e64 v3, s[40:41], v12, v3
	v_add_co_u32_e64 v57, s[40:41], -1, v3
; %bb.3645:                             ;   in Loop: Header=BB2_3120 Depth=3
	s_or_b64 exec, exec, s[54:55]
	v_add_u32_e32 v3, 0xffffff81, v24
	v_cndmask_b32_e32 v3, v3, v52, vcc
	v_lshrrev_b32_e32 v4, 23, v12
	v_add3_u32 v58, v25, v3, v4
	v_add_u32_e32 v25, 6, v58
	v_and_b32_e32 v3, 0xfffff, v57
	v_add_u32_e32 v12, v3, v12
	v_mov_b32_e32 v13, v35
	v_cmp_ne_u32_e32 vcc, 0, v25
                                        ; implicit-def: $vgpr24
	s_and_saveexec_b64 s[40:41], vcc
	s_xor_b64 s[40:41], exec, s[40:41]
; %bb.3646:                             ;   in Loop: Header=BB2_3120 Depth=3
	v_cmp_lt_u64_e32 vcc, s[94:95], v[12:13]
	v_add_u32_e32 v3, 7, v58
	v_cndmask_b32_e32 v24, v25, v3, vcc
	v_cndmask_b32_e64 v3, 0, 1, vcc
	v_lshrrev_b64 v[12:13], v3, v[12:13]
; %bb.3647:                             ;   in Loop: Header=BB2_3120 Depth=3
	s_andn2_saveexec_b64 s[40:41], s[40:41]
; %bb.3648:                             ;   in Loop: Header=BB2_3120 Depth=3
	v_bfe_u32 v24, v12, 23, 1
; %bb.3649:                             ;   in Loop: Header=BB2_3120 Depth=3
	s_or_b64 exec, exec, s[40:41]
	v_lshrrev_b64 v[12:13], 20, v[12:13]
	v_cmp_gt_i32_e32 vcc, 16, v24
	v_cndmask_b32_e32 v13, 0, v13, vcc
	v_cndmask_b32_e32 v12, 7, v12, vcc
	v_min_i32_e32 v3, 15, v24
	v_cmp_eq_u64_e64 s[40:41], 0, v[12:13]
	v_lshlrev_b32_e32 v3, 3, v3
	v_cmp_eq_u32_e32 vcc, 0, v24
	v_and_b32_e32 v3, 0xf8, v3
	v_and_or_b32 v3, v12, 7, v3
	s_and_b64 s[40:41], vcc, s[40:41]
	v_cndmask_b32_e64 v3, v3, 0, s[40:41]
	v_or_b32_e32 v24, v3, v9
.LBB2_3650:                             ;   in Loop: Header=BB2_3120 Depth=3
	s_or_b64 exec, exec, s[46:47]
                                        ; implicit-def: $vgpr9
.LBB2_3651:                             ;   in Loop: Header=BB2_3120 Depth=3
	s_andn2_saveexec_b64 s[40:41], s[44:45]
; %bb.3652:                             ;   in Loop: Header=BB2_3120 Depth=3
	v_or_b32_e32 v24, 0x7e, v9
; %bb.3653:                             ;   in Loop: Header=BB2_3120 Depth=3
	s_or_b64 exec, exec, s[40:41]
                                        ; implicit-def: $vgpr12
.LBB2_3654:                             ;   in Loop: Header=BB2_3120 Depth=3
	s_andn2_saveexec_b64 s[40:41], s[42:43]
; %bb.3655:                             ;   in Loop: Header=BB2_3120 Depth=3
	v_or_b32_sdwa v24, v12, s97 dst_sel:DWORD dst_unused:UNUSED_PAD src0_sel:BYTE_3 src1_sel:DWORD
; %bb.3656:                             ;   in Loop: Header=BB2_3120 Depth=3
	s_or_b64 exec, exec, s[40:41]
	v_lshrrev_b16_e32 v8, 8, v8
	v_and_b32_e32 v3, 7, v8
	v_and_b32_e32 v4, 0x7f, v8
	v_cmp_eq_u32_e64 s[40:41], s97, v4
	v_cmp_gt_u32_e32 vcc, 8, v4
	v_ffbh_u32_e32 v4, v3
	v_min_u32_e32 v4, 32, v4
	v_mov_b32_e32 v9, v35
	v_subrev_u32_e32 v25, 28, v4
	v_lshlrev_b64 v[42:43], v25, v[8:9]
	v_bfe_u32 v13, v8, 3, 4
	v_sub_u32_e32 v4, 29, v4
	v_and_b32_e32 v9, 7, v42
	v_cndmask_b32_e32 v4, v13, v4, vcc
	v_cndmask_b32_e32 v3, v3, v9, vcc
	v_lshlrev_b32_e32 v9, 24, v8
	v_lshrrev_b16_e32 v12, 8, v34
	v_lshlrev_b32_e32 v3, 20, v3
	v_and_b32_e32 v9, 0x80000000, v9
	v_lshl_add_u32 v4, v4, 23, v48
	v_or3_b32 v9, v9, v4, v3
	v_cmp_ne_u16_e64 s[42:43], 0, v12
	s_mov_b64 s[44:45], -1
	s_and_b64 vcc, exec, s[52:53]
                                        ; implicit-def: $vgpr13
	s_cbranch_vccz .LBB2_3670
; %bb.3657:                             ;   in Loop: Header=BB2_3120 Depth=3
	v_mov_b32_e32 v13, 0
	s_and_saveexec_b64 s[44:45], s[42:43]
	s_cbranch_execz .LBB2_3663
; %bb.3658:                             ;   in Loop: Header=BB2_3120 Depth=3
	v_cmp_ne_u16_e32 vcc, s59, v12
	v_bfrev_b32_e32 v13, 1
	s_and_saveexec_b64 s[46:47], vcc
	s_cbranch_execz .LBB2_3662
; %bb.3659:                             ;   in Loop: Header=BB2_3120 Depth=3
	v_and_b32_e32 v25, 0x7f, v12
	v_cmp_ne_u32_e32 vcc, s97, v25
	v_mov_b32_e32 v13, 0x7f800001
	s_and_saveexec_b64 s[54:55], vcc
	s_cbranch_execz .LBB2_3661
; %bb.3660:                             ;   in Loop: Header=BB2_3120 Depth=3
	v_and_b32_e32 v3, 7, v12
	v_ffbh_u32_e32 v13, v3
	v_min_u32_e32 v13, 32, v13
	v_lshrrev_b32_e32 v4, 3, v25
	v_cmp_gt_u32_e32 vcc, 8, v25
	v_subrev_u32_e32 v25, 28, v13
	v_lshlrev_b64 v[42:43], v25, v[12:13]
	v_sub_u32_e32 v13, 29, v13
	v_and_b32_e32 v25, 7, v42
	v_cndmask_b32_e32 v4, v4, v13, vcc
	v_cndmask_b32_e32 v3, v3, v25, vcc
	v_lshlrev_b32_e32 v13, 16, v34
	v_lshlrev_b32_e32 v3, 20, v3
	v_and_b32_e32 v13, 0x80000000, v13
	v_lshl_add_u32 v4, v4, 23, v48
	v_or3_b32 v13, v13, v4, v3
.LBB2_3661:                             ;   in Loop: Header=BB2_3120 Depth=3
	s_or_b64 exec, exec, s[54:55]
.LBB2_3662:                             ;   in Loop: Header=BB2_3120 Depth=3
	s_or_b64 exec, exec, s[46:47]
.LBB2_3663:                             ;   in Loop: Header=BB2_3120 Depth=3
	s_or_b64 exec, exec, s[44:45]
	v_cmp_lt_i16_e32 vcc, s97, v8
	s_mov_b64 s[44:45], 0
	s_and_saveexec_b64 s[46:47], vcc
	s_xor_b64 s[46:47], exec, s[46:47]
	s_cbranch_execz .LBB2_3819
; %bb.3664:                             ;   in Loop: Header=BB2_3120 Depth=3
	v_cmp_eq_u16_e32 vcc, s59, v8
	s_mov_b64 s[44:45], -1
	s_and_saveexec_b64 s[54:55], vcc
; %bb.3665:                             ;   in Loop: Header=BB2_3120 Depth=3
	s_xor_b64 s[44:45], exec, -1
; %bb.3666:                             ;   in Loop: Header=BB2_3120 Depth=3
	s_or_b64 exec, exec, s[54:55]
	s_and_b64 s[44:45], s[44:45], exec
	s_or_saveexec_b64 s[46:47], s[46:47]
	v_bfrev_b32_e32 v25, 1
	s_xor_b64 exec, exec, s[46:47]
	s_cbranch_execnz .LBB2_3820
.LBB2_3667:                             ;   in Loop: Header=BB2_3120 Depth=3
	s_or_b64 exec, exec, s[46:47]
	s_and_saveexec_b64 s[46:47], s[44:45]
.LBB2_3668:                             ;   in Loop: Header=BB2_3120 Depth=3
	v_cndmask_b32_e64 v25, v9, v49, s[40:41]
.LBB2_3669:                             ;   in Loop: Header=BB2_3120 Depth=3
	s_or_b64 exec, exec, s[46:47]
	v_max_f32_e32 v3, v25, v25
	v_max_f32_e32 v4, v13, v13
	;; [unrolled: 1-line block ×3, first 2 shown]
	s_mov_b64 s[44:45], 0
.LBB2_3670:                             ;   in Loop: Header=BB2_3120 Depth=3
	s_and_b64 vcc, exec, s[44:45]
	s_cbranch_vccz .LBB2_3684
; %bb.3671:                             ;   in Loop: Header=BB2_3120 Depth=3
	v_mov_b32_e32 v13, 0
	s_and_saveexec_b64 s[44:45], s[42:43]
	s_cbranch_execz .LBB2_3677
; %bb.3672:                             ;   in Loop: Header=BB2_3120 Depth=3
	v_cmp_ne_u16_e32 vcc, s59, v12
	v_bfrev_b32_e32 v13, 1
	s_and_saveexec_b64 s[42:43], vcc
	s_cbranch_execz .LBB2_3676
; %bb.3673:                             ;   in Loop: Header=BB2_3120 Depth=3
	v_and_b32_e32 v25, 0x7f, v12
	v_cmp_ne_u32_e32 vcc, s97, v25
	v_mov_b32_e32 v13, 0x7f800001
	s_and_saveexec_b64 s[46:47], vcc
	s_cbranch_execz .LBB2_3675
; %bb.3674:                             ;   in Loop: Header=BB2_3120 Depth=3
	v_and_b32_e32 v3, 7, v12
	v_ffbh_u32_e32 v13, v3
	v_lshrrev_b32_e32 v4, 3, v25
	v_cmp_gt_u32_e32 vcc, 8, v25
	v_min_u32_e32 v25, 32, v13
	v_subrev_u32_e32 v13, 28, v25
	v_lshlrev_b64 v[12:13], v13, v[12:13]
	v_sub_u32_e32 v13, 29, v25
	v_and_b32_e32 v12, 7, v12
	v_cndmask_b32_e32 v4, v4, v13, vcc
	v_cndmask_b32_e32 v3, v3, v12, vcc
	v_lshlrev_b32_e32 v12, 16, v34
	v_lshlrev_b32_e32 v3, 20, v3
	v_and_b32_e32 v12, 0x80000000, v12
	v_lshl_add_u32 v4, v4, 23, v48
	v_or3_b32 v13, v12, v4, v3
.LBB2_3675:                             ;   in Loop: Header=BB2_3120 Depth=3
	s_or_b64 exec, exec, s[46:47]
.LBB2_3676:                             ;   in Loop: Header=BB2_3120 Depth=3
	s_or_b64 exec, exec, s[42:43]
.LBB2_3677:                             ;   in Loop: Header=BB2_3120 Depth=3
	s_or_b64 exec, exec, s[44:45]
	v_cmp_lt_i16_e32 vcc, s97, v8
	s_mov_b64 s[42:43], 0
	s_and_saveexec_b64 s[44:45], vcc
	s_xor_b64 s[44:45], exec, s[44:45]
	s_cbranch_execz .LBB2_3821
; %bb.3678:                             ;   in Loop: Header=BB2_3120 Depth=3
	v_cmp_eq_u16_e32 vcc, s59, v8
	s_mov_b64 s[42:43], -1
	s_and_saveexec_b64 s[46:47], vcc
; %bb.3679:                             ;   in Loop: Header=BB2_3120 Depth=3
	s_xor_b64 s[42:43], exec, -1
; %bb.3680:                             ;   in Loop: Header=BB2_3120 Depth=3
	s_or_b64 exec, exec, s[46:47]
	s_and_b64 s[42:43], s[42:43], exec
                                        ; implicit-def: $vgpr8
	s_or_saveexec_b64 s[44:45], s[44:45]
	v_bfrev_b32_e32 v12, 1
	s_xor_b64 exec, exec, s[44:45]
	s_cbranch_execnz .LBB2_3822
.LBB2_3681:                             ;   in Loop: Header=BB2_3120 Depth=3
	s_or_b64 exec, exec, s[44:45]
	s_and_saveexec_b64 s[44:45], s[42:43]
.LBB2_3682:                             ;   in Loop: Header=BB2_3120 Depth=3
	v_cndmask_b32_e64 v12, v9, v49, s[40:41]
.LBB2_3683:                             ;   in Loop: Header=BB2_3120 Depth=3
	s_or_b64 exec, exec, s[44:45]
	v_max_f32_e32 v3, v12, v12
	v_max_f32_e32 v4, v13, v13
	v_min_f32_e32 v13, v4, v3
.LBB2_3684:                             ;   in Loop: Header=BB2_3120 Depth=3
	v_and_b32_e32 v34, 0x7f800000, v13
	v_cmp_ne_u64_e32 vcc, s[90:91], v[34:35]
                                        ; implicit-def: $vgpr25
	s_and_saveexec_b64 s[40:41], vcc
	s_xor_b64 s[42:43], exec, s[40:41]
	s_cbranch_execz .LBB2_3698
; %bb.3685:                             ;   in Loop: Header=BB2_3120 Depth=3
	v_and_b32_e32 v34, 0x7fffffff, v13
	v_cmp_gt_u64_e32 vcc, s[92:93], v[34:35]
	v_and_b32_sdwa v57, v13, s59 dst_sel:DWORD dst_unused:UNUSED_PAD src0_sel:BYTE_3 src1_sel:DWORD
                                        ; implicit-def: $vgpr25
	s_and_saveexec_b64 s[40:41], vcc
	s_xor_b64 s[44:45], exec, s[40:41]
	s_cbranch_execz .LBB2_3695
; %bb.3686:                             ;   in Loop: Header=BB2_3120 Depth=3
	v_mov_b32_e32 v25, 0
	v_cmp_ne_u32_e32 vcc, 0, v13
	s_and_saveexec_b64 s[46:47], vcc
	s_cbranch_execz .LBB2_3694
; %bb.3687:                             ;   in Loop: Header=BB2_3120 Depth=3
	v_bfe_u32 v25, v13, 23, 8
	v_cmp_gt_u32_e64 s[40:41], s56, v25
	v_sub_u32_e32 v4, 0x79, v25
	v_and_b32_e32 v3, 0x7fffff, v13
	v_cmp_eq_u32_e32 vcc, 0, v25
	v_cndmask_b32_e64 v4, 0, v4, s[40:41]
	v_mov_b32_e32 v9, 0x78
	v_or_b32_e32 v8, 0x800000, v3
	v_cndmask_b32_e32 v58, v4, v9, vcc
	v_cndmask_b32_e32 v34, v8, v3, vcc
	v_add_u32_e32 v3, 20, v58
	v_lshlrev_b64 v[8:9], v3, -1
	v_add_u32_e32 v3, 19, v58
	v_lshlrev_b64 v[12:13], v3, 1
	v_bfi_b32 v9, v9, 0, 0
	v_bfi_b32 v8, v8, 0, v34
	v_cmp_eq_u64_e64 s[40:41], v[8:9], v[12:13]
	v_lshrrev_b64 v[8:9], v58, v[34:35]
	v_mov_b32_e32 v13, v9
	v_mov_b32_e32 v12, v8
	s_and_saveexec_b64 s[54:55], s[40:41]
; %bb.3688:                             ;   in Loop: Header=BB2_3120 Depth=3
	v_bfe_u32 v3, v8, 20, 1
	v_add_co_u32_e64 v3, s[40:41], v8, v3
	v_add_co_u32_e64 v12, s[40:41], -1, v3
; %bb.3689:                             ;   in Loop: Header=BB2_3120 Depth=3
	s_or_b64 exec, exec, s[54:55]
	v_add_u32_e32 v3, 0xffffff81, v25
	v_cndmask_b32_e32 v3, v3, v52, vcc
	v_lshrrev_b32_e32 v4, 23, v8
	v_add3_u32 v25, v58, v3, v4
	v_add_u32_e32 v13, 6, v25
	v_and_b32_e32 v3, 0xfffff, v12
	v_add_u32_e32 v34, v3, v8
	v_cmp_ne_u32_e32 vcc, 0, v13
                                        ; implicit-def: $vgpr8_vgpr9
                                        ; implicit-def: $vgpr12
	s_and_saveexec_b64 s[40:41], vcc
	s_xor_b64 s[40:41], exec, s[40:41]
; %bb.3690:                             ;   in Loop: Header=BB2_3120 Depth=3
	v_cmp_lt_u64_e32 vcc, s[94:95], v[34:35]
	v_add_u32_e32 v3, 7, v25
	v_cndmask_b32_e32 v12, v13, v3, vcc
	v_cndmask_b32_e64 v3, 0, 1, vcc
	v_lshrrev_b64 v[8:9], v3, v[34:35]
; %bb.3691:                             ;   in Loop: Header=BB2_3120 Depth=3
	s_andn2_saveexec_b64 s[40:41], s[40:41]
; %bb.3692:                             ;   in Loop: Header=BB2_3120 Depth=3
	v_mov_b32_e32 v8, v34
	v_bfe_u32 v12, v34, 23, 1
	v_mov_b32_e32 v9, v35
; %bb.3693:                             ;   in Loop: Header=BB2_3120 Depth=3
	s_or_b64 exec, exec, s[40:41]
	v_lshrrev_b64 v[8:9], 20, v[8:9]
	v_cmp_gt_i32_e32 vcc, 16, v12
	v_cndmask_b32_e32 v9, 0, v9, vcc
	v_cndmask_b32_e32 v8, 7, v8, vcc
	v_min_i32_e32 v3, 15, v12
	v_cmp_eq_u64_e64 s[40:41], 0, v[8:9]
	v_lshlrev_b32_e32 v3, 3, v3
	v_cmp_eq_u32_e32 vcc, 0, v12
	v_and_b32_e32 v3, 0xf8, v3
	v_and_or_b32 v3, v8, 7, v3
	s_and_b64 s[40:41], vcc, s[40:41]
	v_cndmask_b32_e64 v3, v3, 0, s[40:41]
	v_or_b32_e32 v25, v3, v57
.LBB2_3694:                             ;   in Loop: Header=BB2_3120 Depth=3
	s_or_b64 exec, exec, s[46:47]
                                        ; implicit-def: $vgpr57
.LBB2_3695:                             ;   in Loop: Header=BB2_3120 Depth=3
	s_andn2_saveexec_b64 s[40:41], s[44:45]
; %bb.3696:                             ;   in Loop: Header=BB2_3120 Depth=3
	v_or_b32_e32 v25, 0x7e, v57
; %bb.3697:                             ;   in Loop: Header=BB2_3120 Depth=3
	s_or_b64 exec, exec, s[40:41]
                                        ; implicit-def: $vgpr13
.LBB2_3698:                             ;   in Loop: Header=BB2_3120 Depth=3
	s_andn2_saveexec_b64 s[40:41], s[42:43]
; %bb.3699:                             ;   in Loop: Header=BB2_3120 Depth=3
	v_or_b32_sdwa v25, v13, s97 dst_sel:DWORD dst_unused:UNUSED_PAD src0_sel:BYTE_3 src1_sel:DWORD
; %bb.3700:                             ;   in Loop: Header=BB2_3120 Depth=3
	s_or_b64 exec, exec, s[40:41]
	v_bfe_u32 v3, v15, 16, 3
	v_bfe_u32 v4, v15, 16, 7
	v_cmp_eq_u32_e64 s[40:41], s97, v4
	v_cmp_gt_u32_e32 vcc, 8, v4
	v_ffbh_u32_e32 v4, v3
	v_lshrrev_b32_e32 v8, 16, v15
	v_min_u32_e32 v4, 32, v4
	v_bfe_u32 v9, v8, 3, 4
	v_subrev_u32_e32 v12, 28, v4
	v_lshlrev_b64 v[12:13], v12, v[8:9]
	v_sub_u32_e32 v4, 29, v4
	v_and_b32_e32 v12, 7, v12
	v_cndmask_b32_e32 v4, v9, v4, vcc
	v_cndmask_b32_e32 v3, v3, v12, vcc
	v_lshlrev_b32_e32 v9, 8, v15
	v_lshlrev_b32_e32 v3, 20, v3
	v_and_b32_e32 v9, 0x80000000, v9
	v_lshl_add_u32 v4, v4, 23, v48
	v_or3_b32 v12, v9, v4, v3
	v_lshrrev_b32_e32 v9, 16, v11
	v_cmp_ne_u16_sdwa s[42:43], v9, v35 src0_sel:BYTE_0 src1_sel:DWORD
	s_mov_b64 s[44:45], -1
	s_and_b64 vcc, exec, s[52:53]
                                        ; implicit-def: $vgpr13
	s_cbranch_vccz .LBB2_3714
; %bb.3701:                             ;   in Loop: Header=BB2_3120 Depth=3
	v_mov_b32_e32 v13, 0
	s_and_saveexec_b64 s[44:45], s[42:43]
	s_cbranch_execz .LBB2_3707
; %bb.3702:                             ;   in Loop: Header=BB2_3120 Depth=3
	v_cmp_ne_u16_sdwa vcc, v9, s59 src0_sel:BYTE_0 src1_sel:DWORD
	v_bfrev_b32_e32 v13, 1
	s_and_saveexec_b64 s[46:47], vcc
	s_cbranch_execz .LBB2_3706
; %bb.3703:                             ;   in Loop: Header=BB2_3120 Depth=3
	v_bfe_u32 v34, v11, 16, 7
	v_cmp_ne_u32_e32 vcc, s97, v34
	v_mov_b32_e32 v13, 0x7f800001
	s_and_saveexec_b64 s[54:55], vcc
	s_cbranch_execz .LBB2_3705
; %bb.3704:                             ;   in Loop: Header=BB2_3120 Depth=3
	v_and_b32_e32 v3, 7, v9
	v_ffbh_u32_e32 v13, v3
	v_min_u32_e32 v13, 32, v13
	v_lshrrev_b32_e32 v4, 3, v34
	v_cmp_gt_u32_e32 vcc, 8, v34
	v_subrev_u32_e32 v34, 28, v13
	v_lshlrev_b64 v[42:43], v34, v[9:10]
	v_sub_u32_e32 v13, 29, v13
	v_and_b32_e32 v34, 7, v42
	v_cndmask_b32_e32 v4, v4, v13, vcc
	v_cndmask_b32_e32 v3, v3, v34, vcc
	v_lshlrev_b32_e32 v13, 24, v9
	v_lshlrev_b32_e32 v3, 20, v3
	v_and_b32_e32 v13, 0x80000000, v13
	v_lshl_add_u32 v4, v4, 23, v48
	v_or3_b32 v13, v13, v4, v3
.LBB2_3705:                             ;   in Loop: Header=BB2_3120 Depth=3
	s_or_b64 exec, exec, s[54:55]
.LBB2_3706:                             ;   in Loop: Header=BB2_3120 Depth=3
	s_or_b64 exec, exec, s[46:47]
.LBB2_3707:                             ;   in Loop: Header=BB2_3120 Depth=3
	s_or_b64 exec, exec, s[44:45]
	v_cmp_gt_i16_sdwa s[46:47], v8, s97 src0_sel:BYTE_0 src1_sel:DWORD
	s_mov_b64 s[44:45], 0
	s_and_saveexec_b64 vcc, s[46:47]
	s_xor_b64 s[46:47], exec, vcc
	s_cbranch_execz .LBB2_3823
; %bb.3708:                             ;   in Loop: Header=BB2_3120 Depth=3
	v_cmp_eq_u16_sdwa s[54:55], v8, s59 src0_sel:BYTE_0 src1_sel:DWORD
	s_mov_b64 s[44:45], -1
	s_and_saveexec_b64 vcc, s[54:55]
; %bb.3709:                             ;   in Loop: Header=BB2_3120 Depth=3
	s_xor_b64 s[44:45], exec, -1
; %bb.3710:                             ;   in Loop: Header=BB2_3120 Depth=3
	s_or_b64 exec, exec, vcc
	s_and_b64 s[44:45], s[44:45], exec
	s_or_saveexec_b64 s[46:47], s[46:47]
	v_bfrev_b32_e32 v34, 1
	s_xor_b64 exec, exec, s[46:47]
	s_cbranch_execnz .LBB2_3824
.LBB2_3711:                             ;   in Loop: Header=BB2_3120 Depth=3
	s_or_b64 exec, exec, s[46:47]
	s_and_saveexec_b64 s[46:47], s[44:45]
.LBB2_3712:                             ;   in Loop: Header=BB2_3120 Depth=3
	v_cndmask_b32_e64 v34, v12, v49, s[40:41]
.LBB2_3713:                             ;   in Loop: Header=BB2_3120 Depth=3
	s_or_b64 exec, exec, s[46:47]
	v_max_f32_e32 v3, v34, v34
	v_max_f32_e32 v4, v13, v13
	;; [unrolled: 1-line block ×3, first 2 shown]
	s_mov_b64 s[44:45], 0
.LBB2_3714:                             ;   in Loop: Header=BB2_3120 Depth=3
	s_and_b64 vcc, exec, s[44:45]
	s_cbranch_vccz .LBB2_3728
; %bb.3715:                             ;   in Loop: Header=BB2_3120 Depth=3
	v_mov_b32_e32 v13, 0
	s_and_saveexec_b64 s[44:45], s[42:43]
	s_cbranch_execz .LBB2_3721
; %bb.3716:                             ;   in Loop: Header=BB2_3120 Depth=3
	v_cmp_ne_u16_sdwa s[46:47], v9, s59 src0_sel:BYTE_0 src1_sel:DWORD
	v_bfrev_b32_e32 v13, 1
	s_and_saveexec_b64 s[42:43], s[46:47]
	s_cbranch_execz .LBB2_3720
; %bb.3717:                             ;   in Loop: Header=BB2_3120 Depth=3
	v_bfe_u32 v34, v11, 16, 7
	v_cmp_ne_u32_e32 vcc, s97, v34
	v_mov_b32_e32 v13, 0x7f800001
	s_and_saveexec_b64 s[46:47], vcc
	s_cbranch_execz .LBB2_3719
; %bb.3718:                             ;   in Loop: Header=BB2_3120 Depth=3
	v_and_b32_e32 v3, 7, v9
	v_ffbh_u32_e32 v13, v3
	v_min_u32_e32 v13, 32, v13
	v_lshrrev_b32_e32 v4, 3, v34
	v_cmp_gt_u32_e32 vcc, 8, v34
	v_subrev_u32_e32 v34, 28, v13
	v_lshlrev_b64 v[42:43], v34, v[9:10]
	v_sub_u32_e32 v13, 29, v13
	v_and_b32_e32 v34, 7, v42
	v_cndmask_b32_e32 v4, v4, v13, vcc
	v_cndmask_b32_e32 v3, v3, v34, vcc
	v_lshlrev_b32_e32 v9, 24, v9
	v_lshlrev_b32_e32 v3, 20, v3
	v_and_b32_e32 v9, 0x80000000, v9
	v_lshl_add_u32 v4, v4, 23, v48
	v_or3_b32 v13, v9, v4, v3
.LBB2_3719:                             ;   in Loop: Header=BB2_3120 Depth=3
	s_or_b64 exec, exec, s[46:47]
.LBB2_3720:                             ;   in Loop: Header=BB2_3120 Depth=3
	s_or_b64 exec, exec, s[42:43]
.LBB2_3721:                             ;   in Loop: Header=BB2_3120 Depth=3
	s_or_b64 exec, exec, s[44:45]
	v_cmp_gt_i16_sdwa s[44:45], v8, s97 src0_sel:BYTE_0 src1_sel:DWORD
	s_mov_b64 s[42:43], 0
	s_and_saveexec_b64 s[46:47], s[44:45]
	s_xor_b64 s[44:45], exec, s[46:47]
	s_cbranch_execz .LBB2_3825
; %bb.3722:                             ;   in Loop: Header=BB2_3120 Depth=3
	v_cmp_eq_u16_sdwa vcc, v8, s59 src0_sel:BYTE_0 src1_sel:DWORD
	s_mov_b64 s[42:43], -1
	s_and_saveexec_b64 s[46:47], vcc
; %bb.3723:                             ;   in Loop: Header=BB2_3120 Depth=3
	s_xor_b64 s[42:43], exec, -1
; %bb.3724:                             ;   in Loop: Header=BB2_3120 Depth=3
	s_or_b64 exec, exec, s[46:47]
	s_and_b64 s[42:43], s[42:43], exec
                                        ; implicit-def: $vgpr8
	s_or_saveexec_b64 s[44:45], s[44:45]
	v_bfrev_b32_e32 v9, 1
	s_xor_b64 exec, exec, s[44:45]
	s_cbranch_execnz .LBB2_3826
.LBB2_3725:                             ;   in Loop: Header=BB2_3120 Depth=3
	s_or_b64 exec, exec, s[44:45]
	s_and_saveexec_b64 s[44:45], s[42:43]
.LBB2_3726:                             ;   in Loop: Header=BB2_3120 Depth=3
	v_cndmask_b32_e64 v9, v12, v49, s[40:41]
.LBB2_3727:                             ;   in Loop: Header=BB2_3120 Depth=3
	s_or_b64 exec, exec, s[44:45]
	v_max_f32_e32 v3, v9, v9
	v_max_f32_e32 v4, v13, v13
	v_min_f32_e32 v13, v4, v3
.LBB2_3728:                             ;   in Loop: Header=BB2_3120 Depth=3
	v_and_b32_e32 v34, 0x7f800000, v13
	v_cmp_ne_u64_e32 vcc, s[90:91], v[34:35]
                                        ; implicit-def: $vgpr12
	s_and_saveexec_b64 s[40:41], vcc
	s_xor_b64 s[42:43], exec, s[40:41]
	s_cbranch_execz .LBB2_3742
; %bb.3729:                             ;   in Loop: Header=BB2_3120 Depth=3
	v_and_b32_e32 v34, 0x7fffffff, v13
	v_cmp_gt_u64_e32 vcc, s[92:93], v[34:35]
	v_and_b32_sdwa v57, v13, s59 dst_sel:DWORD dst_unused:UNUSED_PAD src0_sel:BYTE_3 src1_sel:DWORD
                                        ; implicit-def: $vgpr12
	s_and_saveexec_b64 s[40:41], vcc
	s_xor_b64 s[44:45], exec, s[40:41]
	s_cbranch_execz .LBB2_3739
; %bb.3730:                             ;   in Loop: Header=BB2_3120 Depth=3
	v_mov_b32_e32 v12, 0
	v_cmp_ne_u32_e32 vcc, 0, v13
	s_and_saveexec_b64 s[46:47], vcc
	s_cbranch_execz .LBB2_3738
; %bb.3731:                             ;   in Loop: Header=BB2_3120 Depth=3
	v_bfe_u32 v58, v13, 23, 8
	v_cmp_gt_u32_e64 s[40:41], s56, v58
	v_sub_u32_e32 v4, 0x79, v58
	v_and_b32_e32 v3, 0x7fffff, v13
	v_cmp_eq_u32_e32 vcc, 0, v58
	v_cndmask_b32_e64 v4, 0, v4, s[40:41]
	v_mov_b32_e32 v9, 0x78
	v_or_b32_e32 v8, 0x800000, v3
	v_cndmask_b32_e32 v60, v4, v9, vcc
	v_cndmask_b32_e32 v34, v8, v3, vcc
	v_add_u32_e32 v3, 20, v60
	v_lshlrev_b64 v[8:9], v3, -1
	v_add_u32_e32 v3, 19, v60
	v_lshlrev_b64 v[12:13], v3, 1
	v_bfi_b32 v9, v9, 0, 0
	v_bfi_b32 v8, v8, 0, v34
	v_cmp_eq_u64_e64 s[40:41], v[8:9], v[12:13]
	v_lshrrev_b64 v[8:9], v60, v[34:35]
	v_mov_b32_e32 v13, v9
	v_mov_b32_e32 v12, v8
	s_and_saveexec_b64 s[54:55], s[40:41]
; %bb.3732:                             ;   in Loop: Header=BB2_3120 Depth=3
	v_bfe_u32 v3, v8, 20, 1
	v_add_co_u32_e64 v3, s[40:41], v8, v3
	v_add_co_u32_e64 v12, s[40:41], -1, v3
; %bb.3733:                             ;   in Loop: Header=BB2_3120 Depth=3
	s_or_b64 exec, exec, s[54:55]
	v_add_u32_e32 v3, 0xffffff81, v58
	v_cndmask_b32_e32 v3, v3, v52, vcc
	v_lshrrev_b32_e32 v4, 23, v8
	v_add3_u32 v58, v60, v3, v4
	v_add_u32_e32 v13, 6, v58
	v_and_b32_e32 v3, 0xfffff, v12
	v_add_u32_e32 v34, v3, v8
	v_cmp_ne_u32_e32 vcc, 0, v13
                                        ; implicit-def: $vgpr8_vgpr9
                                        ; implicit-def: $vgpr12
	s_and_saveexec_b64 s[40:41], vcc
	s_xor_b64 s[40:41], exec, s[40:41]
; %bb.3734:                             ;   in Loop: Header=BB2_3120 Depth=3
	v_cmp_lt_u64_e32 vcc, s[94:95], v[34:35]
	v_add_u32_e32 v3, 7, v58
	v_cndmask_b32_e32 v12, v13, v3, vcc
	v_cndmask_b32_e64 v3, 0, 1, vcc
	v_lshrrev_b64 v[8:9], v3, v[34:35]
; %bb.3735:                             ;   in Loop: Header=BB2_3120 Depth=3
	s_andn2_saveexec_b64 s[40:41], s[40:41]
; %bb.3736:                             ;   in Loop: Header=BB2_3120 Depth=3
	v_mov_b32_e32 v8, v34
	v_bfe_u32 v12, v34, 23, 1
	v_mov_b32_e32 v9, v35
; %bb.3737:                             ;   in Loop: Header=BB2_3120 Depth=3
	s_or_b64 exec, exec, s[40:41]
	v_lshrrev_b64 v[8:9], 20, v[8:9]
	v_cmp_gt_i32_e32 vcc, 16, v12
	v_cndmask_b32_e32 v9, 0, v9, vcc
	v_cndmask_b32_e32 v8, 7, v8, vcc
	v_min_i32_e32 v3, 15, v12
	v_cmp_eq_u64_e64 s[40:41], 0, v[8:9]
	v_lshlrev_b32_e32 v3, 3, v3
	v_cmp_eq_u32_e32 vcc, 0, v12
	v_and_b32_e32 v3, 0xf8, v3
	v_and_or_b32 v3, v8, 7, v3
	s_and_b64 s[40:41], vcc, s[40:41]
	v_cndmask_b32_e64 v3, v3, 0, s[40:41]
	v_or_b32_e32 v12, v3, v57
.LBB2_3738:                             ;   in Loop: Header=BB2_3120 Depth=3
	s_or_b64 exec, exec, s[46:47]
                                        ; implicit-def: $vgpr57
.LBB2_3739:                             ;   in Loop: Header=BB2_3120 Depth=3
	s_andn2_saveexec_b64 s[40:41], s[44:45]
; %bb.3740:                             ;   in Loop: Header=BB2_3120 Depth=3
	v_or_b32_e32 v12, 0x7e, v57
; %bb.3741:                             ;   in Loop: Header=BB2_3120 Depth=3
	s_or_b64 exec, exec, s[40:41]
                                        ; implicit-def: $vgpr13
.LBB2_3742:                             ;   in Loop: Header=BB2_3120 Depth=3
	s_andn2_saveexec_b64 s[40:41], s[42:43]
; %bb.3743:                             ;   in Loop: Header=BB2_3120 Depth=3
	v_or_b32_sdwa v12, v13, s97 dst_sel:DWORD dst_unused:UNUSED_PAD src0_sel:BYTE_3 src1_sel:DWORD
; %bb.3744:                             ;   in Loop: Header=BB2_3120 Depth=3
	s_or_b64 exec, exec, s[40:41]
	v_bfe_u32 v3, v15, 24, 3
	v_bfe_u32 v4, v15, 24, 7
	v_cmp_eq_u32_e64 s[44:45], s97, v4
	v_cmp_gt_u32_e32 vcc, 8, v4
	v_ffbh_u32_e32 v4, v3
	v_min_u32_e32 v4, 32, v4
	v_lshrrev_b32_e32 v9, 24, v15
	v_subrev_u32_e32 v13, 28, v4
	v_cmp_gt_u64_e64 s[40:41], s[60:61], v[14:15]
	v_lshlrev_b64 v[13:14], v13, v[9:10]
	v_bfe_u32 v34, v9, 3, 4
	v_cmp_eq_u32_e64 s[42:43], s59, v9
	v_sub_u32_e32 v4, 29, v4
	v_and_b32_e32 v9, 7, v13
	v_cndmask_b32_e32 v4, v34, v4, vcc
	v_cndmask_b32_e32 v3, v3, v9, vcc
	v_lshlrev_b32_e32 v3, 20, v3
	v_and_b32_e32 v9, 0x80000000, v15
	v_lshl_add_u32 v4, v4, 23, v48
	v_cmp_lt_u64_e64 s[46:47], s[62:63], v[10:11]
	v_lshrrev_b32_e32 v8, 24, v11
	v_or3_b32 v9, v9, v4, v3
	s_mov_b64 s[54:55], -1
	s_and_b64 vcc, exec, s[52:53]
                                        ; implicit-def: $vgpr10
	s_cbranch_vccz .LBB2_3752
; %bb.3745:                             ;   in Loop: Header=BB2_3120 Depth=3
	v_mov_b32_e32 v10, 0
	s_and_saveexec_b64 s[54:55], s[46:47]
	s_cbranch_execz .LBB2_3751
; %bb.3746:                             ;   in Loop: Header=BB2_3120 Depth=3
	v_cmp_ne_u32_e32 vcc, s59, v8
	v_bfrev_b32_e32 v10, 1
	s_and_saveexec_b64 s[64:65], vcc
	s_cbranch_execz .LBB2_3750
; %bb.3747:                             ;   in Loop: Header=BB2_3120 Depth=3
	v_bfe_u32 v13, v11, 24, 7
	v_cmp_ne_u32_e32 vcc, s97, v13
	v_mov_b32_e32 v10, 0x7f800001
	s_and_saveexec_b64 s[66:67], vcc
	s_cbranch_execz .LBB2_3749
; %bb.3748:                             ;   in Loop: Header=BB2_3120 Depth=3
	v_and_b32_e32 v3, 7, v8
	v_ffbh_u32_e32 v10, v3
	v_min_u32_e32 v10, 32, v10
	v_lshrrev_b32_e32 v4, 3, v13
	v_cmp_gt_u32_e32 vcc, 8, v13
	v_subrev_u32_e32 v13, 28, v10
	v_lshlrev_b64 v[13:14], v13, v[8:9]
	v_sub_u32_e32 v10, 29, v10
	v_and_b32_e32 v13, 7, v13
	v_cndmask_b32_e32 v4, v4, v10, vcc
	v_cndmask_b32_e32 v3, v3, v13, vcc
	v_lshlrev_b32_e32 v10, 24, v8
	v_lshlrev_b32_e32 v3, 20, v3
	v_and_b32_e32 v10, 0x80000000, v10
	v_lshl_add_u32 v4, v4, 23, v48
	v_or3_b32 v10, v10, v4, v3
.LBB2_3749:                             ;   in Loop: Header=BB2_3120 Depth=3
	s_or_b64 exec, exec, s[66:67]
.LBB2_3750:                             ;   in Loop: Header=BB2_3120 Depth=3
	s_or_b64 exec, exec, s[64:65]
.LBB2_3751:                             ;   in Loop: Header=BB2_3120 Depth=3
	s_or_b64 exec, exec, s[54:55]
	v_cndmask_b32_e64 v3, v9, v49, s[44:45]
	v_cndmask_b32_e64 v3, v3, v0, s[42:43]
	;; [unrolled: 1-line block ×3, first 2 shown]
	v_max_f32_e32 v3, v3, v3
	v_max_f32_e32 v4, v10, v10
	v_max_f32_e32 v10, v4, v3
	s_mov_b64 s[54:55], 0
.LBB2_3752:                             ;   in Loop: Header=BB2_3120 Depth=3
	s_and_b64 vcc, exec, s[54:55]
	s_cbranch_vccz .LBB2_3760
; %bb.3753:                             ;   in Loop: Header=BB2_3120 Depth=3
	v_mov_b32_e32 v10, 0
	s_and_saveexec_b64 s[54:55], s[46:47]
	s_cbranch_execz .LBB2_3759
; %bb.3754:                             ;   in Loop: Header=BB2_3120 Depth=3
	v_cmp_ne_u32_e32 vcc, s59, v8
	v_bfrev_b32_e32 v10, 1
	s_and_saveexec_b64 s[46:47], vcc
	s_cbranch_execz .LBB2_3758
; %bb.3755:                             ;   in Loop: Header=BB2_3120 Depth=3
	v_bfe_u32 v11, v11, 24, 7
	v_cmp_ne_u32_e32 vcc, s97, v11
	v_mov_b32_e32 v10, 0x7f800001
	s_and_saveexec_b64 s[64:65], vcc
	s_cbranch_execz .LBB2_3757
; %bb.3756:                             ;   in Loop: Header=BB2_3120 Depth=3
	v_and_b32_e32 v3, 7, v8
	v_ffbh_u32_e32 v10, v3
	v_min_u32_e32 v13, 32, v10
	v_subrev_u32_e32 v10, 28, v13
	v_lshrrev_b32_e32 v4, 3, v11
	v_cmp_gt_u32_e32 vcc, 8, v11
	v_lshlrev_b64 v[10:11], v10, v[8:9]
	v_sub_u32_e32 v11, 29, v13
	v_and_b32_e32 v10, 7, v10
	v_cndmask_b32_e32 v4, v4, v11, vcc
	v_cndmask_b32_e32 v3, v3, v10, vcc
	v_lshlrev_b32_e32 v8, 24, v8
	v_lshlrev_b32_e32 v3, 20, v3
	v_and_b32_e32 v8, 0x80000000, v8
	v_lshl_add_u32 v4, v4, 23, v48
	v_or3_b32 v10, v8, v4, v3
.LBB2_3757:                             ;   in Loop: Header=BB2_3120 Depth=3
	s_or_b64 exec, exec, s[64:65]
.LBB2_3758:                             ;   in Loop: Header=BB2_3120 Depth=3
	s_or_b64 exec, exec, s[46:47]
.LBB2_3759:                             ;   in Loop: Header=BB2_3120 Depth=3
	s_or_b64 exec, exec, s[54:55]
	v_cndmask_b32_e64 v3, v9, v49, s[44:45]
	v_cndmask_b32_e64 v3, v3, v0, s[42:43]
	;; [unrolled: 1-line block ×3, first 2 shown]
	v_max_f32_e32 v3, v3, v3
	v_max_f32_e32 v4, v10, v10
	v_min_f32_e32 v10, v4, v3
.LBB2_3760:                             ;   in Loop: Header=BB2_3120 Depth=3
	v_and_b32_e32 v34, 0x7f800000, v10
	v_cmp_ne_u64_e32 vcc, s[90:91], v[34:35]
                                        ; implicit-def: $vgpr13
	s_and_saveexec_b64 s[40:41], vcc
	s_xor_b64 s[42:43], exec, s[40:41]
	s_cbranch_execz .LBB2_3774
; %bb.3761:                             ;   in Loop: Header=BB2_3120 Depth=3
	v_and_b32_e32 v34, 0x7fffffff, v10
	v_cmp_gt_u64_e32 vcc, s[92:93], v[34:35]
	v_and_b32_sdwa v11, v10, s59 dst_sel:DWORD dst_unused:UNUSED_PAD src0_sel:BYTE_3 src1_sel:DWORD
                                        ; implicit-def: $vgpr13
	s_and_saveexec_b64 s[40:41], vcc
	s_xor_b64 s[44:45], exec, s[40:41]
	s_cbranch_execz .LBB2_3771
; %bb.3762:                             ;   in Loop: Header=BB2_3120 Depth=3
	v_mov_b32_e32 v13, 0
	v_cmp_ne_u32_e32 vcc, 0, v10
	s_and_saveexec_b64 s[46:47], vcc
	s_cbranch_execz .LBB2_3770
; %bb.3763:                             ;   in Loop: Header=BB2_3120 Depth=3
	v_bfe_u32 v13, v10, 23, 8
	v_cmp_gt_u32_e64 s[40:41], s56, v13
	v_sub_u32_e32 v4, 0x79, v13
	v_and_b32_e32 v3, 0x7fffff, v10
	v_cmp_eq_u32_e32 vcc, 0, v13
	v_cndmask_b32_e64 v4, 0, v4, s[40:41]
	v_mov_b32_e32 v9, 0x78
	v_or_b32_e32 v8, 0x800000, v3
	v_cndmask_b32_e32 v14, v4, v9, vcc
	v_cndmask_b32_e32 v34, v8, v3, vcc
	v_add_u32_e32 v3, 20, v14
	v_lshlrev_b64 v[8:9], v3, -1
	v_add_u32_e32 v3, 19, v14
	v_lshlrev_b64 v[42:43], v3, 1
	v_bfi_b32 v9, v9, 0, 0
	v_bfi_b32 v8, v8, 0, v34
	v_cmp_eq_u64_e64 s[40:41], v[8:9], v[42:43]
	v_lshrrev_b64 v[8:9], v14, v[34:35]
	v_mov_b32_e32 v10, v9
	v_mov_b32_e32 v9, v8
	s_and_saveexec_b64 s[54:55], s[40:41]
; %bb.3764:                             ;   in Loop: Header=BB2_3120 Depth=3
	v_bfe_u32 v3, v8, 20, 1
	v_add_co_u32_e64 v3, s[40:41], v8, v3
	v_add_co_u32_e64 v9, s[40:41], -1, v3
; %bb.3765:                             ;   in Loop: Header=BB2_3120 Depth=3
	s_or_b64 exec, exec, s[54:55]
	v_add_u32_e32 v3, 0xffffff81, v13
	v_cndmask_b32_e32 v3, v3, v52, vcc
	v_lshrrev_b32_e32 v4, 23, v8
	v_add3_u32 v14, v14, v3, v4
	v_add_u32_e32 v13, 6, v14
	v_and_b32_e32 v3, 0xfffff, v9
	v_add_u32_e32 v34, v3, v8
	v_cmp_ne_u32_e32 vcc, 0, v13
                                        ; implicit-def: $vgpr8_vgpr9
                                        ; implicit-def: $vgpr10
	s_and_saveexec_b64 s[40:41], vcc
	s_xor_b64 s[40:41], exec, s[40:41]
; %bb.3766:                             ;   in Loop: Header=BB2_3120 Depth=3
	v_cmp_lt_u64_e32 vcc, s[94:95], v[34:35]
	v_add_u32_e32 v3, 7, v14
	v_cndmask_b32_e32 v10, v13, v3, vcc
	v_cndmask_b32_e64 v3, 0, 1, vcc
	v_lshrrev_b64 v[8:9], v3, v[34:35]
; %bb.3767:                             ;   in Loop: Header=BB2_3120 Depth=3
	s_andn2_saveexec_b64 s[40:41], s[40:41]
; %bb.3768:                             ;   in Loop: Header=BB2_3120 Depth=3
	v_mov_b32_e32 v8, v34
	v_bfe_u32 v10, v34, 23, 1
	v_mov_b32_e32 v9, v35
; %bb.3769:                             ;   in Loop: Header=BB2_3120 Depth=3
	s_or_b64 exec, exec, s[40:41]
	v_lshrrev_b64 v[8:9], 20, v[8:9]
	v_cmp_gt_i32_e32 vcc, 16, v10
	v_cndmask_b32_e32 v9, 0, v9, vcc
	v_cndmask_b32_e32 v8, 7, v8, vcc
	v_min_i32_e32 v3, 15, v10
	v_cmp_eq_u64_e64 s[40:41], 0, v[8:9]
	v_lshlrev_b32_e32 v3, 3, v3
	v_cmp_eq_u32_e32 vcc, 0, v10
	v_and_b32_e32 v3, 0xf8, v3
	v_and_or_b32 v3, v8, 7, v3
	s_and_b64 s[40:41], vcc, s[40:41]
	v_cndmask_b32_e64 v3, v3, 0, s[40:41]
	v_or_b32_e32 v13, v3, v11
.LBB2_3770:                             ;   in Loop: Header=BB2_3120 Depth=3
	s_or_b64 exec, exec, s[46:47]
                                        ; implicit-def: $vgpr11
.LBB2_3771:                             ;   in Loop: Header=BB2_3120 Depth=3
	s_andn2_saveexec_b64 s[40:41], s[44:45]
; %bb.3772:                             ;   in Loop: Header=BB2_3120 Depth=3
	v_or_b32_e32 v13, 0x7e, v11
; %bb.3773:                             ;   in Loop: Header=BB2_3120 Depth=3
	s_or_b64 exec, exec, s[40:41]
                                        ; implicit-def: $vgpr10
.LBB2_3774:                             ;   in Loop: Header=BB2_3120 Depth=3
	s_andn2_saveexec_b64 s[40:41], s[42:43]
; %bb.3775:                             ;   in Loop: Header=BB2_3120 Depth=3
	v_or_b32_sdwa v13, v10, s97 dst_sel:DWORD dst_unused:UNUSED_PAD src0_sel:BYTE_3 src1_sel:DWORD
; %bb.3776:                             ;   in Loop: Header=BB2_3120 Depth=3
	s_or_b64 exec, exec, s[40:41]
	v_lshl_or_b32 v3, v27, 8, v26
	v_lshlrev_b32_e32 v4, 16, v31
	v_lshlrev_b32_e32 v8, 24, v30
	v_or3_b32 v9, v3, v4, v8
	v_lshl_or_b32 v3, v7, 8, v6
	v_lshlrev_b32_e32 v4, 16, v16
	v_lshlrev_b32_e32 v6, 24, v21
	v_or3_b32 v8, v3, v4, v6
	;; [unrolled: 4-line block ×3, first 2 shown]
	v_lshlrev_b32_e32 v1, 24, v13
	v_lshlrev_b32_e32 v3, 16, v12
	v_lshl_or_b32 v4, v25, 8, v24
	v_or3_b32 v11, v4, v3, v1
	s_mov_b64 s[46:47], 0
	s_mov_b64 s[44:45], -1
.LBB2_3777:                             ;   Parent Loop BB2_47 Depth=1
                                        ;     Parent Loop BB2_2331 Depth=2
                                        ;       Parent Loop BB2_3120 Depth=3
                                        ; =>      This Inner Loop Header: Depth=4
	s_cmp_eq_u32 s46, 1
	s_cselect_b64 s[40:41], -1, 0
	v_cndmask_b32_e64 v6, v40, v61, s[40:41]
	v_cndmask_b32_e64 v7, v41, v37, s[40:41]
	v_add_co_u32_e32 v1, vcc, 0x400, v6
	s_cmp_eq_u32 s46, 0
	v_addc_co_u32_e32 v3, vcc, 0, v7, vcc
	s_cselect_b64 vcc, -1, 0
	s_and_b64 s[42:43], exec, s[44:45]
	s_mov_b64 s[46:47], 1
	v_cndmask_b32_e64 v61, v61, v1, s[40:41]
	s_mov_b64 s[44:45], 0
	v_cndmask_b32_e64 v37, v37, v3, s[40:41]
	v_cndmask_b32_e32 v41, v41, v3, vcc
	v_cndmask_b32_e32 v40, v40, v1, vcc
	s_mov_b64 vcc, s[42:43]
	global_store_dwordx4 v[6:7], v[8:11], off glc slc
	s_cbranch_vccnz .LBB2_3777
; %bb.3778:                             ;   in Loop: Header=BB2_3120 Depth=3
	buffer_load_dword v1, off, s[0:3], s33 offset:64 ; 4-byte Folded Reload
	buffer_load_dword v3, off, s[0:3], s33 offset:68 ; 4-byte Folded Reload
	v_sub_u32_e32 v53, v53, v5
	v_sub_u32_e32 v38, v38, v17
	s_waitcnt vmcnt(1)
	v_add_co_u32_e32 v46, vcc, v46, v1
	s_waitcnt vmcnt(0)
	v_addc_co_u32_e32 v47, vcc, v47, v3, vcc
	v_add_co_u32_e32 v55, vcc, v55, v1
	v_addc_co_u32_e32 v56, vcc, v56, v3, vcc
	buffer_load_dword v3, off, s[0:3], s33 offset:60 ; 4-byte Folded Reload
	v_add_u32_e32 v1, 0xfffffc00, v5
	v_add_co_u32_e32 v40, vcc, v40, v1
	s_waitcnt vmcnt(0)
	v_addc_co_u32_e32 v41, vcc, v41, v3, vcc
	v_add_co_u32_e32 v61, vcc, v61, v1
	v_addc_co_u32_e32 v37, vcc, v37, v3, vcc
	v_cmp_gt_i32_e32 vcc, 16, v53
	s_or_b64 s[50:51], vcc, s[50:51]
	s_andn2_b64 exec, exec, s[50:51]
	s_cbranch_execnz .LBB2_3120
	s_branch .LBB2_3827
.LBB2_3779:                             ;   in Loop: Header=BB2_3120 Depth=3
	s_or_saveexec_b64 s[46:47], s[46:47]
	v_bfrev_b32_e32 v7, 1
	s_xor_b64 exec, exec, s[46:47]
	s_cbranch_execz .LBB2_3131
.LBB2_3780:                             ;   in Loop: Header=BB2_3120 Depth=3
	v_cmp_ne_u16_sdwa vcc, v12, v35 src0_sel:BYTE_0 src1_sel:DWORD
	s_andn2_b64 s[44:45], s[44:45], exec
	s_and_b64 vcc, vcc, exec
	v_mov_b32_e32 v7, 0
	s_or_b64 s[44:45], s[44:45], vcc
	s_or_b64 exec, exec, s[46:47]
	s_and_saveexec_b64 s[46:47], s[44:45]
	s_cbranch_execnz .LBB2_3132
	s_branch .LBB2_3133
.LBB2_3781:                             ;   in Loop: Header=BB2_3120 Depth=3
	s_or_saveexec_b64 s[44:45], s[44:45]
	v_bfrev_b32_e32 v7, 1
	s_xor_b64 exec, exec, s[44:45]
	s_cbranch_execz .LBB2_3145
.LBB2_3782:                             ;   in Loop: Header=BB2_3120 Depth=3
	v_cmp_ne_u16_sdwa s[46:47], v12, v35 src0_sel:BYTE_0 src1_sel:DWORD
	s_andn2_b64 s[42:43], s[42:43], exec
	s_and_b64 s[46:47], s[46:47], exec
	v_mov_b32_e32 v7, 0
	s_or_b64 s[42:43], s[42:43], s[46:47]
	s_or_b64 exec, exec, s[44:45]
	s_and_saveexec_b64 s[44:45], s[42:43]
	s_cbranch_execnz .LBB2_3146
	s_branch .LBB2_3147
.LBB2_3783:                             ;   in Loop: Header=BB2_3120 Depth=3
	s_or_saveexec_b64 s[46:47], s[46:47]
	v_bfrev_b32_e32 v16, 1
	s_xor_b64 exec, exec, s[46:47]
	s_cbranch_execz .LBB2_3175
.LBB2_3784:                             ;   in Loop: Header=BB2_3120 Depth=3
	v_cmp_ne_u16_e32 vcc, 0, v34
	s_andn2_b64 s[44:45], s[44:45], exec
	s_and_b64 vcc, vcc, exec
	v_mov_b32_e32 v16, 0
	s_or_b64 s[44:45], s[44:45], vcc
	s_or_b64 exec, exec, s[46:47]
	s_and_saveexec_b64 s[46:47], s[44:45]
	s_cbranch_execnz .LBB2_3176
	s_branch .LBB2_3177
.LBB2_3785:                             ;   in Loop: Header=BB2_3120 Depth=3
	s_or_saveexec_b64 s[44:45], s[44:45]
	v_bfrev_b32_e32 v16, 1
	s_xor_b64 exec, exec, s[44:45]
	s_cbranch_execz .LBB2_3189
.LBB2_3786:                             ;   in Loop: Header=BB2_3120 Depth=3
	v_cmp_ne_u16_e32 vcc, 0, v34
	s_andn2_b64 s[42:43], s[42:43], exec
	s_and_b64 s[46:47], vcc, exec
	v_mov_b32_e32 v16, 0
	s_or_b64 s[42:43], s[42:43], s[46:47]
	s_or_b64 exec, exec, s[44:45]
	s_and_saveexec_b64 s[44:45], s[42:43]
	s_cbranch_execnz .LBB2_3190
	s_branch .LBB2_3191
.LBB2_3787:                             ;   in Loop: Header=BB2_3120 Depth=3
	s_or_saveexec_b64 s[46:47], s[46:47]
	v_bfrev_b32_e32 v21, 1
	s_xor_b64 exec, exec, s[46:47]
	s_cbranch_execz .LBB2_3219
.LBB2_3788:                             ;   in Loop: Header=BB2_3120 Depth=3
	v_cmp_ne_u16_sdwa vcc, v30, v35 src0_sel:BYTE_0 src1_sel:DWORD
	s_andn2_b64 s[44:45], s[44:45], exec
	s_and_b64 vcc, vcc, exec
	v_mov_b32_e32 v21, 0
	s_or_b64 s[44:45], s[44:45], vcc
	s_or_b64 exec, exec, s[46:47]
	s_and_saveexec_b64 s[46:47], s[44:45]
	s_cbranch_execnz .LBB2_3220
	s_branch .LBB2_3221
.LBB2_3789:                             ;   in Loop: Header=BB2_3120 Depth=3
	s_or_saveexec_b64 s[44:45], s[44:45]
	v_bfrev_b32_e32 v21, 1
	s_xor_b64 exec, exec, s[44:45]
	s_cbranch_execz .LBB2_3233
.LBB2_3790:                             ;   in Loop: Header=BB2_3120 Depth=3
	v_cmp_ne_u16_sdwa s[46:47], v30, v35 src0_sel:BYTE_0 src1_sel:DWORD
	s_andn2_b64 s[42:43], s[42:43], exec
	s_and_b64 s[46:47], s[46:47], exec
	v_mov_b32_e32 v21, 0
	s_or_b64 s[42:43], s[42:43], s[46:47]
	s_or_b64 exec, exec, s[44:45]
	s_and_saveexec_b64 s[44:45], s[42:43]
	s_cbranch_execnz .LBB2_3234
	s_branch .LBB2_3235
.LBB2_3791:                             ;   in Loop: Header=BB2_3120 Depth=3
	s_or_saveexec_b64 s[46:47], s[46:47]
	v_bfrev_b32_e32 v25, 1
	s_xor_b64 exec, exec, s[46:47]
	s_cbranch_execz .LBB2_3295
.LBB2_3792:                             ;   in Loop: Header=BB2_3120 Depth=3
	v_cmp_ne_u16_sdwa vcc, v13, v35 src0_sel:BYTE_0 src1_sel:DWORD
	s_andn2_b64 s[44:45], s[44:45], exec
	s_and_b64 vcc, vcc, exec
	v_mov_b32_e32 v25, 0
	s_or_b64 s[44:45], s[44:45], vcc
	s_or_b64 exec, exec, s[46:47]
	s_and_saveexec_b64 s[46:47], s[44:45]
	s_cbranch_execnz .LBB2_3296
	s_branch .LBB2_3297
.LBB2_3793:                             ;   in Loop: Header=BB2_3120 Depth=3
	s_or_saveexec_b64 s[44:45], s[44:45]
	v_bfrev_b32_e32 v25, 1
	s_xor_b64 exec, exec, s[44:45]
	s_cbranch_execz .LBB2_3309
.LBB2_3794:                             ;   in Loop: Header=BB2_3120 Depth=3
	v_cmp_ne_u16_sdwa s[46:47], v13, v35 src0_sel:BYTE_0 src1_sel:DWORD
	s_andn2_b64 s[42:43], s[42:43], exec
	s_and_b64 s[46:47], s[46:47], exec
	v_mov_b32_e32 v25, 0
	s_or_b64 s[42:43], s[42:43], s[46:47]
	s_or_b64 exec, exec, s[44:45]
	s_and_saveexec_b64 s[44:45], s[42:43]
	s_cbranch_execnz .LBB2_3310
	s_branch .LBB2_3311
.LBB2_3795:                             ;   in Loop: Header=BB2_3120 Depth=3
	s_or_saveexec_b64 s[46:47], s[46:47]
	v_bfrev_b32_e32 v25, 1
	s_xor_b64 exec, exec, s[46:47]
	s_cbranch_execz .LBB2_3339
.LBB2_3796:                             ;   in Loop: Header=BB2_3120 Depth=3
	v_cmp_ne_u16_e32 vcc, 0, v34
	s_andn2_b64 s[44:45], s[44:45], exec
	s_and_b64 vcc, vcc, exec
	v_mov_b32_e32 v25, 0
	s_or_b64 s[44:45], s[44:45], vcc
	s_or_b64 exec, exec, s[46:47]
	s_and_saveexec_b64 s[46:47], s[44:45]
	s_cbranch_execnz .LBB2_3340
	s_branch .LBB2_3341
.LBB2_3797:                             ;   in Loop: Header=BB2_3120 Depth=3
	s_or_saveexec_b64 s[44:45], s[44:45]
	v_bfrev_b32_e32 v25, 1
	s_xor_b64 exec, exec, s[44:45]
	s_cbranch_execz .LBB2_3353
.LBB2_3798:                             ;   in Loop: Header=BB2_3120 Depth=3
	v_cmp_ne_u16_e32 vcc, 0, v34
	s_andn2_b64 s[42:43], s[42:43], exec
	s_and_b64 s[46:47], vcc, exec
	v_mov_b32_e32 v25, 0
	s_or_b64 s[42:43], s[42:43], s[46:47]
	s_or_b64 exec, exec, s[44:45]
	s_and_saveexec_b64 s[44:45], s[42:43]
	s_cbranch_execnz .LBB2_3354
	s_branch .LBB2_3355
.LBB2_3799:                             ;   in Loop: Header=BB2_3120 Depth=3
	s_or_saveexec_b64 s[46:47], s[46:47]
	v_bfrev_b32_e32 v25, 1
	s_xor_b64 exec, exec, s[46:47]
	s_cbranch_execz .LBB2_3383
.LBB2_3800:                             ;   in Loop: Header=BB2_3120 Depth=3
	v_cmp_ne_u16_sdwa vcc, v30, v35 src0_sel:BYTE_0 src1_sel:DWORD
	s_andn2_b64 s[44:45], s[44:45], exec
	s_and_b64 vcc, vcc, exec
	v_mov_b32_e32 v25, 0
	s_or_b64 s[44:45], s[44:45], vcc
	s_or_b64 exec, exec, s[46:47]
	s_and_saveexec_b64 s[46:47], s[44:45]
	s_cbranch_execnz .LBB2_3384
	s_branch .LBB2_3385
.LBB2_3801:                             ;   in Loop: Header=BB2_3120 Depth=3
	s_or_saveexec_b64 s[44:45], s[44:45]
	v_bfrev_b32_e32 v25, 1
	s_xor_b64 exec, exec, s[44:45]
	s_cbranch_execz .LBB2_3397
.LBB2_3802:                             ;   in Loop: Header=BB2_3120 Depth=3
	v_cmp_ne_u16_sdwa s[46:47], v30, v35 src0_sel:BYTE_0 src1_sel:DWORD
	s_andn2_b64 s[42:43], s[42:43], exec
	s_and_b64 s[46:47], s[46:47], exec
	v_mov_b32_e32 v25, 0
	s_or_b64 s[42:43], s[42:43], s[46:47]
	s_or_b64 exec, exec, s[44:45]
	s_and_saveexec_b64 s[44:45], s[42:43]
	s_cbranch_execnz .LBB2_3398
	s_branch .LBB2_3399
.LBB2_3803:                             ;   in Loop: Header=BB2_3120 Depth=3
	s_or_saveexec_b64 s[46:47], s[46:47]
	v_bfrev_b32_e32 v9, 1
	s_xor_b64 exec, exec, s[46:47]
	s_cbranch_execz .LBB2_3459
.LBB2_3804:                             ;   in Loop: Header=BB2_3120 Depth=3
	v_cmp_ne_u16_sdwa vcc, v14, v35 src0_sel:BYTE_0 src1_sel:DWORD
	s_andn2_b64 s[44:45], s[44:45], exec
	s_and_b64 vcc, vcc, exec
	v_mov_b32_e32 v9, 0
	s_or_b64 s[44:45], s[44:45], vcc
	s_or_b64 exec, exec, s[46:47]
	s_and_saveexec_b64 s[46:47], s[44:45]
	s_cbranch_execnz .LBB2_3460
	s_branch .LBB2_3461
.LBB2_3805:                             ;   in Loop: Header=BB2_3120 Depth=3
	s_or_saveexec_b64 s[44:45], s[44:45]
	v_bfrev_b32_e32 v9, 1
	s_xor_b64 exec, exec, s[44:45]
	s_cbranch_execz .LBB2_3473
.LBB2_3806:                             ;   in Loop: Header=BB2_3120 Depth=3
	v_cmp_ne_u16_sdwa s[46:47], v14, v35 src0_sel:BYTE_0 src1_sel:DWORD
	s_andn2_b64 s[42:43], s[42:43], exec
	s_and_b64 s[46:47], s[46:47], exec
	v_mov_b32_e32 v9, 0
	s_or_b64 s[42:43], s[42:43], s[46:47]
	s_or_b64 exec, exec, s[44:45]
	s_and_saveexec_b64 s[44:45], s[42:43]
	s_cbranch_execnz .LBB2_3474
	s_branch .LBB2_3475
.LBB2_3807:                             ;   in Loop: Header=BB2_3120 Depth=3
	s_or_saveexec_b64 s[46:47], s[46:47]
	v_bfrev_b32_e32 v12, 1
	s_xor_b64 exec, exec, s[46:47]
	s_cbranch_execz .LBB2_3503
.LBB2_3808:                             ;   in Loop: Header=BB2_3120 Depth=3
	v_cmp_ne_u16_e32 vcc, 0, v34
	s_andn2_b64 s[44:45], s[44:45], exec
	s_and_b64 vcc, vcc, exec
	v_mov_b32_e32 v12, 0
	s_or_b64 s[44:45], s[44:45], vcc
	s_or_b64 exec, exec, s[46:47]
	s_and_saveexec_b64 s[46:47], s[44:45]
	s_cbranch_execnz .LBB2_3504
	s_branch .LBB2_3505
.LBB2_3809:                             ;   in Loop: Header=BB2_3120 Depth=3
	s_or_saveexec_b64 s[44:45], s[44:45]
	v_bfrev_b32_e32 v8, 1
	s_xor_b64 exec, exec, s[44:45]
	s_cbranch_execz .LBB2_3517
.LBB2_3810:                             ;   in Loop: Header=BB2_3120 Depth=3
	v_cmp_ne_u16_e32 vcc, 0, v34
	s_andn2_b64 s[42:43], s[42:43], exec
	s_and_b64 s[46:47], vcc, exec
	v_mov_b32_e32 v8, 0
	s_or_b64 s[42:43], s[42:43], s[46:47]
	s_or_b64 exec, exec, s[44:45]
	s_and_saveexec_b64 s[44:45], s[42:43]
	s_cbranch_execnz .LBB2_3518
	s_branch .LBB2_3519
.LBB2_3811:                             ;   in Loop: Header=BB2_3120 Depth=3
	s_or_saveexec_b64 s[46:47], s[46:47]
	v_bfrev_b32_e32 v13, 1
	s_xor_b64 exec, exec, s[46:47]
	s_cbranch_execz .LBB2_3547
.LBB2_3812:                             ;   in Loop: Header=BB2_3120 Depth=3
	v_cmp_ne_u16_sdwa vcc, v8, v35 src0_sel:BYTE_0 src1_sel:DWORD
	s_andn2_b64 s[44:45], s[44:45], exec
	s_and_b64 vcc, vcc, exec
	v_mov_b32_e32 v13, 0
	s_or_b64 s[44:45], s[44:45], vcc
	s_or_b64 exec, exec, s[46:47]
	s_and_saveexec_b64 s[46:47], s[44:45]
	s_cbranch_execnz .LBB2_3548
	s_branch .LBB2_3549
.LBB2_3813:                             ;   in Loop: Header=BB2_3120 Depth=3
	s_or_saveexec_b64 s[44:45], s[44:45]
	v_bfrev_b32_e32 v9, 1
	s_xor_b64 exec, exec, s[44:45]
	s_cbranch_execz .LBB2_3561
.LBB2_3814:                             ;   in Loop: Header=BB2_3120 Depth=3
	v_cmp_ne_u16_sdwa s[46:47], v8, v35 src0_sel:BYTE_0 src1_sel:DWORD
	s_andn2_b64 s[42:43], s[42:43], exec
	s_and_b64 s[46:47], s[46:47], exec
	v_mov_b32_e32 v9, 0
	s_or_b64 s[42:43], s[42:43], s[46:47]
	s_or_b64 exec, exec, s[44:45]
	s_and_saveexec_b64 s[44:45], s[42:43]
	s_cbranch_execnz .LBB2_3562
	s_branch .LBB2_3563
.LBB2_3815:                             ;   in Loop: Header=BB2_3120 Depth=3
	s_or_saveexec_b64 s[46:47], s[46:47]
	v_bfrev_b32_e32 v13, 1
	s_xor_b64 exec, exec, s[46:47]
	s_cbranch_execz .LBB2_3623
.LBB2_3816:                             ;   in Loop: Header=BB2_3120 Depth=3
	v_cmp_ne_u16_sdwa vcc, v15, v35 src0_sel:BYTE_0 src1_sel:DWORD
	s_andn2_b64 s[44:45], s[44:45], exec
	s_and_b64 vcc, vcc, exec
	v_mov_b32_e32 v13, 0
	s_or_b64 s[44:45], s[44:45], vcc
	s_or_b64 exec, exec, s[46:47]
	s_and_saveexec_b64 s[46:47], s[44:45]
	s_cbranch_execnz .LBB2_3624
	s_branch .LBB2_3625
.LBB2_3817:                             ;   in Loop: Header=BB2_3120 Depth=3
	s_or_saveexec_b64 s[44:45], s[44:45]
	v_bfrev_b32_e32 v13, 1
	s_xor_b64 exec, exec, s[44:45]
	s_cbranch_execz .LBB2_3637
.LBB2_3818:                             ;   in Loop: Header=BB2_3120 Depth=3
	v_cmp_ne_u16_sdwa s[46:47], v15, v35 src0_sel:BYTE_0 src1_sel:DWORD
	s_andn2_b64 s[42:43], s[42:43], exec
	s_and_b64 s[46:47], s[46:47], exec
	v_mov_b32_e32 v13, 0
	s_or_b64 s[42:43], s[42:43], s[46:47]
	s_or_b64 exec, exec, s[44:45]
	s_and_saveexec_b64 s[44:45], s[42:43]
	s_cbranch_execnz .LBB2_3638
	s_branch .LBB2_3639
.LBB2_3819:                             ;   in Loop: Header=BB2_3120 Depth=3
	s_or_saveexec_b64 s[46:47], s[46:47]
	v_bfrev_b32_e32 v25, 1
	s_xor_b64 exec, exec, s[46:47]
	s_cbranch_execz .LBB2_3667
.LBB2_3820:                             ;   in Loop: Header=BB2_3120 Depth=3
	v_cmp_ne_u16_e32 vcc, 0, v8
	s_andn2_b64 s[44:45], s[44:45], exec
	s_and_b64 vcc, vcc, exec
	v_mov_b32_e32 v25, 0
	s_or_b64 s[44:45], s[44:45], vcc
	s_or_b64 exec, exec, s[46:47]
	s_and_saveexec_b64 s[46:47], s[44:45]
	s_cbranch_execnz .LBB2_3668
	s_branch .LBB2_3669
.LBB2_3821:                             ;   in Loop: Header=BB2_3120 Depth=3
	s_or_saveexec_b64 s[44:45], s[44:45]
	v_bfrev_b32_e32 v12, 1
	s_xor_b64 exec, exec, s[44:45]
	s_cbranch_execz .LBB2_3681
.LBB2_3822:                             ;   in Loop: Header=BB2_3120 Depth=3
	v_cmp_ne_u16_e32 vcc, 0, v8
	s_andn2_b64 s[42:43], s[42:43], exec
	s_and_b64 s[46:47], vcc, exec
	v_mov_b32_e32 v12, 0
	s_or_b64 s[42:43], s[42:43], s[46:47]
	s_or_b64 exec, exec, s[44:45]
	s_and_saveexec_b64 s[44:45], s[42:43]
	s_cbranch_execnz .LBB2_3682
	s_branch .LBB2_3683
.LBB2_3823:                             ;   in Loop: Header=BB2_3120 Depth=3
	s_or_saveexec_b64 s[46:47], s[46:47]
	v_bfrev_b32_e32 v34, 1
	s_xor_b64 exec, exec, s[46:47]
	s_cbranch_execz .LBB2_3711
.LBB2_3824:                             ;   in Loop: Header=BB2_3120 Depth=3
	v_cmp_ne_u16_sdwa vcc, v8, v35 src0_sel:BYTE_0 src1_sel:DWORD
	s_andn2_b64 s[44:45], s[44:45], exec
	s_and_b64 vcc, vcc, exec
	v_mov_b32_e32 v34, 0
	s_or_b64 s[44:45], s[44:45], vcc
	s_or_b64 exec, exec, s[46:47]
	s_and_saveexec_b64 s[46:47], s[44:45]
	s_cbranch_execnz .LBB2_3712
	s_branch .LBB2_3713
.LBB2_3825:                             ;   in Loop: Header=BB2_3120 Depth=3
	s_or_saveexec_b64 s[44:45], s[44:45]
	v_bfrev_b32_e32 v9, 1
	s_xor_b64 exec, exec, s[44:45]
	s_cbranch_execz .LBB2_3725
.LBB2_3826:                             ;   in Loop: Header=BB2_3120 Depth=3
	v_cmp_ne_u16_sdwa s[46:47], v8, v35 src0_sel:BYTE_0 src1_sel:DWORD
	s_andn2_b64 s[42:43], s[42:43], exec
	s_and_b64 s[46:47], s[46:47], exec
	v_mov_b32_e32 v9, 0
	s_or_b64 s[42:43], s[42:43], s[46:47]
	s_or_b64 exec, exec, s[44:45]
	s_and_saveexec_b64 s[44:45], s[42:43]
	s_cbranch_execnz .LBB2_3726
	s_branch .LBB2_3727
.LBB2_3827:                             ;   in Loop: Header=BB2_2331 Depth=2
	s_or_b64 exec, exec, s[50:51]
	buffer_load_dword v8, off, s[0:3], s33 offset:212 ; 4-byte Folded Reload
	buffer_load_dword v7, off, s[0:3], s33 offset:216 ; 4-byte Folded Reload
	;; [unrolled: 1-line block ×5, first 2 shown]
.LBB2_3828:                             ;   in Loop: Header=BB2_2331 Depth=2
	s_or_b64 exec, exec, s[48:49]
	s_waitcnt vmcnt(4)
	v_and_b32_e32 v1, 15, v8
	s_waitcnt vmcnt(0)
	v_sub_u32_e32 v3, v11, v1
	v_cndmask_b32_e64 v3, 0, v3, s[28:29]
	v_cmp_lt_i32_e32 vcc, 0, v38
	v_add3_u32 v6, v10, v7, v3
	v_cndmask_b32_e64 v7, v11, v1, s[28:29]
	v_cndmask_b32_e32 v1, 0, v17, vcc
	v_sub_u32_e32 v1, v1, v38
	v_cmp_ne_u32_e32 vcc, 0, v7
	v_lshl_add_u32 v16, v1, 6, v9
	s_and_b64 s[40:41], vcc, exec
.LBB2_3829:                             ;   in Loop: Header=BB2_2331 Depth=2
	s_or_b64 exec, exec, s[38:39]
	s_and_saveexec_b64 s[44:45], s[40:41]
	s_cbranch_execz .LBB2_4272
.LBB2_3830:                             ;   in Loop: Header=BB2_2331 Depth=2
	s_waitcnt vmcnt(0)
	v_ashrrev_i32_e32 v1, 31, v16
	v_ashrrev_i32_e32 v3, 31, v7
	v_lshrrev_b32_e32 v1, 26, v1
	v_lshrrev_b32_e32 v3, 23, v3
	v_add_u32_e32 v1, v16, v1
	v_add_u32_e32 v3, v7, v3
	v_ashrrev_i32_e32 v21, 6, v1
	v_ashrrev_i32_e32 v27, 9, v3
	v_sub_u32_e32 v26, v27, v21
	v_cmp_lt_i32_e32 vcc, 0, v26
	s_and_saveexec_b64 s[42:43], vcc
	s_cbranch_execz .LBB2_4218
; %bb.3831:                             ;   in Loop: Header=BB2_2331 Depth=2
	buffer_load_dword v8, off, s[0:3], s33 offset:172 ; 4-byte Folded Reload
	buffer_load_dword v9, off, s[0:3], s33 offset:176 ; 4-byte Folded Reload
	s_trap 2
	ds_read_b64 v[14:15], v0
	buffer_load_dword v12, off, s[0:3], s33 offset:156 ; 4-byte Folded Reload
	buffer_load_dword v13, off, s[0:3], s33 offset:160 ; 4-byte Folded Reload
	v_and_b32_e32 v1, 0xffffffc0, v1
	v_sub_u32_e32 v1, v16, v1
	v_lshlrev_b32_e32 v3, 9, v21
	v_add3_u32 v1, v6, v1, v3
	v_ashrrev_i32_e32 v3, 31, v1
	s_bitcmp1_b32 s70, 0
	s_mov_b64 s[46:47], 0
	s_cselect_b64 s[38:39], -1, 0
	s_waitcnt vmcnt(3)
	v_add_co_u32_e32 v8, vcc, v1, v8
	s_waitcnt vmcnt(2)
	v_addc_co_u32_e32 v9, vcc, v3, v9, vcc
	v_add_co_u32_e32 v10, vcc, v1, v44
	v_addc_co_u32_e32 v11, vcc, v3, v45, vcc
	s_waitcnt vmcnt(1)
	v_add_co_u32_e32 v12, vcc, v1, v12
	s_waitcnt vmcnt(0)
	v_addc_co_u32_e32 v13, vcc, v3, v13, vcc
	s_waitcnt lgkmcnt(0)
	v_add_co_u32_e32 v14, vcc, v14, v1
	v_addc_co_u32_e32 v15, vcc, v15, v3, vcc
	s_branch .LBB2_3833
.LBB2_3832:                             ;   in Loop: Header=BB2_3833 Depth=3
	s_or_b64 exec, exec, s[28:29]
	v_add_co_u32_e32 v12, vcc, v12, v2
	v_addc_co_u32_e32 v13, vcc, 0, v13, vcc
	v_add_co_u32_e32 v14, vcc, v14, v2
	v_addc_co_u32_e32 v15, vcc, 0, v15, vcc
	flat_store_byte v[8:9], v37 glc slc
	flat_store_byte v[8:9], v53 offset:64 glc slc
	flat_store_byte v[8:9], v40 offset:128 glc slc
	flat_store_byte v[8:9], v56 offset:192 glc slc
	flat_store_byte v[8:9], v24 offset:256 glc slc
	flat_store_byte v[8:9], v1 offset:320 glc slc
	flat_store_byte v[8:9], v25 offset:384 glc slc
	flat_store_byte v[8:9], v31 offset:448 glc slc
	flat_store_byte v[10:11], v37 glc slc
	flat_store_byte v[10:11], v53 offset:64 glc slc
	flat_store_byte v[10:11], v40 offset:128 glc slc
	flat_store_byte v[10:11], v56 offset:192 glc slc
	flat_store_byte v[10:11], v24 offset:256 glc slc
	flat_store_byte v[10:11], v1 offset:320 glc slc
	flat_store_byte v[10:11], v25 offset:384 glc slc
	flat_store_byte v[10:11], v31 offset:448 glc slc
	v_add_co_u32_e32 v8, vcc, v8, v2
	v_addc_co_u32_e32 v9, vcc, 0, v9, vcc
	v_sub_u32_e32 v26, v26, v17
	v_cmp_gt_i32_e32 vcc, 1, v26
	s_or_b64 s[46:47], vcc, s[46:47]
	v_add_co_u32_e32 v10, vcc, v10, v2
	v_addc_co_u32_e32 v11, vcc, 0, v11, vcc
	s_andn2_b64 exec, exec, s[46:47]
	s_cbranch_execz .LBB2_4217
.LBB2_3833:                             ;   Parent Loop BB2_47 Depth=1
                                        ;     Parent Loop BB2_2331 Depth=2
                                        ; =>    This Inner Loop Header: Depth=3
	flat_load_ubyte v37, v[12:13] glc slc
	flat_load_ubyte v57, v[12:13] offset:64 glc slc
	flat_load_ubyte v56, v[12:13] offset:128 glc slc
	;; [unrolled: 1-line block ×7, first 2 shown]
	flat_load_ubyte v34, v[14:15] glc slc
	flat_load_ubyte v53, v[14:15] offset:64 glc slc
	flat_load_ubyte v40, v[14:15] offset:128 glc slc
	;; [unrolled: 1-line block ×7, first 2 shown]
	s_mov_b64 s[40:41], -1
	s_and_b64 vcc, exec, s[38:39]
                                        ; implicit-def: $vgpr44
	s_waitcnt vmcnt(0) lgkmcnt(0)
	v_cmp_ne_u16_e64 s[28:29], 0, v37
	s_cbranch_vccz .LBB2_3847
; %bb.3834:                             ;   in Loop: Header=BB2_3833 Depth=3
	v_mov_b32_e32 v44, 0
	v_mov_b32_e32 v45, 0
	s_and_saveexec_b64 s[40:41], s[28:29]
	s_cbranch_execz .LBB2_3840
; %bb.3835:                             ;   in Loop: Header=BB2_3833 Depth=3
	v_cmp_ne_u16_e32 vcc, s59, v37
	v_bfrev_b32_e32 v45, 1
	s_and_saveexec_b64 s[48:49], vcc
	s_cbranch_execz .LBB2_3839
; %bb.3836:                             ;   in Loop: Header=BB2_3833 Depth=3
	v_and_b32_e32 v30, 0xffff, v37
	v_and_b32_e32 v46, 0x7f, v30
	v_cmp_ne_u32_e32 vcc, s97, v46
	v_mov_b32_e32 v45, 0x7f800001
	s_and_saveexec_b64 s[50:51], vcc
	s_cbranch_execz .LBB2_3838
; %bb.3837:                             ;   in Loop: Header=BB2_3833 Depth=3
	v_and_b32_e32 v3, 7, v30
	v_ffbh_u32_e32 v42, v3
	v_min_u32_e32 v45, 32, v42
	v_subrev_u32_e32 v42, 28, v45
	v_lshlrev_b64 v[42:43], v42, v[30:31]
	v_lshrrev_b32_e32 v4, 3, v46
	v_cmp_gt_u32_e32 vcc, 8, v46
	v_sub_u32_e32 v30, 29, v45
	v_and_b32_e32 v42, 7, v42
	v_cndmask_b32_e32 v4, v4, v30, vcc
	v_cndmask_b32_e32 v3, v3, v42, vcc
	v_lshlrev_b32_e32 v30, 24, v37
	v_lshlrev_b32_e32 v3, 20, v3
	v_and_b32_e32 v30, 0x80000000, v30
	v_lshl_add_u32 v4, v4, 23, v48
	v_or3_b32 v45, v30, v4, v3
.LBB2_3838:                             ;   in Loop: Header=BB2_3833 Depth=3
	s_or_b64 exec, exec, s[50:51]
.LBB2_3839:                             ;   in Loop: Header=BB2_3833 Depth=3
	s_or_b64 exec, exec, s[48:49]
.LBB2_3840:                             ;   in Loop: Header=BB2_3833 Depth=3
	s_or_b64 exec, exec, s[40:41]
	v_and_b32_e32 v30, 0xff, v34
	v_cmp_ne_u16_e32 vcc, 0, v30
	s_and_saveexec_b64 s[40:41], vcc
	s_cbranch_execz .LBB2_3846
; %bb.3841:                             ;   in Loop: Header=BB2_3833 Depth=3
	v_cmp_ne_u16_e32 vcc, s59, v30
	v_bfrev_b32_e32 v44, 1
	s_and_saveexec_b64 s[48:49], vcc
	s_cbranch_execz .LBB2_3845
; %bb.3842:                             ;   in Loop: Header=BB2_3833 Depth=3
	v_and_b32_e32 v46, 0x7f, v34
	v_cmp_ne_u32_e32 vcc, s97, v46
	v_mov_b32_e32 v44, 0x7f800001
	s_and_saveexec_b64 s[50:51], vcc
	s_cbranch_execz .LBB2_3844
; %bb.3843:                             ;   in Loop: Header=BB2_3833 Depth=3
	v_and_b32_e32 v3, 7, v30
	v_ffbh_u32_e32 v42, v3
	v_min_u32_e32 v44, 32, v42
	v_subrev_u32_e32 v42, 28, v44
	v_lshlrev_b64 v[42:43], v42, v[30:31]
	v_lshrrev_b32_e32 v4, 3, v46
	v_cmp_gt_u32_e32 vcc, 8, v46
	v_sub_u32_e32 v30, 29, v44
	v_and_b32_e32 v42, 7, v42
	v_cndmask_b32_e32 v4, v4, v30, vcc
	v_cndmask_b32_e32 v3, v3, v42, vcc
	v_lshlrev_b32_e32 v30, 24, v34
	v_lshlrev_b32_e32 v3, 20, v3
	v_and_b32_e32 v30, 0x80000000, v30
	v_lshl_add_u32 v4, v4, 23, v48
	v_or3_b32 v44, v30, v4, v3
.LBB2_3844:                             ;   in Loop: Header=BB2_3833 Depth=3
	s_or_b64 exec, exec, s[50:51]
.LBB2_3845:                             ;   in Loop: Header=BB2_3833 Depth=3
	s_or_b64 exec, exec, s[48:49]
.LBB2_3846:                             ;   in Loop: Header=BB2_3833 Depth=3
	s_or_b64 exec, exec, s[40:41]
	v_max_f32_e32 v3, v44, v44
	v_max_f32_e32 v4, v45, v45
	;; [unrolled: 1-line block ×3, first 2 shown]
	s_mov_b64 s[40:41], 0
.LBB2_3847:                             ;   in Loop: Header=BB2_3833 Depth=3
	s_and_b64 vcc, exec, s[40:41]
	s_cbranch_vccz .LBB2_3861
; %bb.3848:                             ;   in Loop: Header=BB2_3833 Depth=3
	v_mov_b32_e32 v44, 0
	v_mov_b32_e32 v45, 0
	s_and_saveexec_b64 s[40:41], s[28:29]
	s_cbranch_execz .LBB2_3854
; %bb.3849:                             ;   in Loop: Header=BB2_3833 Depth=3
	v_cmp_ne_u16_e32 vcc, s59, v37
	v_bfrev_b32_e32 v45, 1
	s_and_saveexec_b64 s[28:29], vcc
	s_cbranch_execz .LBB2_3853
; %bb.3850:                             ;   in Loop: Header=BB2_3833 Depth=3
	v_and_b32_e32 v30, 0xffff, v37
	v_and_b32_e32 v46, 0x7f, v30
	v_cmp_ne_u32_e32 vcc, s97, v46
	v_mov_b32_e32 v45, 0x7f800001
	s_and_saveexec_b64 s[48:49], vcc
	s_cbranch_execz .LBB2_3852
; %bb.3851:                             ;   in Loop: Header=BB2_3833 Depth=3
	v_and_b32_e32 v3, 7, v30
	v_ffbh_u32_e32 v42, v3
	v_min_u32_e32 v45, 32, v42
	v_subrev_u32_e32 v42, 28, v45
	v_lshlrev_b64 v[42:43], v42, v[30:31]
	v_lshrrev_b32_e32 v4, 3, v46
	v_cmp_gt_u32_e32 vcc, 8, v46
	v_sub_u32_e32 v30, 29, v45
	v_and_b32_e32 v42, 7, v42
	v_cndmask_b32_e32 v4, v4, v30, vcc
	v_cndmask_b32_e32 v3, v3, v42, vcc
	v_lshlrev_b32_e32 v30, 24, v37
	v_lshlrev_b32_e32 v3, 20, v3
	v_and_b32_e32 v30, 0x80000000, v30
	v_lshl_add_u32 v4, v4, 23, v48
	v_or3_b32 v45, v30, v4, v3
.LBB2_3852:                             ;   in Loop: Header=BB2_3833 Depth=3
	s_or_b64 exec, exec, s[48:49]
.LBB2_3853:                             ;   in Loop: Header=BB2_3833 Depth=3
	s_or_b64 exec, exec, s[28:29]
.LBB2_3854:                             ;   in Loop: Header=BB2_3833 Depth=3
	s_or_b64 exec, exec, s[40:41]
	v_and_b32_e32 v30, 0xff, v34
	v_cmp_ne_u16_e32 vcc, 0, v30
	s_and_saveexec_b64 s[28:29], vcc
	s_cbranch_execz .LBB2_3860
; %bb.3855:                             ;   in Loop: Header=BB2_3833 Depth=3
	v_cmp_ne_u16_e32 vcc, s59, v30
	v_bfrev_b32_e32 v44, 1
	s_and_saveexec_b64 s[40:41], vcc
	s_cbranch_execz .LBB2_3859
; %bb.3856:                             ;   in Loop: Header=BB2_3833 Depth=3
	v_and_b32_e32 v37, 0x7f, v34
	v_cmp_ne_u32_e32 vcc, s97, v37
	v_mov_b32_e32 v44, 0x7f800001
	s_and_saveexec_b64 s[48:49], vcc
	s_cbranch_execz .LBB2_3858
; %bb.3857:                             ;   in Loop: Header=BB2_3833 Depth=3
	v_and_b32_e32 v3, 7, v30
	v_lshrrev_b32_e32 v4, 3, v37
	v_cmp_gt_u32_e32 vcc, 8, v37
	v_ffbh_u32_e32 v37, v3
	v_min_u32_e32 v37, 32, v37
	v_subrev_u32_e32 v42, 28, v37
	v_lshlrev_b64 v[42:43], v42, v[30:31]
	v_sub_u32_e32 v30, 29, v37
	v_and_b32_e32 v37, 7, v42
	v_cndmask_b32_e32 v4, v4, v30, vcc
	v_cndmask_b32_e32 v3, v3, v37, vcc
	v_lshlrev_b32_e32 v30, 24, v34
	v_lshlrev_b32_e32 v3, 20, v3
	v_and_b32_e32 v30, 0x80000000, v30
	v_lshl_add_u32 v4, v4, 23, v48
	v_or3_b32 v44, v30, v4, v3
.LBB2_3858:                             ;   in Loop: Header=BB2_3833 Depth=3
	s_or_b64 exec, exec, s[48:49]
.LBB2_3859:                             ;   in Loop: Header=BB2_3833 Depth=3
	s_or_b64 exec, exec, s[40:41]
.LBB2_3860:                             ;   in Loop: Header=BB2_3833 Depth=3
	s_or_b64 exec, exec, s[28:29]
	v_max_f32_e32 v3, v44, v44
	v_max_f32_e32 v4, v45, v45
	v_min_f32_e32 v44, v4, v3
.LBB2_3861:                             ;   in Loop: Header=BB2_3833 Depth=3
	v_and_b32_e32 v34, 0x7f800000, v44
	v_cmp_ne_u64_e32 vcc, s[90:91], v[34:35]
                                        ; implicit-def: $vgpr37
	s_and_saveexec_b64 s[28:29], vcc
	s_xor_b64 s[40:41], exec, s[28:29]
	s_cbranch_execz .LBB2_3879
; %bb.3862:                             ;   in Loop: Header=BB2_3833 Depth=3
	v_and_b32_e32 v34, 0x7fffffff, v44
	v_cmp_gt_u64_e32 vcc, s[92:93], v[34:35]
	v_and_b32_sdwa v30, v44, s59 dst_sel:DWORD dst_unused:UNUSED_PAD src0_sel:BYTE_3 src1_sel:DWORD
                                        ; implicit-def: $vgpr37
	s_and_saveexec_b64 s[28:29], vcc
	s_xor_b64 s[48:49], exec, s[28:29]
	s_cbranch_execz .LBB2_3876
; %bb.3863:                             ;   in Loop: Header=BB2_3833 Depth=3
	v_cmp_ne_u32_e32 vcc, 0, v44
	v_mov_b32_e32 v37, 0
	s_and_saveexec_b64 s[50:51], vcc
	s_cbranch_execz .LBB2_3875
; %bb.3864:                             ;   in Loop: Header=BB2_3833 Depth=3
	v_bfe_u32 v37, v44, 23, 8
	v_cmp_gt_u32_e64 s[28:29], s56, v37
	v_sub_u32_e32 v4, 0x79, v37
	v_and_b32_e32 v3, 0x7fffff, v44
	v_cmp_eq_u32_e32 vcc, 0, v37
	v_cndmask_b32_e64 v4, 0, v4, s[28:29]
	v_mov_b32_e32 v42, 0x78
	v_or_b32_e32 v34, 0x800000, v3
	v_cndmask_b32_e32 v58, v4, v42, vcc
	v_cndmask_b32_e32 v34, v34, v3, vcc
	v_add_u32_e32 v3, 20, v58
	v_lshlrev_b64 v[42:43], v3, -1
	v_add_u32_e32 v3, 19, v58
	v_lshlrev_b64 v[44:45], v3, 1
	v_bfi_b32 v43, v43, 0, 0
	v_bfi_b32 v42, v42, 0, v34
	v_cmp_eq_u64_e64 s[28:29], v[42:43], v[44:45]
	v_lshrrev_b64 v[44:45], v58, v[34:35]
	v_mov_b32_e32 v46, v45
	v_mov_b32_e32 v45, v44
	s_and_saveexec_b64 s[52:53], s[28:29]
; %bb.3865:                             ;   in Loop: Header=BB2_3833 Depth=3
	v_bfe_u32 v3, v44, 20, 1
	v_add_co_u32_e64 v3, s[28:29], v44, v3
	v_add_co_u32_e64 v45, s[28:29], -1, v3
; %bb.3866:                             ;   in Loop: Header=BB2_3833 Depth=3
	s_or_b64 exec, exec, s[52:53]
	v_add_u32_e32 v3, 0xffffff81, v37
	v_cndmask_b32_e32 v3, v3, v52, vcc
	v_lshrrev_b32_e32 v4, 23, v44
	v_add3_u32 v58, v58, v3, v4
	v_add_u32_e32 v37, 6, v58
	v_and_b32_e32 v3, 0xfffff, v45
	v_add_u32_e32 v34, v3, v44
	v_cmp_ne_u32_e32 vcc, 0, v37
                                        ; implicit-def: $vgpr44_vgpr45
                                        ; implicit-def: $vgpr46
	s_and_saveexec_b64 s[28:29], vcc
	s_xor_b64 s[28:29], exec, s[28:29]
; %bb.3867:                             ;   in Loop: Header=BB2_3833 Depth=3
	v_cmp_lt_u64_e32 vcc, s[94:95], v[34:35]
	v_add_u32_e32 v3, 7, v58
	v_cndmask_b32_e32 v46, v37, v3, vcc
	v_cndmask_b32_e64 v3, 0, 1, vcc
	v_lshrrev_b64 v[44:45], v3, v[34:35]
; %bb.3868:                             ;   in Loop: Header=BB2_3833 Depth=3
	s_andn2_saveexec_b64 s[28:29], s[28:29]
; %bb.3869:                             ;   in Loop: Header=BB2_3833 Depth=3
	v_mov_b32_e32 v45, v35
	v_bfe_u32 v46, v34, 23, 1
	v_mov_b32_e32 v44, v34
; %bb.3870:                             ;   in Loop: Header=BB2_3833 Depth=3
	s_or_b64 exec, exec, s[28:29]
	v_lshrrev_b64 v[42:43], 20, v[44:45]
	v_cmp_gt_i32_e32 vcc, 16, v46
	v_cndmask_b32_e32 v45, 0, v43, vcc
	v_cndmask_b32_e32 v44, 7, v42, vcc
	v_cmp_ne_u64_e32 vcc, 0, v[44:45]
	v_cmp_ne_u32_e64 s[28:29], 0, v46
	s_or_b64 s[28:29], s[28:29], vcc
                                        ; implicit-def: $vgpr37
	s_and_saveexec_b64 vcc, s[28:29]
	s_xor_b64 s[28:29], exec, vcc
; %bb.3871:                             ;   in Loop: Header=BB2_3833 Depth=3
	v_min_i32_e32 v3, 15, v46
	v_lshl_or_b32 v3, v3, 3, v30
	v_and_or_b32 v37, v44, 7, v3
                                        ; implicit-def: $vgpr30
; %bb.3872:                             ;   in Loop: Header=BB2_3833 Depth=3
	s_andn2_saveexec_b64 s[28:29], s[28:29]
; %bb.3873:                             ;   in Loop: Header=BB2_3833 Depth=3
	v_mov_b32_e32 v37, v30
; %bb.3874:                             ;   in Loop: Header=BB2_3833 Depth=3
	s_or_b64 exec, exec, s[28:29]
.LBB2_3875:                             ;   in Loop: Header=BB2_3833 Depth=3
	s_or_b64 exec, exec, s[50:51]
                                        ; implicit-def: $vgpr30
.LBB2_3876:                             ;   in Loop: Header=BB2_3833 Depth=3
	s_andn2_saveexec_b64 s[28:29], s[48:49]
; %bb.3877:                             ;   in Loop: Header=BB2_3833 Depth=3
	v_or_b32_e32 v37, 0x7e, v30
; %bb.3878:                             ;   in Loop: Header=BB2_3833 Depth=3
	s_or_b64 exec, exec, s[28:29]
                                        ; implicit-def: $vgpr44
.LBB2_3879:                             ;   in Loop: Header=BB2_3833 Depth=3
	s_andn2_saveexec_b64 s[28:29], s[40:41]
; %bb.3880:                             ;   in Loop: Header=BB2_3833 Depth=3
	v_or_b32_sdwa v37, v44, s97 dst_sel:DWORD dst_unused:UNUSED_PAD src0_sel:BYTE_3 src1_sel:DWORD
; %bb.3881:                             ;   in Loop: Header=BB2_3833 Depth=3
	s_or_b64 exec, exec, s[28:29]
	v_and_b32_e32 v30, 0xff, v57
	v_cndmask_b32_e64 v3, 0, 1, s[38:39]
	v_cmp_ne_u16_e64 s[40:41], 0, v30
	v_cmp_ne_u32_e64 s[28:29], 1, v3
	s_andn2_b64 vcc, exec, s[38:39]
	s_mov_b64 s[48:49], -1
                                        ; implicit-def: $vgpr44
	s_cbranch_vccnz .LBB2_3895
; %bb.3882:                             ;   in Loop: Header=BB2_3833 Depth=3
	v_mov_b32_e32 v45, 0
	v_mov_b32_e32 v44, 0
	s_and_saveexec_b64 s[48:49], s[40:41]
	s_cbranch_execz .LBB2_3888
; %bb.3883:                             ;   in Loop: Header=BB2_3833 Depth=3
	v_cmp_ne_u16_e32 vcc, s59, v30
	v_bfrev_b32_e32 v44, 1
	s_and_saveexec_b64 s[50:51], vcc
	s_cbranch_execz .LBB2_3887
; %bb.3884:                             ;   in Loop: Header=BB2_3833 Depth=3
	v_and_b32_e32 v34, 0x7f, v57
	v_cmp_ne_u32_e32 vcc, s97, v34
	v_mov_b32_e32 v44, 0x7f800001
	s_and_saveexec_b64 s[52:53], vcc
	s_cbranch_execz .LBB2_3886
; %bb.3885:                             ;   in Loop: Header=BB2_3833 Depth=3
	v_and_b32_e32 v3, 7, v30
	v_lshrrev_b32_e32 v4, 3, v34
	v_cmp_gt_u32_e32 vcc, 8, v34
	v_ffbh_u32_e32 v34, v3
	v_min_u32_e32 v34, 32, v34
	v_subrev_u32_e32 v42, 28, v34
	v_lshlrev_b64 v[42:43], v42, v[30:31]
	v_sub_u32_e32 v34, 29, v34
	v_and_b32_e32 v42, 7, v42
	v_cndmask_b32_e32 v4, v4, v34, vcc
	v_cndmask_b32_e32 v3, v3, v42, vcc
	v_lshlrev_b32_e32 v34, 24, v57
	v_lshlrev_b32_e32 v3, 20, v3
	v_and_b32_e32 v34, 0x80000000, v34
	v_lshl_add_u32 v4, v4, 23, v48
	v_or3_b32 v44, v34, v4, v3
.LBB2_3886:                             ;   in Loop: Header=BB2_3833 Depth=3
	s_or_b64 exec, exec, s[52:53]
.LBB2_3887:                             ;   in Loop: Header=BB2_3833 Depth=3
	s_or_b64 exec, exec, s[50:51]
.LBB2_3888:                             ;   in Loop: Header=BB2_3833 Depth=3
	s_or_b64 exec, exec, s[48:49]
	v_and_b32_e32 v34, 0xff, v53
	v_cmp_ne_u16_e32 vcc, 0, v34
	s_and_saveexec_b64 s[48:49], vcc
	s_cbranch_execz .LBB2_3894
; %bb.3889:                             ;   in Loop: Header=BB2_3833 Depth=3
	v_cmp_ne_u16_e32 vcc, s59, v34
	v_bfrev_b32_e32 v45, 1
	s_and_saveexec_b64 s[50:51], vcc
	s_cbranch_execz .LBB2_3893
; %bb.3890:                             ;   in Loop: Header=BB2_3833 Depth=3
	v_and_b32_e32 v46, 0x7f, v53
	v_cmp_ne_u32_e32 vcc, s97, v46
	v_mov_b32_e32 v45, 0x7f800001
	s_and_saveexec_b64 s[52:53], vcc
	s_cbranch_execz .LBB2_3892
; %bb.3891:                             ;   in Loop: Header=BB2_3833 Depth=3
	v_and_b32_e32 v3, 7, v34
	v_ffbh_u32_e32 v42, v3
	v_min_u32_e32 v45, 32, v42
	v_subrev_u32_e32 v42, 28, v45
	v_lshlrev_b64 v[42:43], v42, v[34:35]
	v_lshrrev_b32_e32 v4, 3, v46
	v_cmp_gt_u32_e32 vcc, 8, v46
	v_sub_u32_e32 v34, 29, v45
	v_and_b32_e32 v42, 7, v42
	v_cndmask_b32_e32 v4, v4, v34, vcc
	v_cndmask_b32_e32 v3, v3, v42, vcc
	v_lshlrev_b32_e32 v34, 24, v53
	v_lshlrev_b32_e32 v3, 20, v3
	v_and_b32_e32 v34, 0x80000000, v34
	v_lshl_add_u32 v4, v4, 23, v48
	v_or3_b32 v45, v34, v4, v3
.LBB2_3892:                             ;   in Loop: Header=BB2_3833 Depth=3
	s_or_b64 exec, exec, s[52:53]
.LBB2_3893:                             ;   in Loop: Header=BB2_3833 Depth=3
	s_or_b64 exec, exec, s[50:51]
.LBB2_3894:                             ;   in Loop: Header=BB2_3833 Depth=3
	s_or_b64 exec, exec, s[48:49]
	v_max_f32_e32 v3, v45, v45
	v_max_f32_e32 v4, v44, v44
	;; [unrolled: 1-line block ×3, first 2 shown]
	s_mov_b64 s[48:49], 0
.LBB2_3895:                             ;   in Loop: Header=BB2_3833 Depth=3
	s_and_b64 vcc, exec, s[48:49]
	s_cbranch_vccz .LBB2_3909
; %bb.3896:                             ;   in Loop: Header=BB2_3833 Depth=3
	v_mov_b32_e32 v44, 0
	v_mov_b32_e32 v34, 0
	s_and_saveexec_b64 s[48:49], s[40:41]
	s_cbranch_execz .LBB2_3902
; %bb.3897:                             ;   in Loop: Header=BB2_3833 Depth=3
	v_cmp_ne_u16_e32 vcc, s59, v30
	v_bfrev_b32_e32 v34, 1
	s_and_saveexec_b64 s[40:41], vcc
	s_cbranch_execz .LBB2_3901
; %bb.3898:                             ;   in Loop: Header=BB2_3833 Depth=3
	v_and_b32_e32 v45, 0x7f, v57
	v_cmp_ne_u32_e32 vcc, s97, v45
	v_mov_b32_e32 v34, 0x7f800001
	s_and_saveexec_b64 s[50:51], vcc
	s_cbranch_execz .LBB2_3900
; %bb.3899:                             ;   in Loop: Header=BB2_3833 Depth=3
	v_and_b32_e32 v3, 7, v30
	v_ffbh_u32_e32 v34, v3
	v_min_u32_e32 v34, 32, v34
	v_subrev_u32_e32 v42, 28, v34
	v_lshlrev_b64 v[42:43], v42, v[30:31]
	v_lshrrev_b32_e32 v4, 3, v45
	v_cmp_gt_u32_e32 vcc, 8, v45
	v_sub_u32_e32 v30, 29, v34
	v_and_b32_e32 v34, 7, v42
	v_cndmask_b32_e32 v4, v4, v30, vcc
	v_cndmask_b32_e32 v3, v3, v34, vcc
	v_lshlrev_b32_e32 v30, 24, v57
	v_lshlrev_b32_e32 v3, 20, v3
	v_and_b32_e32 v30, 0x80000000, v30
	v_lshl_add_u32 v4, v4, 23, v48
	v_or3_b32 v34, v30, v4, v3
.LBB2_3900:                             ;   in Loop: Header=BB2_3833 Depth=3
	s_or_b64 exec, exec, s[50:51]
.LBB2_3901:                             ;   in Loop: Header=BB2_3833 Depth=3
	s_or_b64 exec, exec, s[40:41]
.LBB2_3902:                             ;   in Loop: Header=BB2_3833 Depth=3
	s_or_b64 exec, exec, s[48:49]
	v_and_b32_e32 v30, 0xff, v53
	v_cmp_ne_u16_e32 vcc, 0, v30
	s_and_saveexec_b64 s[40:41], vcc
	s_cbranch_execz .LBB2_3908
; %bb.3903:                             ;   in Loop: Header=BB2_3833 Depth=3
	v_cmp_ne_u16_e32 vcc, s59, v30
	v_bfrev_b32_e32 v44, 1
	s_and_saveexec_b64 s[48:49], vcc
	s_cbranch_execz .LBB2_3907
; %bb.3904:                             ;   in Loop: Header=BB2_3833 Depth=3
	v_and_b32_e32 v45, 0x7f, v53
	v_cmp_ne_u32_e32 vcc, s97, v45
	v_mov_b32_e32 v44, 0x7f800001
	s_and_saveexec_b64 s[50:51], vcc
	s_cbranch_execz .LBB2_3906
; %bb.3905:                             ;   in Loop: Header=BB2_3833 Depth=3
	v_and_b32_e32 v3, 7, v30
	v_ffbh_u32_e32 v42, v3
	v_min_u32_e32 v44, 32, v42
	v_subrev_u32_e32 v42, 28, v44
	v_lshlrev_b64 v[42:43], v42, v[30:31]
	v_lshrrev_b32_e32 v4, 3, v45
	v_cmp_gt_u32_e32 vcc, 8, v45
	v_sub_u32_e32 v30, 29, v44
	v_and_b32_e32 v42, 7, v42
	v_cndmask_b32_e32 v4, v4, v30, vcc
	v_cndmask_b32_e32 v3, v3, v42, vcc
	v_lshlrev_b32_e32 v30, 24, v53
	v_lshlrev_b32_e32 v3, 20, v3
	v_and_b32_e32 v30, 0x80000000, v30
	v_lshl_add_u32 v4, v4, 23, v48
	v_or3_b32 v44, v30, v4, v3
.LBB2_3906:                             ;   in Loop: Header=BB2_3833 Depth=3
	s_or_b64 exec, exec, s[50:51]
.LBB2_3907:                             ;   in Loop: Header=BB2_3833 Depth=3
	s_or_b64 exec, exec, s[48:49]
.LBB2_3908:                             ;   in Loop: Header=BB2_3833 Depth=3
	s_or_b64 exec, exec, s[40:41]
	v_max_f32_e32 v3, v44, v44
	v_max_f32_e32 v4, v34, v34
	v_min_f32_e32 v44, v4, v3
.LBB2_3909:                             ;   in Loop: Header=BB2_3833 Depth=3
	v_and_b32_e32 v34, 0x7f800000, v44
	v_cmp_ne_u64_e32 vcc, s[90:91], v[34:35]
                                        ; implicit-def: $vgpr53
	s_and_saveexec_b64 s[40:41], vcc
	s_xor_b64 s[48:49], exec, s[40:41]
	s_cbranch_execz .LBB2_3927
; %bb.3910:                             ;   in Loop: Header=BB2_3833 Depth=3
	v_and_b32_e32 v34, 0x7fffffff, v44
	v_cmp_gt_u64_e32 vcc, s[92:93], v[34:35]
	v_and_b32_sdwa v30, v44, s59 dst_sel:DWORD dst_unused:UNUSED_PAD src0_sel:BYTE_3 src1_sel:DWORD
                                        ; implicit-def: $vgpr53
	s_and_saveexec_b64 s[40:41], vcc
	s_xor_b64 s[50:51], exec, s[40:41]
	s_cbranch_execz .LBB2_3924
; %bb.3911:                             ;   in Loop: Header=BB2_3833 Depth=3
	v_cmp_ne_u32_e32 vcc, 0, v44
	v_mov_b32_e32 v53, 0
	s_and_saveexec_b64 s[52:53], vcc
	s_cbranch_execz .LBB2_3923
; %bb.3912:                             ;   in Loop: Header=BB2_3833 Depth=3
	v_bfe_u32 v53, v44, 23, 8
	v_cmp_gt_u32_e64 s[40:41], s56, v53
	v_sub_u32_e32 v4, 0x79, v53
	v_and_b32_e32 v3, 0x7fffff, v44
	v_cmp_eq_u32_e32 vcc, 0, v53
	v_cndmask_b32_e64 v4, 0, v4, s[40:41]
	v_mov_b32_e32 v42, 0x78
	v_or_b32_e32 v34, 0x800000, v3
	v_cndmask_b32_e32 v57, v4, v42, vcc
	v_cndmask_b32_e32 v34, v34, v3, vcc
	v_add_u32_e32 v3, 20, v57
	v_lshlrev_b64 v[42:43], v3, -1
	v_add_u32_e32 v3, 19, v57
	v_lshlrev_b64 v[44:45], v3, 1
	v_bfi_b32 v43, v43, 0, 0
	v_bfi_b32 v42, v42, 0, v34
	v_cmp_eq_u64_e64 s[40:41], v[42:43], v[44:45]
	v_lshrrev_b64 v[44:45], v57, v[34:35]
	v_mov_b32_e32 v46, v45
	v_mov_b32_e32 v45, v44
	s_and_saveexec_b64 s[54:55], s[40:41]
; %bb.3913:                             ;   in Loop: Header=BB2_3833 Depth=3
	v_bfe_u32 v3, v44, 20, 1
	v_add_co_u32_e64 v3, s[40:41], v44, v3
	v_add_co_u32_e64 v45, s[40:41], -1, v3
; %bb.3914:                             ;   in Loop: Header=BB2_3833 Depth=3
	s_or_b64 exec, exec, s[54:55]
	v_add_u32_e32 v3, 0xffffff81, v53
	v_cndmask_b32_e32 v3, v3, v52, vcc
	v_lshrrev_b32_e32 v4, 23, v44
	v_add3_u32 v57, v57, v3, v4
	v_add_u32_e32 v53, 6, v57
	v_and_b32_e32 v3, 0xfffff, v45
	v_add_u32_e32 v34, v3, v44
	v_cmp_ne_u32_e32 vcc, 0, v53
                                        ; implicit-def: $vgpr44_vgpr45
                                        ; implicit-def: $vgpr46
	s_and_saveexec_b64 s[40:41], vcc
	s_xor_b64 s[40:41], exec, s[40:41]
; %bb.3915:                             ;   in Loop: Header=BB2_3833 Depth=3
	v_cmp_lt_u64_e32 vcc, s[94:95], v[34:35]
	v_add_u32_e32 v3, 7, v57
	v_cndmask_b32_e32 v46, v53, v3, vcc
	v_cndmask_b32_e64 v3, 0, 1, vcc
	v_lshrrev_b64 v[44:45], v3, v[34:35]
; %bb.3916:                             ;   in Loop: Header=BB2_3833 Depth=3
	s_andn2_saveexec_b64 s[40:41], s[40:41]
; %bb.3917:                             ;   in Loop: Header=BB2_3833 Depth=3
	v_mov_b32_e32 v45, v35
	v_bfe_u32 v46, v34, 23, 1
	v_mov_b32_e32 v44, v34
; %bb.3918:                             ;   in Loop: Header=BB2_3833 Depth=3
	s_or_b64 exec, exec, s[40:41]
	v_lshrrev_b64 v[42:43], 20, v[44:45]
	v_cmp_gt_i32_e32 vcc, 16, v46
	v_cndmask_b32_e32 v45, 0, v43, vcc
	v_cndmask_b32_e32 v44, 7, v42, vcc
	v_cmp_ne_u64_e32 vcc, 0, v[44:45]
	v_cmp_ne_u32_e64 s[40:41], 0, v46
	s_or_b64 s[40:41], s[40:41], vcc
                                        ; implicit-def: $vgpr53
	s_and_saveexec_b64 vcc, s[40:41]
	s_xor_b64 s[40:41], exec, vcc
; %bb.3919:                             ;   in Loop: Header=BB2_3833 Depth=3
	v_min_i32_e32 v3, 15, v46
	v_lshl_or_b32 v3, v3, 3, v30
	v_and_or_b32 v53, v44, 7, v3
                                        ; implicit-def: $vgpr30
; %bb.3920:                             ;   in Loop: Header=BB2_3833 Depth=3
	s_andn2_saveexec_b64 s[40:41], s[40:41]
; %bb.3921:                             ;   in Loop: Header=BB2_3833 Depth=3
	v_mov_b32_e32 v53, v30
; %bb.3922:                             ;   in Loop: Header=BB2_3833 Depth=3
	s_or_b64 exec, exec, s[40:41]
.LBB2_3923:                             ;   in Loop: Header=BB2_3833 Depth=3
	s_or_b64 exec, exec, s[52:53]
                                        ; implicit-def: $vgpr30
.LBB2_3924:                             ;   in Loop: Header=BB2_3833 Depth=3
	s_andn2_saveexec_b64 s[40:41], s[50:51]
; %bb.3925:                             ;   in Loop: Header=BB2_3833 Depth=3
	v_or_b32_e32 v53, 0x7e, v30
; %bb.3926:                             ;   in Loop: Header=BB2_3833 Depth=3
	s_or_b64 exec, exec, s[40:41]
                                        ; implicit-def: $vgpr44
.LBB2_3927:                             ;   in Loop: Header=BB2_3833 Depth=3
	s_andn2_saveexec_b64 s[40:41], s[48:49]
; %bb.3928:                             ;   in Loop: Header=BB2_3833 Depth=3
	v_or_b32_sdwa v53, v44, s97 dst_sel:DWORD dst_unused:UNUSED_PAD src0_sel:BYTE_3 src1_sel:DWORD
; %bb.3929:                             ;   in Loop: Header=BB2_3833 Depth=3
	s_or_b64 exec, exec, s[40:41]
	v_and_b32_e32 v30, 0xff, v56
	v_cmp_ne_u16_e64 s[40:41], 0, v30
	s_and_b64 vcc, exec, s[28:29]
	s_mov_b64 s[48:49], -1
                                        ; implicit-def: $vgpr44
	s_cbranch_vccnz .LBB2_3943
; %bb.3930:                             ;   in Loop: Header=BB2_3833 Depth=3
	v_mov_b32_e32 v45, 0
	v_mov_b32_e32 v44, 0
	s_and_saveexec_b64 s[48:49], s[40:41]
	s_cbranch_execz .LBB2_3936
; %bb.3931:                             ;   in Loop: Header=BB2_3833 Depth=3
	v_cmp_ne_u16_e32 vcc, s59, v30
	v_bfrev_b32_e32 v44, 1
	s_and_saveexec_b64 s[50:51], vcc
	s_cbranch_execz .LBB2_3935
; %bb.3932:                             ;   in Loop: Header=BB2_3833 Depth=3
	v_and_b32_e32 v34, 0x7f, v56
	v_cmp_ne_u32_e32 vcc, s97, v34
	v_mov_b32_e32 v44, 0x7f800001
	s_and_saveexec_b64 s[52:53], vcc
	s_cbranch_execz .LBB2_3934
; %bb.3933:                             ;   in Loop: Header=BB2_3833 Depth=3
	v_and_b32_e32 v3, 7, v30
	v_lshrrev_b32_e32 v4, 3, v34
	v_cmp_gt_u32_e32 vcc, 8, v34
	v_ffbh_u32_e32 v34, v3
	v_min_u32_e32 v34, 32, v34
	v_subrev_u32_e32 v42, 28, v34
	v_lshlrev_b64 v[42:43], v42, v[30:31]
	v_sub_u32_e32 v34, 29, v34
	v_and_b32_e32 v42, 7, v42
	v_cndmask_b32_e32 v4, v4, v34, vcc
	v_cndmask_b32_e32 v3, v3, v42, vcc
	v_lshlrev_b32_e32 v34, 24, v56
	v_lshlrev_b32_e32 v3, 20, v3
	v_and_b32_e32 v34, 0x80000000, v34
	v_lshl_add_u32 v4, v4, 23, v48
	v_or3_b32 v44, v34, v4, v3
.LBB2_3934:                             ;   in Loop: Header=BB2_3833 Depth=3
	s_or_b64 exec, exec, s[52:53]
.LBB2_3935:                             ;   in Loop: Header=BB2_3833 Depth=3
	s_or_b64 exec, exec, s[50:51]
.LBB2_3936:                             ;   in Loop: Header=BB2_3833 Depth=3
	s_or_b64 exec, exec, s[48:49]
	v_and_b32_e32 v34, 0xff, v40
	v_cmp_ne_u16_e32 vcc, 0, v34
	s_and_saveexec_b64 s[48:49], vcc
	s_cbranch_execz .LBB2_3942
; %bb.3937:                             ;   in Loop: Header=BB2_3833 Depth=3
	v_cmp_ne_u16_e32 vcc, s59, v34
	v_bfrev_b32_e32 v45, 1
	s_and_saveexec_b64 s[50:51], vcc
	s_cbranch_execz .LBB2_3941
; %bb.3938:                             ;   in Loop: Header=BB2_3833 Depth=3
	v_and_b32_e32 v46, 0x7f, v40
	v_cmp_ne_u32_e32 vcc, s97, v46
	v_mov_b32_e32 v45, 0x7f800001
	s_and_saveexec_b64 s[52:53], vcc
	s_cbranch_execz .LBB2_3940
; %bb.3939:                             ;   in Loop: Header=BB2_3833 Depth=3
	v_and_b32_e32 v3, 7, v34
	v_ffbh_u32_e32 v42, v3
	v_min_u32_e32 v45, 32, v42
	v_subrev_u32_e32 v42, 28, v45
	v_lshlrev_b64 v[42:43], v42, v[34:35]
	v_lshrrev_b32_e32 v4, 3, v46
	v_cmp_gt_u32_e32 vcc, 8, v46
	v_sub_u32_e32 v34, 29, v45
	v_and_b32_e32 v42, 7, v42
	v_cndmask_b32_e32 v4, v4, v34, vcc
	v_cndmask_b32_e32 v3, v3, v42, vcc
	v_lshlrev_b32_e32 v34, 24, v40
	v_lshlrev_b32_e32 v3, 20, v3
	v_and_b32_e32 v34, 0x80000000, v34
	v_lshl_add_u32 v4, v4, 23, v48
	v_or3_b32 v45, v34, v4, v3
.LBB2_3940:                             ;   in Loop: Header=BB2_3833 Depth=3
	s_or_b64 exec, exec, s[52:53]
.LBB2_3941:                             ;   in Loop: Header=BB2_3833 Depth=3
	s_or_b64 exec, exec, s[50:51]
.LBB2_3942:                             ;   in Loop: Header=BB2_3833 Depth=3
	s_or_b64 exec, exec, s[48:49]
	v_max_f32_e32 v3, v45, v45
	v_max_f32_e32 v4, v44, v44
	;; [unrolled: 1-line block ×3, first 2 shown]
	s_mov_b64 s[48:49], 0
.LBB2_3943:                             ;   in Loop: Header=BB2_3833 Depth=3
	s_and_b64 vcc, exec, s[48:49]
	s_cbranch_vccz .LBB2_3957
; %bb.3944:                             ;   in Loop: Header=BB2_3833 Depth=3
	v_mov_b32_e32 v44, 0
	v_mov_b32_e32 v34, 0
	s_and_saveexec_b64 s[48:49], s[40:41]
	s_cbranch_execz .LBB2_3950
; %bb.3945:                             ;   in Loop: Header=BB2_3833 Depth=3
	v_cmp_ne_u16_e32 vcc, s59, v30
	v_bfrev_b32_e32 v34, 1
	s_and_saveexec_b64 s[40:41], vcc
	s_cbranch_execz .LBB2_3949
; %bb.3946:                             ;   in Loop: Header=BB2_3833 Depth=3
	v_and_b32_e32 v45, 0x7f, v56
	v_cmp_ne_u32_e32 vcc, s97, v45
	v_mov_b32_e32 v34, 0x7f800001
	s_and_saveexec_b64 s[50:51], vcc
	s_cbranch_execz .LBB2_3948
; %bb.3947:                             ;   in Loop: Header=BB2_3833 Depth=3
	v_and_b32_e32 v3, 7, v30
	v_ffbh_u32_e32 v34, v3
	v_min_u32_e32 v34, 32, v34
	v_subrev_u32_e32 v42, 28, v34
	v_lshlrev_b64 v[42:43], v42, v[30:31]
	v_lshrrev_b32_e32 v4, 3, v45
	v_cmp_gt_u32_e32 vcc, 8, v45
	v_sub_u32_e32 v30, 29, v34
	v_and_b32_e32 v34, 7, v42
	v_cndmask_b32_e32 v4, v4, v30, vcc
	v_cndmask_b32_e32 v3, v3, v34, vcc
	v_lshlrev_b32_e32 v30, 24, v56
	v_lshlrev_b32_e32 v3, 20, v3
	v_and_b32_e32 v30, 0x80000000, v30
	v_lshl_add_u32 v4, v4, 23, v48
	v_or3_b32 v34, v30, v4, v3
.LBB2_3948:                             ;   in Loop: Header=BB2_3833 Depth=3
	s_or_b64 exec, exec, s[50:51]
.LBB2_3949:                             ;   in Loop: Header=BB2_3833 Depth=3
	s_or_b64 exec, exec, s[40:41]
.LBB2_3950:                             ;   in Loop: Header=BB2_3833 Depth=3
	s_or_b64 exec, exec, s[48:49]
	v_and_b32_e32 v30, 0xff, v40
	v_cmp_ne_u16_e32 vcc, 0, v30
	s_and_saveexec_b64 s[40:41], vcc
	s_cbranch_execz .LBB2_3956
; %bb.3951:                             ;   in Loop: Header=BB2_3833 Depth=3
	v_cmp_ne_u16_e32 vcc, s59, v30
	v_bfrev_b32_e32 v44, 1
	s_and_saveexec_b64 s[48:49], vcc
	s_cbranch_execz .LBB2_3955
; %bb.3952:                             ;   in Loop: Header=BB2_3833 Depth=3
	v_and_b32_e32 v45, 0x7f, v40
	v_cmp_ne_u32_e32 vcc, s97, v45
	v_mov_b32_e32 v44, 0x7f800001
	s_and_saveexec_b64 s[50:51], vcc
	s_cbranch_execz .LBB2_3954
; %bb.3953:                             ;   in Loop: Header=BB2_3833 Depth=3
	v_and_b32_e32 v3, 7, v30
	v_ffbh_u32_e32 v42, v3
	v_min_u32_e32 v44, 32, v42
	v_subrev_u32_e32 v42, 28, v44
	v_lshlrev_b64 v[42:43], v42, v[30:31]
	v_lshrrev_b32_e32 v4, 3, v45
	v_cmp_gt_u32_e32 vcc, 8, v45
	v_sub_u32_e32 v30, 29, v44
	v_and_b32_e32 v42, 7, v42
	v_cndmask_b32_e32 v4, v4, v30, vcc
	v_cndmask_b32_e32 v3, v3, v42, vcc
	v_lshlrev_b32_e32 v30, 24, v40
	v_lshlrev_b32_e32 v3, 20, v3
	v_and_b32_e32 v30, 0x80000000, v30
	v_lshl_add_u32 v4, v4, 23, v48
	v_or3_b32 v44, v30, v4, v3
.LBB2_3954:                             ;   in Loop: Header=BB2_3833 Depth=3
	s_or_b64 exec, exec, s[50:51]
.LBB2_3955:                             ;   in Loop: Header=BB2_3833 Depth=3
	s_or_b64 exec, exec, s[48:49]
.LBB2_3956:                             ;   in Loop: Header=BB2_3833 Depth=3
	s_or_b64 exec, exec, s[40:41]
	v_max_f32_e32 v3, v44, v44
	v_max_f32_e32 v4, v34, v34
	v_min_f32_e32 v44, v4, v3
.LBB2_3957:                             ;   in Loop: Header=BB2_3833 Depth=3
	v_and_b32_e32 v34, 0x7f800000, v44
	v_cmp_ne_u64_e32 vcc, s[90:91], v[34:35]
                                        ; implicit-def: $vgpr40
	s_and_saveexec_b64 s[40:41], vcc
	s_xor_b64 s[48:49], exec, s[40:41]
	s_cbranch_execz .LBB2_3975
; %bb.3958:                             ;   in Loop: Header=BB2_3833 Depth=3
	v_and_b32_e32 v34, 0x7fffffff, v44
	v_cmp_gt_u64_e32 vcc, s[92:93], v[34:35]
	v_and_b32_sdwa v30, v44, s59 dst_sel:DWORD dst_unused:UNUSED_PAD src0_sel:BYTE_3 src1_sel:DWORD
                                        ; implicit-def: $vgpr40
	s_and_saveexec_b64 s[40:41], vcc
	s_xor_b64 s[50:51], exec, s[40:41]
	s_cbranch_execz .LBB2_3972
; %bb.3959:                             ;   in Loop: Header=BB2_3833 Depth=3
	v_cmp_ne_u32_e32 vcc, 0, v44
	v_mov_b32_e32 v40, 0
	s_and_saveexec_b64 s[52:53], vcc
	s_cbranch_execz .LBB2_3971
; %bb.3960:                             ;   in Loop: Header=BB2_3833 Depth=3
	v_bfe_u32 v40, v44, 23, 8
	v_cmp_gt_u32_e64 s[40:41], s56, v40
	v_sub_u32_e32 v4, 0x79, v40
	v_and_b32_e32 v3, 0x7fffff, v44
	v_cmp_eq_u32_e32 vcc, 0, v40
	v_cndmask_b32_e64 v4, 0, v4, s[40:41]
	v_mov_b32_e32 v42, 0x78
	v_or_b32_e32 v34, 0x800000, v3
	v_cndmask_b32_e32 v56, v4, v42, vcc
	v_cndmask_b32_e32 v34, v34, v3, vcc
	v_add_u32_e32 v3, 20, v56
	v_lshlrev_b64 v[42:43], v3, -1
	v_add_u32_e32 v3, 19, v56
	v_lshlrev_b64 v[44:45], v3, 1
	v_bfi_b32 v43, v43, 0, 0
	v_bfi_b32 v42, v42, 0, v34
	v_cmp_eq_u64_e64 s[40:41], v[42:43], v[44:45]
	v_lshrrev_b64 v[44:45], v56, v[34:35]
	v_mov_b32_e32 v46, v45
	v_mov_b32_e32 v45, v44
	s_and_saveexec_b64 s[54:55], s[40:41]
; %bb.3961:                             ;   in Loop: Header=BB2_3833 Depth=3
	v_bfe_u32 v3, v44, 20, 1
	v_add_co_u32_e64 v3, s[40:41], v44, v3
	v_add_co_u32_e64 v45, s[40:41], -1, v3
; %bb.3962:                             ;   in Loop: Header=BB2_3833 Depth=3
	s_or_b64 exec, exec, s[54:55]
	v_add_u32_e32 v3, 0xffffff81, v40
	v_cndmask_b32_e32 v3, v3, v52, vcc
	v_lshrrev_b32_e32 v4, 23, v44
	v_add3_u32 v56, v56, v3, v4
	v_add_u32_e32 v40, 6, v56
	v_and_b32_e32 v3, 0xfffff, v45
	v_add_u32_e32 v34, v3, v44
	v_cmp_ne_u32_e32 vcc, 0, v40
                                        ; implicit-def: $vgpr44_vgpr45
                                        ; implicit-def: $vgpr46
	s_and_saveexec_b64 s[40:41], vcc
	s_xor_b64 s[40:41], exec, s[40:41]
; %bb.3963:                             ;   in Loop: Header=BB2_3833 Depth=3
	v_cmp_lt_u64_e32 vcc, s[94:95], v[34:35]
	v_add_u32_e32 v3, 7, v56
	v_cndmask_b32_e32 v46, v40, v3, vcc
	v_cndmask_b32_e64 v3, 0, 1, vcc
	v_lshrrev_b64 v[44:45], v3, v[34:35]
; %bb.3964:                             ;   in Loop: Header=BB2_3833 Depth=3
	s_andn2_saveexec_b64 s[40:41], s[40:41]
; %bb.3965:                             ;   in Loop: Header=BB2_3833 Depth=3
	v_mov_b32_e32 v45, v35
	v_bfe_u32 v46, v34, 23, 1
	v_mov_b32_e32 v44, v34
; %bb.3966:                             ;   in Loop: Header=BB2_3833 Depth=3
	s_or_b64 exec, exec, s[40:41]
	v_lshrrev_b64 v[42:43], 20, v[44:45]
	v_cmp_gt_i32_e32 vcc, 16, v46
	v_cndmask_b32_e32 v45, 0, v43, vcc
	v_cndmask_b32_e32 v44, 7, v42, vcc
	v_cmp_ne_u64_e32 vcc, 0, v[44:45]
	v_cmp_ne_u32_e64 s[40:41], 0, v46
	s_or_b64 s[40:41], s[40:41], vcc
                                        ; implicit-def: $vgpr40
	s_and_saveexec_b64 vcc, s[40:41]
	s_xor_b64 s[40:41], exec, vcc
; %bb.3967:                             ;   in Loop: Header=BB2_3833 Depth=3
	v_min_i32_e32 v3, 15, v46
	v_lshl_or_b32 v3, v3, 3, v30
	v_and_or_b32 v40, v44, 7, v3
                                        ; implicit-def: $vgpr30
; %bb.3968:                             ;   in Loop: Header=BB2_3833 Depth=3
	s_andn2_saveexec_b64 s[40:41], s[40:41]
; %bb.3969:                             ;   in Loop: Header=BB2_3833 Depth=3
	v_mov_b32_e32 v40, v30
; %bb.3970:                             ;   in Loop: Header=BB2_3833 Depth=3
	s_or_b64 exec, exec, s[40:41]
.LBB2_3971:                             ;   in Loop: Header=BB2_3833 Depth=3
	s_or_b64 exec, exec, s[52:53]
                                        ; implicit-def: $vgpr30
.LBB2_3972:                             ;   in Loop: Header=BB2_3833 Depth=3
	s_andn2_saveexec_b64 s[40:41], s[50:51]
; %bb.3973:                             ;   in Loop: Header=BB2_3833 Depth=3
	v_or_b32_e32 v40, 0x7e, v30
; %bb.3974:                             ;   in Loop: Header=BB2_3833 Depth=3
	s_or_b64 exec, exec, s[40:41]
                                        ; implicit-def: $vgpr44
.LBB2_3975:                             ;   in Loop: Header=BB2_3833 Depth=3
	s_andn2_saveexec_b64 s[40:41], s[48:49]
; %bb.3976:                             ;   in Loop: Header=BB2_3833 Depth=3
	v_or_b32_sdwa v40, v44, s97 dst_sel:DWORD dst_unused:UNUSED_PAD src0_sel:BYTE_3 src1_sel:DWORD
; %bb.3977:                             ;   in Loop: Header=BB2_3833 Depth=3
	s_or_b64 exec, exec, s[40:41]
	v_and_b32_e32 v30, 0xff, v25
	v_cmp_ne_u16_e64 s[40:41], 0, v30
	s_and_b64 vcc, exec, s[28:29]
	s_mov_b64 s[48:49], -1
                                        ; implicit-def: $vgpr44
	s_cbranch_vccnz .LBB2_3991
; %bb.3978:                             ;   in Loop: Header=BB2_3833 Depth=3
	v_mov_b32_e32 v45, 0
	v_mov_b32_e32 v44, 0
	s_and_saveexec_b64 s[48:49], s[40:41]
	s_cbranch_execz .LBB2_3984
; %bb.3979:                             ;   in Loop: Header=BB2_3833 Depth=3
	v_cmp_ne_u16_e32 vcc, s59, v30
	v_bfrev_b32_e32 v44, 1
	s_and_saveexec_b64 s[50:51], vcc
	s_cbranch_execz .LBB2_3983
; %bb.3980:                             ;   in Loop: Header=BB2_3833 Depth=3
	v_and_b32_e32 v34, 0x7f, v25
	v_cmp_ne_u32_e32 vcc, s97, v34
	v_mov_b32_e32 v44, 0x7f800001
	s_and_saveexec_b64 s[52:53], vcc
	s_cbranch_execz .LBB2_3982
; %bb.3981:                             ;   in Loop: Header=BB2_3833 Depth=3
	v_and_b32_e32 v3, 7, v30
	v_lshrrev_b32_e32 v4, 3, v34
	v_cmp_gt_u32_e32 vcc, 8, v34
	v_ffbh_u32_e32 v34, v3
	v_min_u32_e32 v34, 32, v34
	v_subrev_u32_e32 v42, 28, v34
	v_lshlrev_b64 v[42:43], v42, v[30:31]
	v_sub_u32_e32 v34, 29, v34
	v_and_b32_e32 v42, 7, v42
	v_cndmask_b32_e32 v4, v4, v34, vcc
	v_cndmask_b32_e32 v3, v3, v42, vcc
	v_lshlrev_b32_e32 v34, 24, v25
	v_lshlrev_b32_e32 v3, 20, v3
	v_and_b32_e32 v34, 0x80000000, v34
	v_lshl_add_u32 v4, v4, 23, v48
	v_or3_b32 v44, v34, v4, v3
.LBB2_3982:                             ;   in Loop: Header=BB2_3833 Depth=3
	s_or_b64 exec, exec, s[52:53]
.LBB2_3983:                             ;   in Loop: Header=BB2_3833 Depth=3
	s_or_b64 exec, exec, s[50:51]
.LBB2_3984:                             ;   in Loop: Header=BB2_3833 Depth=3
	s_or_b64 exec, exec, s[48:49]
	v_and_b32_e32 v34, 0xff, v24
	v_cmp_ne_u16_e32 vcc, 0, v34
	s_and_saveexec_b64 s[48:49], vcc
	s_cbranch_execz .LBB2_3990
; %bb.3985:                             ;   in Loop: Header=BB2_3833 Depth=3
	v_cmp_ne_u16_e32 vcc, s59, v34
	v_bfrev_b32_e32 v45, 1
	s_and_saveexec_b64 s[50:51], vcc
	s_cbranch_execz .LBB2_3989
; %bb.3986:                             ;   in Loop: Header=BB2_3833 Depth=3
	v_and_b32_e32 v46, 0x7f, v24
	v_cmp_ne_u32_e32 vcc, s97, v46
	v_mov_b32_e32 v45, 0x7f800001
	s_and_saveexec_b64 s[52:53], vcc
	s_cbranch_execz .LBB2_3988
; %bb.3987:                             ;   in Loop: Header=BB2_3833 Depth=3
	v_and_b32_e32 v3, 7, v34
	v_ffbh_u32_e32 v42, v3
	v_min_u32_e32 v45, 32, v42
	v_subrev_u32_e32 v42, 28, v45
	v_lshlrev_b64 v[42:43], v42, v[34:35]
	v_lshrrev_b32_e32 v4, 3, v46
	v_cmp_gt_u32_e32 vcc, 8, v46
	v_sub_u32_e32 v34, 29, v45
	v_and_b32_e32 v42, 7, v42
	v_cndmask_b32_e32 v4, v4, v34, vcc
	v_cndmask_b32_e32 v3, v3, v42, vcc
	v_lshlrev_b32_e32 v34, 24, v24
	v_lshlrev_b32_e32 v3, 20, v3
	v_and_b32_e32 v34, 0x80000000, v34
	v_lshl_add_u32 v4, v4, 23, v48
	v_or3_b32 v45, v34, v4, v3
.LBB2_3988:                             ;   in Loop: Header=BB2_3833 Depth=3
	s_or_b64 exec, exec, s[52:53]
.LBB2_3989:                             ;   in Loop: Header=BB2_3833 Depth=3
	s_or_b64 exec, exec, s[50:51]
.LBB2_3990:                             ;   in Loop: Header=BB2_3833 Depth=3
	s_or_b64 exec, exec, s[48:49]
	v_max_f32_e32 v3, v45, v45
	v_max_f32_e32 v4, v44, v44
	;; [unrolled: 1-line block ×3, first 2 shown]
	s_mov_b64 s[48:49], 0
.LBB2_3991:                             ;   in Loop: Header=BB2_3833 Depth=3
	s_and_b64 vcc, exec, s[48:49]
	s_cbranch_vccz .LBB2_4005
; %bb.3992:                             ;   in Loop: Header=BB2_3833 Depth=3
	v_mov_b32_e32 v44, 0
	v_mov_b32_e32 v34, 0
	s_and_saveexec_b64 s[48:49], s[40:41]
	s_cbranch_execz .LBB2_3998
; %bb.3993:                             ;   in Loop: Header=BB2_3833 Depth=3
	v_cmp_ne_u16_e32 vcc, s59, v30
	v_bfrev_b32_e32 v34, 1
	s_and_saveexec_b64 s[40:41], vcc
	s_cbranch_execz .LBB2_3997
; %bb.3994:                             ;   in Loop: Header=BB2_3833 Depth=3
	v_and_b32_e32 v45, 0x7f, v25
	v_cmp_ne_u32_e32 vcc, s97, v45
	v_mov_b32_e32 v34, 0x7f800001
	s_and_saveexec_b64 s[50:51], vcc
	s_cbranch_execz .LBB2_3996
; %bb.3995:                             ;   in Loop: Header=BB2_3833 Depth=3
	v_and_b32_e32 v3, 7, v30
	v_ffbh_u32_e32 v34, v3
	v_min_u32_e32 v34, 32, v34
	v_subrev_u32_e32 v42, 28, v34
	v_lshlrev_b64 v[42:43], v42, v[30:31]
	v_lshrrev_b32_e32 v4, 3, v45
	v_cmp_gt_u32_e32 vcc, 8, v45
	v_sub_u32_e32 v30, 29, v34
	v_and_b32_e32 v34, 7, v42
	v_cndmask_b32_e32 v4, v4, v30, vcc
	v_cndmask_b32_e32 v3, v3, v34, vcc
	v_lshlrev_b32_e32 v25, 24, v25
	v_lshlrev_b32_e32 v3, 20, v3
	v_and_b32_e32 v25, 0x80000000, v25
	v_lshl_add_u32 v4, v4, 23, v48
	v_or3_b32 v34, v25, v4, v3
.LBB2_3996:                             ;   in Loop: Header=BB2_3833 Depth=3
	s_or_b64 exec, exec, s[50:51]
.LBB2_3997:                             ;   in Loop: Header=BB2_3833 Depth=3
	s_or_b64 exec, exec, s[40:41]
.LBB2_3998:                             ;   in Loop: Header=BB2_3833 Depth=3
	s_or_b64 exec, exec, s[48:49]
	v_and_b32_e32 v30, 0xff, v24
	v_cmp_ne_u16_e32 vcc, 0, v30
	s_and_saveexec_b64 s[40:41], vcc
	s_cbranch_execz .LBB2_4004
; %bb.3999:                             ;   in Loop: Header=BB2_3833 Depth=3
	v_cmp_ne_u16_e32 vcc, s59, v30
	v_bfrev_b32_e32 v44, 1
	s_and_saveexec_b64 s[48:49], vcc
	s_cbranch_execz .LBB2_4003
; %bb.4000:                             ;   in Loop: Header=BB2_3833 Depth=3
	v_and_b32_e32 v25, 0x7f, v24
	v_cmp_ne_u32_e32 vcc, s97, v25
	v_mov_b32_e32 v44, 0x7f800001
	s_and_saveexec_b64 s[50:51], vcc
	s_cbranch_execz .LBB2_4002
; %bb.4001:                             ;   in Loop: Header=BB2_3833 Depth=3
	v_and_b32_e32 v3, 7, v30
	v_lshrrev_b32_e32 v4, 3, v25
	v_cmp_gt_u32_e32 vcc, 8, v25
	v_ffbh_u32_e32 v25, v3
	v_min_u32_e32 v25, 32, v25
	v_subrev_u32_e32 v42, 28, v25
	v_lshlrev_b64 v[42:43], v42, v[30:31]
	v_sub_u32_e32 v25, 29, v25
	v_and_b32_e32 v30, 7, v42
	v_cndmask_b32_e32 v4, v4, v25, vcc
	v_cndmask_b32_e32 v3, v3, v30, vcc
	v_lshlrev_b32_e32 v24, 24, v24
	v_lshlrev_b32_e32 v3, 20, v3
	v_and_b32_e32 v24, 0x80000000, v24
	v_lshl_add_u32 v4, v4, 23, v48
	v_or3_b32 v44, v24, v4, v3
.LBB2_4002:                             ;   in Loop: Header=BB2_3833 Depth=3
	s_or_b64 exec, exec, s[50:51]
.LBB2_4003:                             ;   in Loop: Header=BB2_3833 Depth=3
	s_or_b64 exec, exec, s[48:49]
.LBB2_4004:                             ;   in Loop: Header=BB2_3833 Depth=3
	s_or_b64 exec, exec, s[40:41]
	v_max_f32_e32 v3, v44, v44
	v_max_f32_e32 v4, v34, v34
	v_min_f32_e32 v44, v4, v3
.LBB2_4005:                             ;   in Loop: Header=BB2_3833 Depth=3
	v_and_b32_e32 v34, 0x7f800000, v44
	v_cmp_ne_u64_e32 vcc, s[90:91], v[34:35]
                                        ; implicit-def: $vgpr56
	s_and_saveexec_b64 s[40:41], vcc
	s_xor_b64 s[48:49], exec, s[40:41]
	s_cbranch_execz .LBB2_4023
; %bb.4006:                             ;   in Loop: Header=BB2_3833 Depth=3
	v_and_b32_e32 v34, 0x7fffffff, v44
	v_cmp_gt_u64_e32 vcc, s[92:93], v[34:35]
	v_and_b32_sdwa v24, v44, s59 dst_sel:DWORD dst_unused:UNUSED_PAD src0_sel:BYTE_3 src1_sel:DWORD
                                        ; implicit-def: $vgpr56
	s_and_saveexec_b64 s[40:41], vcc
	s_xor_b64 s[50:51], exec, s[40:41]
	s_cbranch_execz .LBB2_4020
; %bb.4007:                             ;   in Loop: Header=BB2_3833 Depth=3
	v_cmp_ne_u32_e32 vcc, 0, v44
	v_mov_b32_e32 v56, 0
	s_and_saveexec_b64 s[52:53], vcc
	s_cbranch_execz .LBB2_4019
; %bb.4008:                             ;   in Loop: Header=BB2_3833 Depth=3
	v_bfe_u32 v25, v44, 23, 8
	v_cmp_gt_u32_e64 s[40:41], s56, v25
	v_sub_u32_e32 v4, 0x79, v25
	v_and_b32_e32 v3, 0x7fffff, v44
	v_cmp_eq_u32_e32 vcc, 0, v25
	v_cndmask_b32_e64 v4, 0, v4, s[40:41]
	v_mov_b32_e32 v30, 0x78
	v_or_b32_e32 v34, 0x800000, v3
	v_cndmask_b32_e32 v30, v4, v30, vcc
	v_cndmask_b32_e32 v34, v34, v3, vcc
	v_add_u32_e32 v3, 20, v30
	v_lshlrev_b64 v[42:43], v3, -1
	v_add_u32_e32 v3, 19, v30
	v_lshlrev_b64 v[44:45], v3, 1
	v_bfi_b32 v43, v43, 0, 0
	v_bfi_b32 v42, v42, 0, v34
	v_cmp_eq_u64_e64 s[40:41], v[42:43], v[44:45]
	v_lshrrev_b64 v[44:45], v30, v[34:35]
	v_mov_b32_e32 v46, v45
	v_mov_b32_e32 v45, v44
	s_and_saveexec_b64 s[54:55], s[40:41]
; %bb.4009:                             ;   in Loop: Header=BB2_3833 Depth=3
	v_bfe_u32 v3, v44, 20, 1
	v_add_co_u32_e64 v3, s[40:41], v44, v3
	v_add_co_u32_e64 v45, s[40:41], -1, v3
; %bb.4010:                             ;   in Loop: Header=BB2_3833 Depth=3
	s_or_b64 exec, exec, s[54:55]
	v_add_u32_e32 v3, 0xffffff81, v25
	v_cndmask_b32_e32 v3, v3, v52, vcc
	v_lshrrev_b32_e32 v4, 23, v44
	v_add3_u32 v46, v30, v3, v4
	v_add_u32_e32 v30, 6, v46
	v_and_b32_e32 v3, 0xfffff, v45
	v_add_u32_e32 v34, v3, v44
	v_cmp_ne_u32_e32 vcc, 0, v30
                                        ; implicit-def: $vgpr44_vgpr45
                                        ; implicit-def: $vgpr25
	s_and_saveexec_b64 s[40:41], vcc
	s_xor_b64 s[40:41], exec, s[40:41]
; %bb.4011:                             ;   in Loop: Header=BB2_3833 Depth=3
	v_cmp_lt_u64_e32 vcc, s[94:95], v[34:35]
	v_add_u32_e32 v3, 7, v46
	v_cndmask_b32_e32 v25, v30, v3, vcc
	v_cndmask_b32_e64 v3, 0, 1, vcc
	v_lshrrev_b64 v[44:45], v3, v[34:35]
; %bb.4012:                             ;   in Loop: Header=BB2_3833 Depth=3
	s_andn2_saveexec_b64 s[40:41], s[40:41]
; %bb.4013:                             ;   in Loop: Header=BB2_3833 Depth=3
	v_mov_b32_e32 v45, v35
	v_bfe_u32 v25, v34, 23, 1
	v_mov_b32_e32 v44, v34
; %bb.4014:                             ;   in Loop: Header=BB2_3833 Depth=3
	s_or_b64 exec, exec, s[40:41]
	v_lshrrev_b64 v[42:43], 20, v[44:45]
	v_cmp_gt_i32_e32 vcc, 16, v25
	v_cndmask_b32_e32 v45, 0, v43, vcc
	v_cndmask_b32_e32 v44, 7, v42, vcc
	v_cmp_ne_u64_e32 vcc, 0, v[44:45]
	v_cmp_ne_u32_e64 s[40:41], 0, v25
	s_or_b64 s[40:41], s[40:41], vcc
                                        ; implicit-def: $vgpr56
	s_and_saveexec_b64 vcc, s[40:41]
	s_xor_b64 s[40:41], exec, vcc
; %bb.4015:                             ;   in Loop: Header=BB2_3833 Depth=3
	v_min_i32_e32 v3, 15, v25
	v_lshl_or_b32 v3, v3, 3, v24
	v_and_or_b32 v56, v44, 7, v3
                                        ; implicit-def: $vgpr24
; %bb.4016:                             ;   in Loop: Header=BB2_3833 Depth=3
	s_andn2_saveexec_b64 s[40:41], s[40:41]
; %bb.4017:                             ;   in Loop: Header=BB2_3833 Depth=3
	v_mov_b32_e32 v56, v24
; %bb.4018:                             ;   in Loop: Header=BB2_3833 Depth=3
	s_or_b64 exec, exec, s[40:41]
.LBB2_4019:                             ;   in Loop: Header=BB2_3833 Depth=3
	s_or_b64 exec, exec, s[52:53]
                                        ; implicit-def: $vgpr24
.LBB2_4020:                             ;   in Loop: Header=BB2_3833 Depth=3
	s_andn2_saveexec_b64 s[40:41], s[50:51]
; %bb.4021:                             ;   in Loop: Header=BB2_3833 Depth=3
	v_or_b32_e32 v56, 0x7e, v24
; %bb.4022:                             ;   in Loop: Header=BB2_3833 Depth=3
	s_or_b64 exec, exec, s[40:41]
                                        ; implicit-def: $vgpr44
.LBB2_4023:                             ;   in Loop: Header=BB2_3833 Depth=3
	s_andn2_saveexec_b64 s[40:41], s[48:49]
; %bb.4024:                             ;   in Loop: Header=BB2_3833 Depth=3
	v_or_b32_sdwa v56, v44, s97 dst_sel:DWORD dst_unused:UNUSED_PAD src0_sel:BYTE_3 src1_sel:DWORD
; %bb.4025:                             ;   in Loop: Header=BB2_3833 Depth=3
	s_or_b64 exec, exec, s[40:41]
	v_and_b32_e32 v30, 0xff, v47
	v_cmp_ne_u16_e64 s[40:41], 0, v30
	s_and_b64 vcc, exec, s[28:29]
	s_mov_b64 s[48:49], -1
                                        ; implicit-def: $vgpr44
	s_cbranch_vccnz .LBB2_4039
; %bb.4026:                             ;   in Loop: Header=BB2_3833 Depth=3
	v_mov_b32_e32 v25, 0
	v_mov_b32_e32 v24, 0
	s_and_saveexec_b64 s[48:49], s[40:41]
	s_cbranch_execz .LBB2_4032
; %bb.4027:                             ;   in Loop: Header=BB2_3833 Depth=3
	v_cmp_ne_u16_e32 vcc, s59, v30
	v_bfrev_b32_e32 v24, 1
	s_and_saveexec_b64 s[50:51], vcc
	s_cbranch_execz .LBB2_4031
; %bb.4028:                             ;   in Loop: Header=BB2_3833 Depth=3
	v_and_b32_e32 v34, 0x7f, v47
	v_cmp_ne_u32_e32 vcc, s97, v34
	v_mov_b32_e32 v24, 0x7f800001
	s_and_saveexec_b64 s[52:53], vcc
	s_cbranch_execz .LBB2_4030
; %bb.4029:                             ;   in Loop: Header=BB2_3833 Depth=3
	v_and_b32_e32 v3, 7, v30
	v_ffbh_u32_e32 v24, v3
	v_min_u32_e32 v24, 32, v24
	v_lshrrev_b32_e32 v4, 3, v34
	v_cmp_gt_u32_e32 vcc, 8, v34
	v_subrev_u32_e32 v34, 28, v24
	v_lshlrev_b64 v[42:43], v34, v[30:31]
	v_sub_u32_e32 v24, 29, v24
	v_and_b32_e32 v34, 7, v42
	v_cndmask_b32_e32 v4, v4, v24, vcc
	v_cndmask_b32_e32 v3, v3, v34, vcc
	v_lshlrev_b32_e32 v24, 24, v47
	v_lshlrev_b32_e32 v3, 20, v3
	v_and_b32_e32 v24, 0x80000000, v24
	v_lshl_add_u32 v4, v4, 23, v48
	v_or3_b32 v24, v24, v4, v3
.LBB2_4030:                             ;   in Loop: Header=BB2_3833 Depth=3
	s_or_b64 exec, exec, s[52:53]
.LBB2_4031:                             ;   in Loop: Header=BB2_3833 Depth=3
	s_or_b64 exec, exec, s[50:51]
.LBB2_4032:                             ;   in Loop: Header=BB2_3833 Depth=3
	s_or_b64 exec, exec, s[48:49]
	v_and_b32_e32 v34, 0xff, v41
	v_cmp_ne_u16_e32 vcc, 0, v34
	s_and_saveexec_b64 s[48:49], vcc
	s_cbranch_execz .LBB2_4038
; %bb.4033:                             ;   in Loop: Header=BB2_3833 Depth=3
	v_cmp_ne_u16_e32 vcc, s59, v34
	v_bfrev_b32_e32 v25, 1
	s_and_saveexec_b64 s[50:51], vcc
	s_cbranch_execz .LBB2_4037
; %bb.4034:                             ;   in Loop: Header=BB2_3833 Depth=3
	v_and_b32_e32 v44, 0x7f, v41
	v_cmp_ne_u32_e32 vcc, s97, v44
	v_mov_b32_e32 v25, 0x7f800001
	s_and_saveexec_b64 s[52:53], vcc
	s_cbranch_execz .LBB2_4036
; %bb.4035:                             ;   in Loop: Header=BB2_3833 Depth=3
	v_and_b32_e32 v3, 7, v34
	v_ffbh_u32_e32 v25, v3
	v_min_u32_e32 v25, 32, v25
	v_subrev_u32_e32 v42, 28, v25
	v_lshlrev_b64 v[42:43], v42, v[34:35]
	v_lshrrev_b32_e32 v4, 3, v44
	v_cmp_gt_u32_e32 vcc, 8, v44
	v_sub_u32_e32 v25, 29, v25
	v_and_b32_e32 v34, 7, v42
	v_cndmask_b32_e32 v4, v4, v25, vcc
	v_cndmask_b32_e32 v3, v3, v34, vcc
	v_lshlrev_b32_e32 v25, 24, v41
	v_lshlrev_b32_e32 v3, 20, v3
	v_and_b32_e32 v25, 0x80000000, v25
	v_lshl_add_u32 v4, v4, 23, v48
	v_or3_b32 v25, v25, v4, v3
.LBB2_4036:                             ;   in Loop: Header=BB2_3833 Depth=3
	s_or_b64 exec, exec, s[52:53]
.LBB2_4037:                             ;   in Loop: Header=BB2_3833 Depth=3
	s_or_b64 exec, exec, s[50:51]
.LBB2_4038:                             ;   in Loop: Header=BB2_3833 Depth=3
	s_or_b64 exec, exec, s[48:49]
	v_max_f32_e32 v3, v25, v25
	v_max_f32_e32 v4, v24, v24
	v_max_f32_e32 v44, v4, v3
	s_mov_b64 s[48:49], 0
.LBB2_4039:                             ;   in Loop: Header=BB2_3833 Depth=3
	s_and_b64 vcc, exec, s[48:49]
	s_cbranch_vccz .LBB2_4053
; %bb.4040:                             ;   in Loop: Header=BB2_3833 Depth=3
	v_mov_b32_e32 v25, 0
	v_mov_b32_e32 v24, 0
	s_and_saveexec_b64 s[48:49], s[40:41]
	s_cbranch_execz .LBB2_4046
; %bb.4041:                             ;   in Loop: Header=BB2_3833 Depth=3
	v_cmp_ne_u16_e32 vcc, s59, v30
	v_bfrev_b32_e32 v24, 1
	s_and_saveexec_b64 s[40:41], vcc
	s_cbranch_execz .LBB2_4045
; %bb.4042:                             ;   in Loop: Header=BB2_3833 Depth=3
	v_and_b32_e32 v34, 0x7f, v47
	v_cmp_ne_u32_e32 vcc, s97, v34
	v_mov_b32_e32 v24, 0x7f800001
	s_and_saveexec_b64 s[50:51], vcc
	s_cbranch_execz .LBB2_4044
; %bb.4043:                             ;   in Loop: Header=BB2_3833 Depth=3
	v_and_b32_e32 v3, 7, v30
	v_ffbh_u32_e32 v24, v3
	v_min_u32_e32 v24, 32, v24
	v_lshrrev_b32_e32 v4, 3, v34
	v_cmp_gt_u32_e32 vcc, 8, v34
	v_subrev_u32_e32 v34, 28, v24
	v_lshlrev_b64 v[42:43], v34, v[30:31]
	v_sub_u32_e32 v24, 29, v24
	v_and_b32_e32 v30, 7, v42
	v_cndmask_b32_e32 v4, v4, v24, vcc
	v_cndmask_b32_e32 v3, v3, v30, vcc
	v_lshlrev_b32_e32 v24, 24, v47
	v_lshlrev_b32_e32 v3, 20, v3
	v_and_b32_e32 v24, 0x80000000, v24
	v_lshl_add_u32 v4, v4, 23, v48
	v_or3_b32 v24, v24, v4, v3
.LBB2_4044:                             ;   in Loop: Header=BB2_3833 Depth=3
	s_or_b64 exec, exec, s[50:51]
.LBB2_4045:                             ;   in Loop: Header=BB2_3833 Depth=3
	s_or_b64 exec, exec, s[40:41]
.LBB2_4046:                             ;   in Loop: Header=BB2_3833 Depth=3
	s_or_b64 exec, exec, s[48:49]
	v_and_b32_e32 v30, 0xff, v41
	v_cmp_ne_u16_e32 vcc, 0, v30
	s_and_saveexec_b64 s[40:41], vcc
	s_cbranch_execz .LBB2_4052
; %bb.4047:                             ;   in Loop: Header=BB2_3833 Depth=3
	v_cmp_ne_u16_e32 vcc, s59, v30
	v_bfrev_b32_e32 v25, 1
	s_and_saveexec_b64 s[48:49], vcc
	s_cbranch_execz .LBB2_4051
; %bb.4048:                             ;   in Loop: Header=BB2_3833 Depth=3
	v_and_b32_e32 v34, 0x7f, v41
	v_cmp_ne_u32_e32 vcc, s97, v34
	v_mov_b32_e32 v25, 0x7f800001
	s_and_saveexec_b64 s[50:51], vcc
	s_cbranch_execz .LBB2_4050
; %bb.4049:                             ;   in Loop: Header=BB2_3833 Depth=3
	v_and_b32_e32 v3, 7, v30
	v_ffbh_u32_e32 v25, v3
	v_min_u32_e32 v25, 32, v25
	v_lshrrev_b32_e32 v4, 3, v34
	v_cmp_gt_u32_e32 vcc, 8, v34
	v_subrev_u32_e32 v34, 28, v25
	v_lshlrev_b64 v[42:43], v34, v[30:31]
	v_sub_u32_e32 v25, 29, v25
	v_and_b32_e32 v30, 7, v42
	v_cndmask_b32_e32 v4, v4, v25, vcc
	v_cndmask_b32_e32 v3, v3, v30, vcc
	v_lshlrev_b32_e32 v25, 24, v41
	v_lshlrev_b32_e32 v3, 20, v3
	v_and_b32_e32 v25, 0x80000000, v25
	v_lshl_add_u32 v4, v4, 23, v48
	v_or3_b32 v25, v25, v4, v3
.LBB2_4050:                             ;   in Loop: Header=BB2_3833 Depth=3
	s_or_b64 exec, exec, s[50:51]
.LBB2_4051:                             ;   in Loop: Header=BB2_3833 Depth=3
	s_or_b64 exec, exec, s[48:49]
.LBB2_4052:                             ;   in Loop: Header=BB2_3833 Depth=3
	s_or_b64 exec, exec, s[40:41]
	v_max_f32_e32 v3, v25, v25
	v_max_f32_e32 v4, v24, v24
	v_min_f32_e32 v44, v4, v3
.LBB2_4053:                             ;   in Loop: Header=BB2_3833 Depth=3
	v_and_b32_e32 v34, 0x7f800000, v44
	v_cmp_ne_u64_e32 vcc, s[90:91], v[34:35]
                                        ; implicit-def: $vgpr24
	s_and_saveexec_b64 s[40:41], vcc
	s_xor_b64 s[48:49], exec, s[40:41]
	s_cbranch_execz .LBB2_4071
; %bb.4054:                             ;   in Loop: Header=BB2_3833 Depth=3
	v_and_b32_e32 v34, 0x7fffffff, v44
	v_cmp_gt_u64_e32 vcc, s[92:93], v[34:35]
	v_and_b32_sdwa v25, v44, s59 dst_sel:DWORD dst_unused:UNUSED_PAD src0_sel:BYTE_3 src1_sel:DWORD
                                        ; implicit-def: $vgpr24
	s_and_saveexec_b64 s[40:41], vcc
	s_xor_b64 s[50:51], exec, s[40:41]
	s_cbranch_execz .LBB2_4068
; %bb.4055:                             ;   in Loop: Header=BB2_3833 Depth=3
	v_cmp_ne_u32_e32 vcc, 0, v44
	v_mov_b32_e32 v24, 0
	s_and_saveexec_b64 s[52:53], vcc
	s_cbranch_execz .LBB2_4067
; %bb.4056:                             ;   in Loop: Header=BB2_3833 Depth=3
	v_bfe_u32 v24, v44, 23, 8
	v_cmp_gt_u32_e64 s[40:41], s56, v24
	v_sub_u32_e32 v4, 0x79, v24
	v_and_b32_e32 v3, 0x7fffff, v44
	v_cmp_eq_u32_e32 vcc, 0, v24
	v_cndmask_b32_e64 v4, 0, v4, s[40:41]
	v_mov_b32_e32 v30, 0x78
	v_or_b32_e32 v34, 0x800000, v3
	v_cndmask_b32_e32 v30, v4, v30, vcc
	v_cndmask_b32_e32 v34, v34, v3, vcc
	v_add_u32_e32 v3, 20, v30
	v_lshlrev_b64 v[41:42], v3, -1
	v_add_u32_e32 v3, 19, v30
	v_lshlrev_b64 v[43:44], v3, 1
	v_bfi_b32 v42, v42, 0, 0
	v_bfi_b32 v41, v41, 0, v34
	v_cmp_eq_u64_e64 s[40:41], v[41:42], v[43:44]
	v_lshrrev_b64 v[44:45], v30, v[34:35]
	v_mov_b32_e32 v46, v45
	v_mov_b32_e32 v45, v44
	s_and_saveexec_b64 s[54:55], s[40:41]
; %bb.4057:                             ;   in Loop: Header=BB2_3833 Depth=3
	v_bfe_u32 v3, v44, 20, 1
	v_add_co_u32_e64 v3, s[40:41], v44, v3
	v_add_co_u32_e64 v45, s[40:41], -1, v3
; %bb.4058:                             ;   in Loop: Header=BB2_3833 Depth=3
	s_or_b64 exec, exec, s[54:55]
	v_add_u32_e32 v3, 0xffffff81, v24
	v_cndmask_b32_e32 v3, v3, v52, vcc
	v_lshrrev_b32_e32 v4, 23, v44
	v_add3_u32 v41, v30, v3, v4
	v_add_u32_e32 v24, 6, v41
	v_and_b32_e32 v3, 0xfffff, v45
	v_add_u32_e32 v34, v3, v44
	v_cmp_ne_u32_e32 vcc, 0, v24
                                        ; implicit-def: $vgpr44_vgpr45
                                        ; implicit-def: $vgpr30
	s_and_saveexec_b64 s[40:41], vcc
	s_xor_b64 s[40:41], exec, s[40:41]
; %bb.4059:                             ;   in Loop: Header=BB2_3833 Depth=3
	v_cmp_lt_u64_e32 vcc, s[94:95], v[34:35]
	v_add_u32_e32 v3, 7, v41
	v_cndmask_b32_e32 v30, v24, v3, vcc
	v_cndmask_b32_e64 v3, 0, 1, vcc
	v_lshrrev_b64 v[44:45], v3, v[34:35]
; %bb.4060:                             ;   in Loop: Header=BB2_3833 Depth=3
	s_andn2_saveexec_b64 s[40:41], s[40:41]
; %bb.4061:                             ;   in Loop: Header=BB2_3833 Depth=3
	v_mov_b32_e32 v45, v35
	v_bfe_u32 v30, v34, 23, 1
	v_mov_b32_e32 v44, v34
; %bb.4062:                             ;   in Loop: Header=BB2_3833 Depth=3
	s_or_b64 exec, exec, s[40:41]
	v_lshrrev_b64 v[41:42], 20, v[44:45]
	v_cmp_gt_i32_e32 vcc, 16, v30
	v_cndmask_b32_e32 v45, 0, v42, vcc
	v_cndmask_b32_e32 v44, 7, v41, vcc
	v_cmp_ne_u64_e32 vcc, 0, v[44:45]
	v_cmp_ne_u32_e64 s[40:41], 0, v30
	s_or_b64 s[40:41], s[40:41], vcc
                                        ; implicit-def: $vgpr24
	s_and_saveexec_b64 vcc, s[40:41]
	s_xor_b64 s[40:41], exec, vcc
; %bb.4063:                             ;   in Loop: Header=BB2_3833 Depth=3
	v_min_i32_e32 v3, 15, v30
	v_lshl_or_b32 v3, v3, 3, v25
	v_and_or_b32 v24, v44, 7, v3
                                        ; implicit-def: $vgpr25
; %bb.4064:                             ;   in Loop: Header=BB2_3833 Depth=3
	s_andn2_saveexec_b64 s[40:41], s[40:41]
; %bb.4065:                             ;   in Loop: Header=BB2_3833 Depth=3
	v_mov_b32_e32 v24, v25
; %bb.4066:                             ;   in Loop: Header=BB2_3833 Depth=3
	s_or_b64 exec, exec, s[40:41]
.LBB2_4067:                             ;   in Loop: Header=BB2_3833 Depth=3
	s_or_b64 exec, exec, s[52:53]
                                        ; implicit-def: $vgpr25
.LBB2_4068:                             ;   in Loop: Header=BB2_3833 Depth=3
	s_andn2_saveexec_b64 s[40:41], s[50:51]
; %bb.4069:                             ;   in Loop: Header=BB2_3833 Depth=3
	v_or_b32_e32 v24, 0x7e, v25
; %bb.4070:                             ;   in Loop: Header=BB2_3833 Depth=3
	s_or_b64 exec, exec, s[40:41]
                                        ; implicit-def: $vgpr44
.LBB2_4071:                             ;   in Loop: Header=BB2_3833 Depth=3
	s_andn2_saveexec_b64 s[40:41], s[48:49]
; %bb.4072:                             ;   in Loop: Header=BB2_3833 Depth=3
	v_or_b32_sdwa v24, v44, s97 dst_sel:DWORD dst_unused:UNUSED_PAD src0_sel:BYTE_3 src1_sel:DWORD
; %bb.4073:                             ;   in Loop: Header=BB2_3833 Depth=3
	s_or_b64 exec, exec, s[40:41]
	v_and_b32_e32 v30, 0xff, v55
	v_cmp_ne_u16_e64 s[40:41], 0, v30
	s_and_b64 vcc, exec, s[28:29]
	s_mov_b64 s[48:49], -1
                                        ; implicit-def: $vgpr41
	s_cbranch_vccnz .LBB2_4087
; %bb.4074:                             ;   in Loop: Header=BB2_3833 Depth=3
	v_mov_b32_e32 v41, 0
	v_mov_b32_e32 v25, 0
	s_and_saveexec_b64 s[48:49], s[40:41]
	s_cbranch_execz .LBB2_4080
; %bb.4075:                             ;   in Loop: Header=BB2_3833 Depth=3
	v_cmp_ne_u16_e32 vcc, s59, v30
	v_bfrev_b32_e32 v25, 1
	s_and_saveexec_b64 s[50:51], vcc
	s_cbranch_execz .LBB2_4079
; %bb.4076:                             ;   in Loop: Header=BB2_3833 Depth=3
	v_and_b32_e32 v34, 0x7f, v55
	v_cmp_ne_u32_e32 vcc, s97, v34
	v_mov_b32_e32 v25, 0x7f800001
	s_and_saveexec_b64 s[52:53], vcc
	s_cbranch_execz .LBB2_4078
; %bb.4077:                             ;   in Loop: Header=BB2_3833 Depth=3
	v_and_b32_e32 v3, 7, v30
	v_ffbh_u32_e32 v25, v3
	v_min_u32_e32 v25, 32, v25
	v_lshrrev_b32_e32 v4, 3, v34
	v_cmp_gt_u32_e32 vcc, 8, v34
	v_subrev_u32_e32 v34, 28, v25
	v_lshlrev_b64 v[42:43], v34, v[30:31]
	v_sub_u32_e32 v25, 29, v25
	v_and_b32_e32 v34, 7, v42
	v_cndmask_b32_e32 v4, v4, v25, vcc
	v_cndmask_b32_e32 v3, v3, v34, vcc
	v_lshlrev_b32_e32 v25, 24, v55
	v_lshlrev_b32_e32 v3, 20, v3
	v_and_b32_e32 v25, 0x80000000, v25
	v_lshl_add_u32 v4, v4, 23, v48
	v_or3_b32 v25, v25, v4, v3
.LBB2_4078:                             ;   in Loop: Header=BB2_3833 Depth=3
	s_or_b64 exec, exec, s[52:53]
.LBB2_4079:                             ;   in Loop: Header=BB2_3833 Depth=3
	s_or_b64 exec, exec, s[50:51]
.LBB2_4080:                             ;   in Loop: Header=BB2_3833 Depth=3
	s_or_b64 exec, exec, s[48:49]
	v_and_b32_e32 v34, 0xff, v1
	v_cmp_ne_u16_e32 vcc, 0, v34
	s_and_saveexec_b64 s[48:49], vcc
	s_cbranch_execz .LBB2_4086
; %bb.4081:                             ;   in Loop: Header=BB2_3833 Depth=3
	v_cmp_ne_u16_e32 vcc, s59, v34
	v_bfrev_b32_e32 v41, 1
	s_and_saveexec_b64 s[50:51], vcc
	s_cbranch_execz .LBB2_4085
; %bb.4082:                             ;   in Loop: Header=BB2_3833 Depth=3
	v_and_b32_e32 v44, 0x7f, v1
	v_cmp_ne_u32_e32 vcc, s97, v44
	v_mov_b32_e32 v41, 0x7f800001
	s_and_saveexec_b64 s[52:53], vcc
	s_cbranch_execz .LBB2_4084
; %bb.4083:                             ;   in Loop: Header=BB2_3833 Depth=3
	v_and_b32_e32 v3, 7, v34
	v_ffbh_u32_e32 v41, v3
	v_min_u32_e32 v43, 32, v41
	v_subrev_u32_e32 v41, 28, v43
	v_lshlrev_b64 v[41:42], v41, v[34:35]
	v_lshrrev_b32_e32 v4, 3, v44
	v_cmp_gt_u32_e32 vcc, 8, v44
	v_sub_u32_e32 v34, 29, v43
	v_and_b32_e32 v41, 7, v41
	v_cndmask_b32_e32 v4, v4, v34, vcc
	v_cndmask_b32_e32 v3, v3, v41, vcc
	v_lshlrev_b32_e32 v34, 24, v1
	v_lshlrev_b32_e32 v3, 20, v3
	v_and_b32_e32 v34, 0x80000000, v34
	v_lshl_add_u32 v4, v4, 23, v48
	v_or3_b32 v41, v34, v4, v3
.LBB2_4084:                             ;   in Loop: Header=BB2_3833 Depth=3
	s_or_b64 exec, exec, s[52:53]
.LBB2_4085:                             ;   in Loop: Header=BB2_3833 Depth=3
	s_or_b64 exec, exec, s[50:51]
.LBB2_4086:                             ;   in Loop: Header=BB2_3833 Depth=3
	s_or_b64 exec, exec, s[48:49]
	v_max_f32_e32 v3, v41, v41
	v_max_f32_e32 v4, v25, v25
	;; [unrolled: 1-line block ×3, first 2 shown]
	s_mov_b64 s[48:49], 0
.LBB2_4087:                             ;   in Loop: Header=BB2_3833 Depth=3
	s_and_b64 vcc, exec, s[48:49]
	s_cbranch_vccz .LBB2_4101
; %bb.4088:                             ;   in Loop: Header=BB2_3833 Depth=3
	v_mov_b32_e32 v34, 0
	v_mov_b32_e32 v25, 0
	s_and_saveexec_b64 s[48:49], s[40:41]
	s_cbranch_execz .LBB2_4094
; %bb.4089:                             ;   in Loop: Header=BB2_3833 Depth=3
	v_cmp_ne_u16_e32 vcc, s59, v30
	v_bfrev_b32_e32 v25, 1
	s_and_saveexec_b64 s[40:41], vcc
	s_cbranch_execz .LBB2_4093
; %bb.4090:                             ;   in Loop: Header=BB2_3833 Depth=3
	v_and_b32_e32 v41, 0x7f, v55
	v_cmp_ne_u32_e32 vcc, s97, v41
	v_mov_b32_e32 v25, 0x7f800001
	s_and_saveexec_b64 s[50:51], vcc
	s_cbranch_execz .LBB2_4092
; %bb.4091:                             ;   in Loop: Header=BB2_3833 Depth=3
	v_and_b32_e32 v3, 7, v30
	v_ffbh_u32_e32 v25, v3
	v_min_u32_e32 v25, 32, v25
	v_lshrrev_b32_e32 v4, 3, v41
	v_cmp_gt_u32_e32 vcc, 8, v41
	v_subrev_u32_e32 v41, 28, v25
	v_lshlrev_b64 v[41:42], v41, v[30:31]
	v_sub_u32_e32 v25, 29, v25
	v_and_b32_e32 v30, 7, v41
	v_cndmask_b32_e32 v4, v4, v25, vcc
	v_cndmask_b32_e32 v3, v3, v30, vcc
	v_lshlrev_b32_e32 v25, 24, v55
	v_lshlrev_b32_e32 v3, 20, v3
	v_and_b32_e32 v25, 0x80000000, v25
	v_lshl_add_u32 v4, v4, 23, v48
	v_or3_b32 v25, v25, v4, v3
.LBB2_4092:                             ;   in Loop: Header=BB2_3833 Depth=3
	s_or_b64 exec, exec, s[50:51]
.LBB2_4093:                             ;   in Loop: Header=BB2_3833 Depth=3
	s_or_b64 exec, exec, s[40:41]
.LBB2_4094:                             ;   in Loop: Header=BB2_3833 Depth=3
	s_or_b64 exec, exec, s[48:49]
	v_and_b32_e32 v30, 0xff, v1
	v_cmp_ne_u16_e32 vcc, 0, v30
	s_and_saveexec_b64 s[40:41], vcc
	s_cbranch_execz .LBB2_4100
; %bb.4095:                             ;   in Loop: Header=BB2_3833 Depth=3
	v_cmp_ne_u16_e32 vcc, s59, v30
	v_bfrev_b32_e32 v34, 1
	s_and_saveexec_b64 s[48:49], vcc
	s_cbranch_execz .LBB2_4099
; %bb.4096:                             ;   in Loop: Header=BB2_3833 Depth=3
	v_and_b32_e32 v55, 0x7f, v1
	v_cmp_ne_u32_e32 vcc, s97, v55
	v_mov_b32_e32 v34, 0x7f800001
	s_and_saveexec_b64 s[50:51], vcc
	s_cbranch_execz .LBB2_4098
; %bb.4097:                             ;   in Loop: Header=BB2_3833 Depth=3
	v_and_b32_e32 v3, 7, v30
	v_ffbh_u32_e32 v34, v3
	v_min_u32_e32 v34, 32, v34
	v_lshrrev_b32_e32 v4, 3, v55
	v_cmp_gt_u32_e32 vcc, 8, v55
	v_subrev_u32_e32 v55, 28, v34
	v_lshlrev_b64 v[41:42], v55, v[30:31]
	v_sub_u32_e32 v30, 29, v34
	v_and_b32_e32 v34, 7, v41
	v_cndmask_b32_e32 v4, v4, v30, vcc
	v_cndmask_b32_e32 v3, v3, v34, vcc
	v_lshlrev_b32_e32 v1, 24, v1
	v_lshlrev_b32_e32 v3, 20, v3
	v_and_b32_e32 v1, 0x80000000, v1
	v_lshl_add_u32 v4, v4, 23, v48
	v_or3_b32 v34, v1, v4, v3
.LBB2_4098:                             ;   in Loop: Header=BB2_3833 Depth=3
	s_or_b64 exec, exec, s[50:51]
.LBB2_4099:                             ;   in Loop: Header=BB2_3833 Depth=3
	s_or_b64 exec, exec, s[48:49]
.LBB2_4100:                             ;   in Loop: Header=BB2_3833 Depth=3
	s_or_b64 exec, exec, s[40:41]
	v_max_f32_e32 v1, v34, v34
	v_max_f32_e32 v3, v25, v25
	v_min_f32_e32 v41, v3, v1
.LBB2_4101:                             ;   in Loop: Header=BB2_3833 Depth=3
	v_and_b32_e32 v34, 0x7f800000, v41
	v_cmp_ne_u64_e32 vcc, s[90:91], v[34:35]
                                        ; implicit-def: $vgpr1
	s_and_saveexec_b64 s[40:41], vcc
	s_xor_b64 s[48:49], exec, s[40:41]
	s_cbranch_execz .LBB2_4119
; %bb.4102:                             ;   in Loop: Header=BB2_3833 Depth=3
	v_and_b32_e32 v34, 0x7fffffff, v41
	v_cmp_gt_u64_e32 vcc, s[92:93], v[34:35]
	v_and_b32_sdwa v25, v41, s59 dst_sel:DWORD dst_unused:UNUSED_PAD src0_sel:BYTE_3 src1_sel:DWORD
                                        ; implicit-def: $vgpr1
	s_and_saveexec_b64 s[40:41], vcc
	s_xor_b64 s[50:51], exec, s[40:41]
	s_cbranch_execz .LBB2_4116
; %bb.4103:                             ;   in Loop: Header=BB2_3833 Depth=3
	v_cmp_ne_u32_e32 vcc, 0, v41
	v_mov_b32_e32 v1, 0
	s_and_saveexec_b64 s[52:53], vcc
	s_cbranch_execz .LBB2_4115
; %bb.4104:                             ;   in Loop: Header=BB2_3833 Depth=3
	v_bfe_u32 v1, v41, 23, 8
	v_cmp_gt_u32_e64 s[40:41], s56, v1
	v_sub_u32_e32 v4, 0x79, v1
	v_and_b32_e32 v3, 0x7fffff, v41
	v_cmp_eq_u32_e32 vcc, 0, v1
	v_cndmask_b32_e64 v4, 0, v4, s[40:41]
	v_mov_b32_e32 v30, 0x78
	v_or_b32_e32 v34, 0x800000, v3
	v_cndmask_b32_e32 v30, v4, v30, vcc
	v_cndmask_b32_e32 v34, v34, v3, vcc
	v_add_u32_e32 v3, 20, v30
	v_lshlrev_b64 v[41:42], v3, -1
	v_add_u32_e32 v3, 19, v30
	v_lshlrev_b64 v[43:44], v3, 1
	v_bfi_b32 v42, v42, 0, 0
	v_bfi_b32 v41, v41, 0, v34
	v_cmp_eq_u64_e64 s[40:41], v[41:42], v[43:44]
	v_lshrrev_b64 v[44:45], v30, v[34:35]
	v_mov_b32_e32 v46, v45
	v_mov_b32_e32 v45, v44
	s_and_saveexec_b64 s[54:55], s[40:41]
; %bb.4105:                             ;   in Loop: Header=BB2_3833 Depth=3
	v_bfe_u32 v3, v44, 20, 1
	v_add_co_u32_e64 v3, s[40:41], v44, v3
	v_add_co_u32_e64 v45, s[40:41], -1, v3
; %bb.4106:                             ;   in Loop: Header=BB2_3833 Depth=3
	s_or_b64 exec, exec, s[54:55]
	v_add_u32_e32 v1, 0xffffff81, v1
	v_cndmask_b32_e32 v1, v1, v52, vcc
	v_lshrrev_b32_e32 v3, 23, v44
	v_add3_u32 v55, v30, v1, v3
	v_add_u32_e32 v1, 6, v55
	v_and_b32_e32 v3, 0xfffff, v45
	v_add_u32_e32 v34, v3, v44
	v_cmp_ne_u32_e32 vcc, 0, v1
                                        ; implicit-def: $vgpr44_vgpr45
                                        ; implicit-def: $vgpr30
	s_and_saveexec_b64 s[40:41], vcc
	s_xor_b64 s[40:41], exec, s[40:41]
; %bb.4107:                             ;   in Loop: Header=BB2_3833 Depth=3
	v_cmp_lt_u64_e32 vcc, s[94:95], v[34:35]
	v_add_u32_e32 v3, 7, v55
	v_cndmask_b32_e32 v30, v1, v3, vcc
	v_cndmask_b32_e64 v1, 0, 1, vcc
	v_lshrrev_b64 v[44:45], v1, v[34:35]
; %bb.4108:                             ;   in Loop: Header=BB2_3833 Depth=3
	s_andn2_saveexec_b64 s[40:41], s[40:41]
; %bb.4109:                             ;   in Loop: Header=BB2_3833 Depth=3
	v_mov_b32_e32 v45, v35
	v_bfe_u32 v30, v34, 23, 1
	v_mov_b32_e32 v44, v34
; %bb.4110:                             ;   in Loop: Header=BB2_3833 Depth=3
	s_or_b64 exec, exec, s[40:41]
	v_lshrrev_b64 v[41:42], 20, v[44:45]
	v_cmp_gt_i32_e32 vcc, 16, v30
	v_cndmask_b32_e32 v45, 0, v42, vcc
	v_cndmask_b32_e32 v44, 7, v41, vcc
	v_cmp_ne_u64_e32 vcc, 0, v[44:45]
	v_cmp_ne_u32_e64 s[40:41], 0, v30
	s_or_b64 s[40:41], s[40:41], vcc
                                        ; implicit-def: $vgpr1
	s_and_saveexec_b64 vcc, s[40:41]
	s_xor_b64 s[40:41], exec, vcc
; %bb.4111:                             ;   in Loop: Header=BB2_3833 Depth=3
	v_min_i32_e32 v1, 15, v30
	v_lshl_or_b32 v1, v1, 3, v25
	v_and_or_b32 v1, v44, 7, v1
                                        ; implicit-def: $vgpr25
; %bb.4112:                             ;   in Loop: Header=BB2_3833 Depth=3
	s_andn2_saveexec_b64 s[40:41], s[40:41]
; %bb.4113:                             ;   in Loop: Header=BB2_3833 Depth=3
	v_mov_b32_e32 v1, v25
; %bb.4114:                             ;   in Loop: Header=BB2_3833 Depth=3
	s_or_b64 exec, exec, s[40:41]
.LBB2_4115:                             ;   in Loop: Header=BB2_3833 Depth=3
	s_or_b64 exec, exec, s[52:53]
                                        ; implicit-def: $vgpr25
.LBB2_4116:                             ;   in Loop: Header=BB2_3833 Depth=3
	s_andn2_saveexec_b64 s[40:41], s[50:51]
; %bb.4117:                             ;   in Loop: Header=BB2_3833 Depth=3
	v_or_b32_e32 v1, 0x7e, v25
; %bb.4118:                             ;   in Loop: Header=BB2_3833 Depth=3
	s_or_b64 exec, exec, s[40:41]
                                        ; implicit-def: $vgpr41
.LBB2_4119:                             ;   in Loop: Header=BB2_3833 Depth=3
	s_andn2_saveexec_b64 s[40:41], s[48:49]
; %bb.4120:                             ;   in Loop: Header=BB2_3833 Depth=3
	v_or_b32_sdwa v1, v41, s97 dst_sel:DWORD dst_unused:UNUSED_PAD src0_sel:BYTE_3 src1_sel:DWORD
; %bb.4121:                             ;   in Loop: Header=BB2_3833 Depth=3
	s_or_b64 exec, exec, s[40:41]
	v_and_b32_e32 v30, 0xff, v39
	v_cmp_ne_u16_e64 s[40:41], 0, v30
	s_and_b64 vcc, exec, s[28:29]
	s_mov_b64 s[48:49], -1
                                        ; implicit-def: $vgpr55
	s_cbranch_vccnz .LBB2_4135
; %bb.4122:                             ;   in Loop: Header=BB2_3833 Depth=3
	v_mov_b32_e32 v55, 0
	v_mov_b32_e32 v25, 0
	s_and_saveexec_b64 s[48:49], s[40:41]
	s_cbranch_execz .LBB2_4128
; %bb.4123:                             ;   in Loop: Header=BB2_3833 Depth=3
	v_cmp_ne_u16_e32 vcc, s59, v30
	v_bfrev_b32_e32 v25, 1
	s_and_saveexec_b64 s[50:51], vcc
	s_cbranch_execz .LBB2_4127
; %bb.4124:                             ;   in Loop: Header=BB2_3833 Depth=3
	v_and_b32_e32 v34, 0x7f, v39
	v_cmp_ne_u32_e32 vcc, s97, v34
	v_mov_b32_e32 v25, 0x7f800001
	s_and_saveexec_b64 s[52:53], vcc
	s_cbranch_execz .LBB2_4126
; %bb.4125:                             ;   in Loop: Header=BB2_3833 Depth=3
	v_and_b32_e32 v3, 7, v30
	v_ffbh_u32_e32 v25, v3
	v_min_u32_e32 v25, 32, v25
	v_lshrrev_b32_e32 v4, 3, v34
	v_cmp_gt_u32_e32 vcc, 8, v34
	v_subrev_u32_e32 v34, 28, v25
	v_lshlrev_b64 v[41:42], v34, v[30:31]
	v_sub_u32_e32 v25, 29, v25
	v_and_b32_e32 v34, 7, v41
	v_cndmask_b32_e32 v4, v4, v25, vcc
	v_cndmask_b32_e32 v3, v3, v34, vcc
	v_lshlrev_b32_e32 v25, 24, v39
	v_lshlrev_b32_e32 v3, 20, v3
	v_and_b32_e32 v25, 0x80000000, v25
	v_lshl_add_u32 v4, v4, 23, v48
	v_or3_b32 v25, v25, v4, v3
.LBB2_4126:                             ;   in Loop: Header=BB2_3833 Depth=3
	s_or_b64 exec, exec, s[52:53]
.LBB2_4127:                             ;   in Loop: Header=BB2_3833 Depth=3
	s_or_b64 exec, exec, s[50:51]
.LBB2_4128:                             ;   in Loop: Header=BB2_3833 Depth=3
	s_or_b64 exec, exec, s[48:49]
	v_and_b32_e32 v34, 0xff, v38
	v_cmp_ne_u16_e32 vcc, 0, v34
	s_and_saveexec_b64 s[48:49], vcc
	s_cbranch_execz .LBB2_4134
; %bb.4129:                             ;   in Loop: Header=BB2_3833 Depth=3
	v_cmp_ne_u16_e32 vcc, s59, v34
	v_bfrev_b32_e32 v55, 1
	s_and_saveexec_b64 s[50:51], vcc
	s_cbranch_execz .LBB2_4133
; %bb.4130:                             ;   in Loop: Header=BB2_3833 Depth=3
	v_and_b32_e32 v41, 0x7f, v38
	v_cmp_ne_u32_e32 vcc, s97, v41
	v_mov_b32_e32 v55, 0x7f800001
	s_and_saveexec_b64 s[52:53], vcc
	s_cbranch_execz .LBB2_4132
; %bb.4131:                             ;   in Loop: Header=BB2_3833 Depth=3
	v_and_b32_e32 v3, 7, v34
	v_ffbh_u32_e32 v55, v3
	v_min_u32_e32 v55, 32, v55
	v_lshrrev_b32_e32 v4, 3, v41
	v_cmp_gt_u32_e32 vcc, 8, v41
	v_subrev_u32_e32 v41, 28, v55
	v_lshlrev_b64 v[41:42], v41, v[34:35]
	v_sub_u32_e32 v34, 29, v55
	v_and_b32_e32 v55, 7, v41
	v_cndmask_b32_e32 v4, v4, v34, vcc
	v_cndmask_b32_e32 v3, v3, v55, vcc
	v_lshlrev_b32_e32 v34, 24, v38
	v_lshlrev_b32_e32 v3, 20, v3
	v_and_b32_e32 v34, 0x80000000, v34
	v_lshl_add_u32 v4, v4, 23, v48
	v_or3_b32 v55, v34, v4, v3
.LBB2_4132:                             ;   in Loop: Header=BB2_3833 Depth=3
	s_or_b64 exec, exec, s[52:53]
.LBB2_4133:                             ;   in Loop: Header=BB2_3833 Depth=3
	s_or_b64 exec, exec, s[50:51]
.LBB2_4134:                             ;   in Loop: Header=BB2_3833 Depth=3
	s_or_b64 exec, exec, s[48:49]
	v_max_f32_e32 v3, v55, v55
	v_max_f32_e32 v4, v25, v25
	;; [unrolled: 1-line block ×3, first 2 shown]
	s_mov_b64 s[48:49], 0
.LBB2_4135:                             ;   in Loop: Header=BB2_3833 Depth=3
	s_and_b64 vcc, exec, s[48:49]
	s_cbranch_vccz .LBB2_4149
; %bb.4136:                             ;   in Loop: Header=BB2_3833 Depth=3
	v_mov_b32_e32 v34, 0
	v_mov_b32_e32 v25, 0
	s_and_saveexec_b64 s[48:49], s[40:41]
	s_cbranch_execz .LBB2_4142
; %bb.4137:                             ;   in Loop: Header=BB2_3833 Depth=3
	v_cmp_ne_u16_e32 vcc, s59, v30
	v_bfrev_b32_e32 v25, 1
	s_and_saveexec_b64 s[40:41], vcc
	s_cbranch_execz .LBB2_4141
; %bb.4138:                             ;   in Loop: Header=BB2_3833 Depth=3
	v_and_b32_e32 v55, 0x7f, v39
	v_cmp_ne_u32_e32 vcc, s97, v55
	v_mov_b32_e32 v25, 0x7f800001
	s_and_saveexec_b64 s[50:51], vcc
	s_cbranch_execz .LBB2_4140
; %bb.4139:                             ;   in Loop: Header=BB2_3833 Depth=3
	v_and_b32_e32 v3, 7, v30
	v_ffbh_u32_e32 v25, v3
	v_min_u32_e32 v25, 32, v25
	v_lshrrev_b32_e32 v4, 3, v55
	v_cmp_gt_u32_e32 vcc, 8, v55
	v_subrev_u32_e32 v55, 28, v25
	v_lshlrev_b64 v[41:42], v55, v[30:31]
	v_sub_u32_e32 v25, 29, v25
	v_and_b32_e32 v30, 7, v41
	v_cndmask_b32_e32 v4, v4, v25, vcc
	v_cndmask_b32_e32 v3, v3, v30, vcc
	v_lshlrev_b32_e32 v25, 24, v39
	v_lshlrev_b32_e32 v3, 20, v3
	v_and_b32_e32 v25, 0x80000000, v25
	v_lshl_add_u32 v4, v4, 23, v48
	v_or3_b32 v25, v25, v4, v3
.LBB2_4140:                             ;   in Loop: Header=BB2_3833 Depth=3
	s_or_b64 exec, exec, s[50:51]
.LBB2_4141:                             ;   in Loop: Header=BB2_3833 Depth=3
	s_or_b64 exec, exec, s[40:41]
.LBB2_4142:                             ;   in Loop: Header=BB2_3833 Depth=3
	s_or_b64 exec, exec, s[48:49]
	v_and_b32_e32 v30, 0xff, v38
	v_cmp_ne_u16_e32 vcc, 0, v30
	s_and_saveexec_b64 s[40:41], vcc
	s_cbranch_execz .LBB2_4148
; %bb.4143:                             ;   in Loop: Header=BB2_3833 Depth=3
	v_cmp_ne_u16_e32 vcc, s59, v30
	v_bfrev_b32_e32 v34, 1
	s_and_saveexec_b64 s[48:49], vcc
	s_cbranch_execz .LBB2_4147
; %bb.4144:                             ;   in Loop: Header=BB2_3833 Depth=3
	v_and_b32_e32 v39, 0x7f, v38
	v_cmp_ne_u32_e32 vcc, s97, v39
	v_mov_b32_e32 v34, 0x7f800001
	s_and_saveexec_b64 s[50:51], vcc
	s_cbranch_execz .LBB2_4146
; %bb.4145:                             ;   in Loop: Header=BB2_3833 Depth=3
	v_and_b32_e32 v3, 7, v30
	v_ffbh_u32_e32 v34, v3
	v_min_u32_e32 v34, 32, v34
	v_lshrrev_b32_e32 v4, 3, v39
	v_cmp_gt_u32_e32 vcc, 8, v39
	v_subrev_u32_e32 v39, 28, v34
	v_lshlrev_b64 v[41:42], v39, v[30:31]
	v_sub_u32_e32 v30, 29, v34
	v_and_b32_e32 v34, 7, v41
	v_cndmask_b32_e32 v4, v4, v30, vcc
	v_cndmask_b32_e32 v3, v3, v34, vcc
	v_lshlrev_b32_e32 v30, 24, v38
	v_lshlrev_b32_e32 v3, 20, v3
	v_and_b32_e32 v30, 0x80000000, v30
	v_lshl_add_u32 v4, v4, 23, v48
	v_or3_b32 v34, v30, v4, v3
.LBB2_4146:                             ;   in Loop: Header=BB2_3833 Depth=3
	s_or_b64 exec, exec, s[50:51]
.LBB2_4147:                             ;   in Loop: Header=BB2_3833 Depth=3
	s_or_b64 exec, exec, s[48:49]
.LBB2_4148:                             ;   in Loop: Header=BB2_3833 Depth=3
	s_or_b64 exec, exec, s[40:41]
	v_max_f32_e32 v3, v34, v34
	v_max_f32_e32 v4, v25, v25
	v_min_f32_e32 v55, v4, v3
.LBB2_4149:                             ;   in Loop: Header=BB2_3833 Depth=3
	v_and_b32_e32 v34, 0x7f800000, v55
	v_cmp_ne_u64_e32 vcc, s[90:91], v[34:35]
                                        ; implicit-def: $vgpr25
	s_and_saveexec_b64 s[40:41], vcc
	s_xor_b64 s[48:49], exec, s[40:41]
	s_cbranch_execz .LBB2_4167
; %bb.4150:                             ;   in Loop: Header=BB2_3833 Depth=3
	v_and_b32_e32 v34, 0x7fffffff, v55
	v_cmp_gt_u64_e32 vcc, s[92:93], v[34:35]
	v_and_b32_sdwa v30, v55, s59 dst_sel:DWORD dst_unused:UNUSED_PAD src0_sel:BYTE_3 src1_sel:DWORD
                                        ; implicit-def: $vgpr25
	s_and_saveexec_b64 s[40:41], vcc
	s_xor_b64 s[50:51], exec, s[40:41]
	s_cbranch_execz .LBB2_4164
; %bb.4151:                             ;   in Loop: Header=BB2_3833 Depth=3
	v_cmp_ne_u32_e32 vcc, 0, v55
	v_mov_b32_e32 v25, 0
	s_and_saveexec_b64 s[52:53], vcc
	s_cbranch_execz .LBB2_4163
; %bb.4152:                             ;   in Loop: Header=BB2_3833 Depth=3
	v_bfe_u32 v25, v55, 23, 8
	v_cmp_gt_u32_e64 s[40:41], s56, v25
	v_sub_u32_e32 v4, 0x79, v25
	v_and_b32_e32 v3, 0x7fffff, v55
	v_cmp_eq_u32_e32 vcc, 0, v25
	v_cndmask_b32_e64 v4, 0, v4, s[40:41]
	v_mov_b32_e32 v38, 0x78
	v_or_b32_e32 v34, 0x800000, v3
	v_cndmask_b32_e32 v38, v4, v38, vcc
	v_cndmask_b32_e32 v34, v34, v3, vcc
	v_add_u32_e32 v3, 20, v38
	v_lshlrev_b64 v[41:42], v3, -1
	v_add_u32_e32 v3, 19, v38
	v_lshlrev_b64 v[43:44], v3, 1
	v_bfi_b32 v42, v42, 0, 0
	v_bfi_b32 v41, v41, 0, v34
	v_cmp_eq_u64_e64 s[40:41], v[41:42], v[43:44]
	v_lshrrev_b64 v[44:45], v38, v[34:35]
	v_mov_b32_e32 v46, v45
	v_mov_b32_e32 v45, v44
	s_and_saveexec_b64 s[54:55], s[40:41]
; %bb.4153:                             ;   in Loop: Header=BB2_3833 Depth=3
	v_bfe_u32 v3, v44, 20, 1
	v_add_co_u32_e64 v3, s[40:41], v44, v3
	v_add_co_u32_e64 v45, s[40:41], -1, v3
; %bb.4154:                             ;   in Loop: Header=BB2_3833 Depth=3
	s_or_b64 exec, exec, s[54:55]
	v_add_u32_e32 v3, 0xffffff81, v25
	v_cndmask_b32_e32 v3, v3, v52, vcc
	v_lshrrev_b32_e32 v4, 23, v44
	v_add3_u32 v39, v38, v3, v4
	v_add_u32_e32 v25, 6, v39
	v_and_b32_e32 v3, 0xfffff, v45
	v_add_u32_e32 v34, v3, v44
	v_cmp_ne_u32_e32 vcc, 0, v25
                                        ; implicit-def: $vgpr44_vgpr45
                                        ; implicit-def: $vgpr38
	s_and_saveexec_b64 s[40:41], vcc
	s_xor_b64 s[40:41], exec, s[40:41]
; %bb.4155:                             ;   in Loop: Header=BB2_3833 Depth=3
	v_cmp_lt_u64_e32 vcc, s[94:95], v[34:35]
	v_add_u32_e32 v3, 7, v39
	v_cndmask_b32_e32 v38, v25, v3, vcc
	v_cndmask_b32_e64 v3, 0, 1, vcc
	v_lshrrev_b64 v[44:45], v3, v[34:35]
; %bb.4156:                             ;   in Loop: Header=BB2_3833 Depth=3
	s_andn2_saveexec_b64 s[40:41], s[40:41]
; %bb.4157:                             ;   in Loop: Header=BB2_3833 Depth=3
	v_mov_b32_e32 v45, v35
	v_bfe_u32 v38, v34, 23, 1
	v_mov_b32_e32 v44, v34
; %bb.4158:                             ;   in Loop: Header=BB2_3833 Depth=3
	s_or_b64 exec, exec, s[40:41]
	v_lshrrev_b64 v[41:42], 20, v[44:45]
	v_cmp_gt_i32_e32 vcc, 16, v38
	v_cndmask_b32_e32 v45, 0, v42, vcc
	v_cndmask_b32_e32 v44, 7, v41, vcc
	v_cmp_ne_u64_e32 vcc, 0, v[44:45]
	v_cmp_ne_u32_e64 s[40:41], 0, v38
	s_or_b64 s[40:41], s[40:41], vcc
                                        ; implicit-def: $vgpr25
	s_and_saveexec_b64 vcc, s[40:41]
	s_xor_b64 s[40:41], exec, vcc
; %bb.4159:                             ;   in Loop: Header=BB2_3833 Depth=3
	v_min_i32_e32 v3, 15, v38
	v_lshl_or_b32 v3, v3, 3, v30
	v_and_or_b32 v25, v44, 7, v3
                                        ; implicit-def: $vgpr30
; %bb.4160:                             ;   in Loop: Header=BB2_3833 Depth=3
	s_andn2_saveexec_b64 s[40:41], s[40:41]
; %bb.4161:                             ;   in Loop: Header=BB2_3833 Depth=3
	v_mov_b32_e32 v25, v30
; %bb.4162:                             ;   in Loop: Header=BB2_3833 Depth=3
	s_or_b64 exec, exec, s[40:41]
.LBB2_4163:                             ;   in Loop: Header=BB2_3833 Depth=3
	s_or_b64 exec, exec, s[52:53]
                                        ; implicit-def: $vgpr30
.LBB2_4164:                             ;   in Loop: Header=BB2_3833 Depth=3
	s_andn2_saveexec_b64 s[40:41], s[50:51]
; %bb.4165:                             ;   in Loop: Header=BB2_3833 Depth=3
	v_or_b32_e32 v25, 0x7e, v30
; %bb.4166:                             ;   in Loop: Header=BB2_3833 Depth=3
	s_or_b64 exec, exec, s[40:41]
                                        ; implicit-def: $vgpr55
.LBB2_4167:                             ;   in Loop: Header=BB2_3833 Depth=3
	s_andn2_saveexec_b64 s[40:41], s[48:49]
; %bb.4168:                             ;   in Loop: Header=BB2_3833 Depth=3
	v_or_b32_sdwa v25, v55, s97 dst_sel:DWORD dst_unused:UNUSED_PAD src0_sel:BYTE_3 src1_sel:DWORD
; %bb.4169:                             ;   in Loop: Header=BB2_3833 Depth=3
	s_or_b64 exec, exec, s[40:41]
	v_and_b32_e32 v30, 0xff, v36
	v_cmp_ne_u16_e64 s[40:41], 0, v30
	s_and_b64 vcc, exec, s[28:29]
	s_mov_b64 s[28:29], -1
                                        ; implicit-def: $vgpr38
	s_cbranch_vccnz .LBB2_4183
; %bb.4170:                             ;   in Loop: Header=BB2_3833 Depth=3
	v_mov_b32_e32 v39, 0
	v_mov_b32_e32 v38, 0
	s_and_saveexec_b64 s[28:29], s[40:41]
	s_cbranch_execz .LBB2_4176
; %bb.4171:                             ;   in Loop: Header=BB2_3833 Depth=3
	v_cmp_ne_u16_e32 vcc, s59, v30
	v_bfrev_b32_e32 v38, 1
	s_and_saveexec_b64 s[48:49], vcc
	s_cbranch_execz .LBB2_4175
; %bb.4172:                             ;   in Loop: Header=BB2_3833 Depth=3
	v_and_b32_e32 v34, 0x7f, v36
	v_cmp_ne_u32_e32 vcc, s97, v34
	v_mov_b32_e32 v38, 0x7f800001
	s_and_saveexec_b64 s[50:51], vcc
	s_cbranch_execz .LBB2_4174
; %bb.4173:                             ;   in Loop: Header=BB2_3833 Depth=3
	v_and_b32_e32 v3, 7, v30
	v_lshrrev_b32_e32 v4, 3, v34
	v_cmp_gt_u32_e32 vcc, 8, v34
	v_ffbh_u32_e32 v34, v3
	v_min_u32_e32 v34, 32, v34
	v_subrev_u32_e32 v38, 28, v34
	v_lshlrev_b64 v[41:42], v38, v[30:31]
	v_sub_u32_e32 v34, 29, v34
	v_and_b32_e32 v38, 7, v41
	v_cndmask_b32_e32 v4, v4, v34, vcc
	v_cndmask_b32_e32 v3, v3, v38, vcc
	v_lshlrev_b32_e32 v34, 24, v36
	v_lshlrev_b32_e32 v3, 20, v3
	v_and_b32_e32 v34, 0x80000000, v34
	v_lshl_add_u32 v4, v4, 23, v48
	v_or3_b32 v38, v34, v4, v3
.LBB2_4174:                             ;   in Loop: Header=BB2_3833 Depth=3
	s_or_b64 exec, exec, s[50:51]
.LBB2_4175:                             ;   in Loop: Header=BB2_3833 Depth=3
	s_or_b64 exec, exec, s[48:49]
.LBB2_4176:                             ;   in Loop: Header=BB2_3833 Depth=3
	s_or_b64 exec, exec, s[28:29]
	v_and_b32_e32 v34, 0xff, v31
	v_cmp_ne_u16_e32 vcc, 0, v34
	s_and_saveexec_b64 s[28:29], vcc
	s_cbranch_execz .LBB2_4182
; %bb.4177:                             ;   in Loop: Header=BB2_3833 Depth=3
	v_cmp_ne_u16_e32 vcc, s59, v34
	v_bfrev_b32_e32 v39, 1
	s_and_saveexec_b64 s[48:49], vcc
	s_cbranch_execz .LBB2_4181
; %bb.4178:                             ;   in Loop: Header=BB2_3833 Depth=3
	v_and_b32_e32 v55, 0x7f, v31
	v_cmp_ne_u32_e32 vcc, s97, v55
	v_mov_b32_e32 v39, 0x7f800001
	s_and_saveexec_b64 s[50:51], vcc
	s_cbranch_execz .LBB2_4180
; %bb.4179:                             ;   in Loop: Header=BB2_3833 Depth=3
	v_and_b32_e32 v3, 7, v34
	v_ffbh_u32_e32 v39, v3
	v_min_u32_e32 v39, 32, v39
	v_lshrrev_b32_e32 v4, 3, v55
	v_cmp_gt_u32_e32 vcc, 8, v55
	v_subrev_u32_e32 v55, 28, v39
	v_lshlrev_b64 v[41:42], v55, v[34:35]
	v_sub_u32_e32 v34, 29, v39
	v_and_b32_e32 v39, 7, v41
	v_cndmask_b32_e32 v4, v4, v34, vcc
	v_cndmask_b32_e32 v3, v3, v39, vcc
	v_lshlrev_b32_e32 v34, 24, v31
	v_lshlrev_b32_e32 v3, 20, v3
	v_and_b32_e32 v34, 0x80000000, v34
	v_lshl_add_u32 v4, v4, 23, v48
	v_or3_b32 v39, v34, v4, v3
.LBB2_4180:                             ;   in Loop: Header=BB2_3833 Depth=3
	s_or_b64 exec, exec, s[50:51]
.LBB2_4181:                             ;   in Loop: Header=BB2_3833 Depth=3
	s_or_b64 exec, exec, s[48:49]
.LBB2_4182:                             ;   in Loop: Header=BB2_3833 Depth=3
	s_or_b64 exec, exec, s[28:29]
	v_max_f32_e32 v3, v39, v39
	v_max_f32_e32 v4, v38, v38
	;; [unrolled: 1-line block ×3, first 2 shown]
	s_mov_b64 s[28:29], 0
.LBB2_4183:                             ;   in Loop: Header=BB2_3833 Depth=3
	s_and_b64 vcc, exec, s[28:29]
	s_cbranch_vccz .LBB2_4197
; %bb.4184:                             ;   in Loop: Header=BB2_3833 Depth=3
	v_mov_b32_e32 v38, 0
	v_mov_b32_e32 v34, 0
	s_and_saveexec_b64 s[28:29], s[40:41]
	s_cbranch_execz .LBB2_4190
; %bb.4185:                             ;   in Loop: Header=BB2_3833 Depth=3
	v_cmp_ne_u16_e32 vcc, s59, v30
	v_bfrev_b32_e32 v34, 1
	s_and_saveexec_b64 s[40:41], vcc
	s_cbranch_execz .LBB2_4189
; %bb.4186:                             ;   in Loop: Header=BB2_3833 Depth=3
	v_and_b32_e32 v39, 0x7f, v36
	v_cmp_ne_u32_e32 vcc, s97, v39
	v_mov_b32_e32 v34, 0x7f800001
	s_and_saveexec_b64 s[48:49], vcc
	s_cbranch_execz .LBB2_4188
; %bb.4187:                             ;   in Loop: Header=BB2_3833 Depth=3
	v_and_b32_e32 v3, 7, v30
	v_ffbh_u32_e32 v34, v3
	v_min_u32_e32 v34, 32, v34
	v_lshrrev_b32_e32 v4, 3, v39
	v_cmp_gt_u32_e32 vcc, 8, v39
	v_subrev_u32_e32 v39, 28, v34
	v_lshlrev_b64 v[41:42], v39, v[30:31]
	v_sub_u32_e32 v30, 29, v34
	v_and_b32_e32 v34, 7, v41
	v_cndmask_b32_e32 v4, v4, v30, vcc
	v_cndmask_b32_e32 v3, v3, v34, vcc
	v_lshlrev_b32_e32 v30, 24, v36
	v_lshlrev_b32_e32 v3, 20, v3
	v_and_b32_e32 v30, 0x80000000, v30
	v_lshl_add_u32 v4, v4, 23, v48
	v_or3_b32 v34, v30, v4, v3
.LBB2_4188:                             ;   in Loop: Header=BB2_3833 Depth=3
	s_or_b64 exec, exec, s[48:49]
.LBB2_4189:                             ;   in Loop: Header=BB2_3833 Depth=3
	s_or_b64 exec, exec, s[40:41]
.LBB2_4190:                             ;   in Loop: Header=BB2_3833 Depth=3
	s_or_b64 exec, exec, s[28:29]
	v_and_b32_e32 v30, 0xff, v31
	v_cmp_ne_u16_e32 vcc, 0, v30
	s_and_saveexec_b64 s[28:29], vcc
	s_cbranch_execz .LBB2_4196
; %bb.4191:                             ;   in Loop: Header=BB2_3833 Depth=3
	v_cmp_ne_u16_e32 vcc, s59, v30
	v_bfrev_b32_e32 v38, 1
	s_and_saveexec_b64 s[40:41], vcc
	s_cbranch_execz .LBB2_4195
; %bb.4192:                             ;   in Loop: Header=BB2_3833 Depth=3
	v_and_b32_e32 v36, 0x7f, v31
	v_cmp_ne_u32_e32 vcc, s97, v36
	v_mov_b32_e32 v38, 0x7f800001
	s_and_saveexec_b64 s[48:49], vcc
	s_cbranch_execz .LBB2_4194
; %bb.4193:                             ;   in Loop: Header=BB2_3833 Depth=3
	v_and_b32_e32 v3, 7, v30
	v_lshrrev_b32_e32 v4, 3, v36
	v_cmp_gt_u32_e32 vcc, 8, v36
	v_ffbh_u32_e32 v36, v3
	v_min_u32_e32 v36, 32, v36
	v_subrev_u32_e32 v38, 28, v36
	v_lshlrev_b64 v[38:39], v38, v[30:31]
	v_sub_u32_e32 v30, 29, v36
	v_and_b32_e32 v36, 7, v38
	v_cndmask_b32_e32 v4, v4, v30, vcc
	v_cndmask_b32_e32 v3, v3, v36, vcc
	v_lshlrev_b32_e32 v30, 24, v31
	v_lshlrev_b32_e32 v3, 20, v3
	v_and_b32_e32 v30, 0x80000000, v30
	v_lshl_add_u32 v4, v4, 23, v48
	v_or3_b32 v38, v30, v4, v3
.LBB2_4194:                             ;   in Loop: Header=BB2_3833 Depth=3
	s_or_b64 exec, exec, s[48:49]
.LBB2_4195:                             ;   in Loop: Header=BB2_3833 Depth=3
	s_or_b64 exec, exec, s[40:41]
.LBB2_4196:                             ;   in Loop: Header=BB2_3833 Depth=3
	s_or_b64 exec, exec, s[28:29]
	v_max_f32_e32 v3, v38, v38
	v_max_f32_e32 v4, v34, v34
	v_min_f32_e32 v38, v4, v3
.LBB2_4197:                             ;   in Loop: Header=BB2_3833 Depth=3
	v_and_b32_e32 v34, 0x7f800000, v38
	v_cmp_ne_u64_e32 vcc, s[90:91], v[34:35]
                                        ; implicit-def: $vgpr31
	s_and_saveexec_b64 s[28:29], vcc
	s_xor_b64 s[40:41], exec, s[28:29]
	s_cbranch_execz .LBB2_4215
; %bb.4198:                             ;   in Loop: Header=BB2_3833 Depth=3
	v_and_b32_e32 v34, 0x7fffffff, v38
	v_cmp_gt_u64_e32 vcc, s[92:93], v[34:35]
	v_and_b32_sdwa v30, v38, s59 dst_sel:DWORD dst_unused:UNUSED_PAD src0_sel:BYTE_3 src1_sel:DWORD
                                        ; implicit-def: $vgpr31
	s_and_saveexec_b64 s[28:29], vcc
	s_xor_b64 s[48:49], exec, s[28:29]
	s_cbranch_execz .LBB2_4212
; %bb.4199:                             ;   in Loop: Header=BB2_3833 Depth=3
	v_cmp_ne_u32_e32 vcc, 0, v38
	v_mov_b32_e32 v31, 0
	s_and_saveexec_b64 s[50:51], vcc
	s_cbranch_execz .LBB2_4211
; %bb.4200:                             ;   in Loop: Header=BB2_3833 Depth=3
	v_bfe_u32 v31, v38, 23, 8
	v_cmp_gt_u32_e64 s[28:29], s56, v31
	v_sub_u32_e32 v4, 0x79, v31
	v_and_b32_e32 v3, 0x7fffff, v38
	v_cmp_eq_u32_e32 vcc, 0, v31
	v_cndmask_b32_e64 v4, 0, v4, s[28:29]
	v_mov_b32_e32 v36, 0x78
	v_or_b32_e32 v34, 0x800000, v3
	v_cndmask_b32_e32 v36, v4, v36, vcc
	v_cndmask_b32_e32 v34, v34, v3, vcc
	v_add_u32_e32 v3, 20, v36
	v_lshlrev_b64 v[38:39], v3, -1
	v_add_u32_e32 v3, 19, v36
	v_lshlrev_b64 v[41:42], v3, 1
	v_lshrrev_b64 v[44:45], v36, v[34:35]
	v_bfi_b32 v39, v39, 0, 0
	v_bfi_b32 v38, v38, 0, v34
	v_cmp_eq_u64_e64 s[28:29], v[38:39], v[41:42]
	v_mov_b32_e32 v46, v45
	v_mov_b32_e32 v45, v44
	s_and_saveexec_b64 s[52:53], s[28:29]
; %bb.4201:                             ;   in Loop: Header=BB2_3833 Depth=3
	v_bfe_u32 v3, v44, 20, 1
	v_add_co_u32_e64 v3, s[28:29], v44, v3
	v_add_co_u32_e64 v45, s[28:29], -1, v3
; %bb.4202:                             ;   in Loop: Header=BB2_3833 Depth=3
	s_or_b64 exec, exec, s[52:53]
	v_add_u32_e32 v3, 0xffffff81, v31
	v_cndmask_b32_e32 v3, v3, v52, vcc
	v_lshrrev_b32_e32 v4, 23, v44
	v_add3_u32 v38, v36, v3, v4
	v_add_u32_e32 v31, 6, v38
	v_and_b32_e32 v3, 0xfffff, v45
	v_add_u32_e32 v34, v3, v44
	v_cmp_ne_u32_e32 vcc, 0, v31
                                        ; implicit-def: $vgpr44_vgpr45
                                        ; implicit-def: $vgpr36
	s_and_saveexec_b64 s[28:29], vcc
	s_xor_b64 s[28:29], exec, s[28:29]
; %bb.4203:                             ;   in Loop: Header=BB2_3833 Depth=3
	v_cmp_lt_u64_e32 vcc, s[94:95], v[34:35]
	v_add_u32_e32 v3, 7, v38
	v_cndmask_b32_e32 v36, v31, v3, vcc
	v_cndmask_b32_e64 v3, 0, 1, vcc
	v_lshrrev_b64 v[44:45], v3, v[34:35]
; %bb.4204:                             ;   in Loop: Header=BB2_3833 Depth=3
	s_andn2_saveexec_b64 s[28:29], s[28:29]
; %bb.4205:                             ;   in Loop: Header=BB2_3833 Depth=3
	v_mov_b32_e32 v45, v35
	v_bfe_u32 v36, v34, 23, 1
	v_mov_b32_e32 v44, v34
; %bb.4206:                             ;   in Loop: Header=BB2_3833 Depth=3
	s_or_b64 exec, exec, s[28:29]
	v_lshrrev_b64 v[38:39], 20, v[44:45]
	v_cmp_gt_i32_e32 vcc, 16, v36
	v_cndmask_b32_e32 v45, 0, v39, vcc
	v_cndmask_b32_e32 v44, 7, v38, vcc
	v_cmp_ne_u64_e32 vcc, 0, v[44:45]
	v_cmp_ne_u32_e64 s[28:29], 0, v36
	s_or_b64 s[28:29], s[28:29], vcc
                                        ; implicit-def: $vgpr31
	s_and_saveexec_b64 vcc, s[28:29]
	s_xor_b64 s[28:29], exec, vcc
; %bb.4207:                             ;   in Loop: Header=BB2_3833 Depth=3
	v_min_i32_e32 v3, 15, v36
	v_lshl_or_b32 v3, v3, 3, v30
	v_and_or_b32 v31, v44, 7, v3
                                        ; implicit-def: $vgpr30
; %bb.4208:                             ;   in Loop: Header=BB2_3833 Depth=3
	s_andn2_saveexec_b64 s[28:29], s[28:29]
; %bb.4209:                             ;   in Loop: Header=BB2_3833 Depth=3
	v_mov_b32_e32 v31, v30
; %bb.4210:                             ;   in Loop: Header=BB2_3833 Depth=3
	s_or_b64 exec, exec, s[28:29]
.LBB2_4211:                             ;   in Loop: Header=BB2_3833 Depth=3
	s_or_b64 exec, exec, s[50:51]
                                        ; implicit-def: $vgpr30
.LBB2_4212:                             ;   in Loop: Header=BB2_3833 Depth=3
	s_andn2_saveexec_b64 s[28:29], s[48:49]
; %bb.4213:                             ;   in Loop: Header=BB2_3833 Depth=3
	v_or_b32_e32 v31, 0x7e, v30
; %bb.4214:                             ;   in Loop: Header=BB2_3833 Depth=3
	s_or_b64 exec, exec, s[28:29]
                                        ; implicit-def: $vgpr38
.LBB2_4215:                             ;   in Loop: Header=BB2_3833 Depth=3
	s_andn2_saveexec_b64 s[28:29], s[40:41]
	s_cbranch_execz .LBB2_3832
; %bb.4216:                             ;   in Loop: Header=BB2_3833 Depth=3
	v_or_b32_sdwa v31, v38, s97 dst_sel:DWORD dst_unused:UNUSED_PAD src0_sel:BYTE_3 src1_sel:DWORD
	s_branch .LBB2_3832
.LBB2_4217:                             ;   in Loop: Header=BB2_2331 Depth=2
	s_or_b64 exec, exec, s[46:47]
.LBB2_4218:                             ;   in Loop: Header=BB2_2331 Depth=2
	s_or_b64 exec, exec, s[42:43]
	v_lshlrev_b32_e32 v1, 9, v27
	v_cmp_ne_u32_e32 vcc, v7, v1
	s_and_b64 exec, exec, vcc
	s_cbranch_execz .LBB2_4272
; %bb.4219:                             ;   in Loop: Header=BB2_2331 Depth=2
	v_lshlrev_b32_e32 v3, 6, v21
	v_sub_u32_e32 v3, v16, v3
	v_lshlrev_b32_e32 v4, 6, v26
	v_sub_u32_e32 v3, v3, v4
	v_add_u32_e32 v8, v1, v3
	v_sub_u32_e32 v1, v7, v8
	v_cmp_lt_i32_e32 vcc, 0, v1
	s_and_b64 exec, exec, vcc
	s_cbranch_execz .LBB2_4272
; %bb.4220:                             ;   in Loop: Header=BB2_2331 Depth=2
	s_trap 2
	ds_read_b128 v[9:12], v0
	v_add_u32_e32 v3, v8, v6
	v_ashrrev_i32_e32 v4, 31, v3
	s_bitcmp1_b32 s70, 0
	s_mov_b64 s[46:47], 0
	s_waitcnt lgkmcnt(0)
	v_add_co_u32_e32 v8, vcc, v9, v3
	v_addc_co_u32_e32 v9, vcc, v10, v4, vcc
	v_add_co_u32_e32 v10, vcc, v11, v3
	v_addc_co_u32_e32 v11, vcc, v12, v4, vcc
	v_mov_b32_e32 v13, v9
	v_mov_b32_e32 v15, v11
	s_cselect_b64 s[38:39], -1, 0
	v_mov_b32_e32 v12, v8
	v_mov_b32_e32 v14, v10
.LBB2_4221:                             ;   Parent Loop BB2_47 Depth=1
                                        ;     Parent Loop BB2_2331 Depth=2
                                        ; =>    This Loop Header: Depth=3
                                        ;         Child Loop BB2_4270 Depth 4
	flat_load_ubyte v7, v[14:15] glc slc
	flat_load_ubyte v16, v[12:13] glc slc
	s_mov_b64 s[48:49], -1
	s_and_b64 vcc, exec, s[38:39]
                                        ; implicit-def: $vgpr21
	s_waitcnt vmcnt(0) lgkmcnt(0)
	v_cmp_ne_u16_e64 s[40:41], 0, v7
	v_cmp_ne_u16_e64 s[28:29], s59, v7
	v_and_b32_sdwa v6, sext(v7), s58 dst_sel:DWORD dst_unused:UNUSED_PAD src0_sel:BYTE_0 src1_sel:DWORD
	v_cmp_ne_u16_e64 s[42:43], 0, v16
	s_cbranch_vccz .LBB2_4235
; %bb.4222:                             ;   in Loop: Header=BB2_4221 Depth=3
	v_mov_b32_e32 v21, 0
	v_mov_b32_e32 v24, 0
	s_and_saveexec_b64 s[48:49], s[42:43]
	s_cbranch_execz .LBB2_4228
; %bb.4223:                             ;   in Loop: Header=BB2_4221 Depth=3
	v_cmp_ne_u16_e32 vcc, s59, v16
	v_bfrev_b32_e32 v24, 1
	s_and_saveexec_b64 s[50:51], vcc
	s_cbranch_execz .LBB2_4227
; %bb.4224:                             ;   in Loop: Header=BB2_4221 Depth=3
	v_and_b32_e32 v30, 0xffff, v16
	v_and_b32_e32 v25, 0x7f, v30
	v_cmp_ne_u32_e32 vcc, s97, v25
	v_mov_b32_e32 v24, 0x7f800001
	s_and_saveexec_b64 s[52:53], vcc
	s_cbranch_execz .LBB2_4226
; %bb.4225:                             ;   in Loop: Header=BB2_4221 Depth=3
	v_and_b32_e32 v3, 7, v30
	v_ffbh_u32_e32 v24, v3
	v_min_u32_e32 v26, 32, v24
	v_subrev_u32_e32 v24, 28, v26
	v_lshrrev_b32_e32 v4, 3, v25
	v_cmp_gt_u32_e32 vcc, 8, v25
	v_lshlrev_b64 v[24:25], v24, v[30:31]
	v_sub_u32_e32 v25, 29, v26
	v_and_b32_e32 v24, 7, v24
	v_cndmask_b32_e32 v4, v4, v25, vcc
	v_cndmask_b32_e32 v3, v3, v24, vcc
	v_lshlrev_b32_e32 v24, 24, v16
	v_lshlrev_b32_e32 v3, 20, v3
	v_and_b32_e32 v24, 0x80000000, v24
	v_lshl_add_u32 v4, v4, 23, v48
	v_or3_b32 v24, v24, v4, v3
.LBB2_4226:                             ;   in Loop: Header=BB2_4221 Depth=3
	s_or_b64 exec, exec, s[52:53]
.LBB2_4227:                             ;   in Loop: Header=BB2_4221 Depth=3
	s_or_b64 exec, exec, s[50:51]
.LBB2_4228:                             ;   in Loop: Header=BB2_4221 Depth=3
	s_or_b64 exec, exec, s[48:49]
	s_and_saveexec_b64 s[48:49], s[40:41]
	s_cbranch_execz .LBB2_4234
; %bb.4229:                             ;   in Loop: Header=BB2_4221 Depth=3
	v_bfrev_b32_e32 v21, 1
	s_and_saveexec_b64 s[50:51], s[28:29]
	s_cbranch_execz .LBB2_4233
; %bb.4230:                             ;   in Loop: Header=BB2_4221 Depth=3
	v_and_b32_e32 v30, 0xffff, v7
	v_and_b32_e32 v25, 0x7f, v30
	v_cmp_ne_u32_e32 vcc, s97, v25
	v_mov_b32_e32 v21, 0x7f800001
	s_and_saveexec_b64 s[52:53], vcc
	s_cbranch_execz .LBB2_4232
; %bb.4231:                             ;   in Loop: Header=BB2_4221 Depth=3
	v_and_b32_e32 v3, 7, v30
	v_ffbh_u32_e32 v21, v3
	v_min_u32_e32 v21, 32, v21
	v_lshrrev_b32_e32 v4, 3, v25
	v_cmp_gt_u32_e32 vcc, 8, v25
	v_subrev_u32_e32 v25, 28, v21
	v_lshlrev_b64 v[25:26], v25, v[30:31]
	v_sub_u32_e32 v21, 29, v21
	v_and_b32_e32 v25, 7, v25
	v_cndmask_b32_e32 v3, v3, v25, vcc
	v_cndmask_b32_e32 v4, v4, v21, vcc
	v_lshlrev_b32_e32 v3, 20, v3
	v_lshl_or_b32 v3, v4, 23, v3
	v_add_u32_e32 v3, 0x3c000000, v3
	v_or_b32_e32 v21, v3, v6
.LBB2_4232:                             ;   in Loop: Header=BB2_4221 Depth=3
	s_or_b64 exec, exec, s[52:53]
.LBB2_4233:                             ;   in Loop: Header=BB2_4221 Depth=3
	s_or_b64 exec, exec, s[50:51]
.LBB2_4234:                             ;   in Loop: Header=BB2_4221 Depth=3
	s_or_b64 exec, exec, s[48:49]
	v_max_f32_e32 v3, v21, v21
	v_max_f32_e32 v4, v24, v24
	v_max_f32_e32 v21, v4, v3
	s_mov_b64 s[48:49], 0
.LBB2_4235:                             ;   in Loop: Header=BB2_4221 Depth=3
	s_and_b64 vcc, exec, s[48:49]
	s_cbranch_vccz .LBB2_4249
; %bb.4236:                             ;   in Loop: Header=BB2_4221 Depth=3
	v_mov_b32_e32 v21, 0
	v_mov_b32_e32 v24, 0
	s_and_saveexec_b64 s[48:49], s[42:43]
	s_cbranch_execz .LBB2_4242
; %bb.4237:                             ;   in Loop: Header=BB2_4221 Depth=3
	v_cmp_ne_u16_e32 vcc, s59, v16
	v_bfrev_b32_e32 v24, 1
	s_and_saveexec_b64 s[42:43], vcc
	s_cbranch_execz .LBB2_4241
; %bb.4238:                             ;   in Loop: Header=BB2_4221 Depth=3
	v_and_b32_e32 v30, 0xffff, v16
	v_and_b32_e32 v25, 0x7f, v30
	v_cmp_ne_u32_e32 vcc, s97, v25
	v_mov_b32_e32 v24, 0x7f800001
	s_and_saveexec_b64 s[50:51], vcc
	s_cbranch_execz .LBB2_4240
; %bb.4239:                             ;   in Loop: Header=BB2_4221 Depth=3
	v_and_b32_e32 v3, 7, v30
	v_ffbh_u32_e32 v24, v3
	v_min_u32_e32 v26, 32, v24
	v_subrev_u32_e32 v24, 28, v26
	v_lshrrev_b32_e32 v4, 3, v25
	v_cmp_gt_u32_e32 vcc, 8, v25
	v_lshlrev_b64 v[24:25], v24, v[30:31]
	v_sub_u32_e32 v25, 29, v26
	v_and_b32_e32 v24, 7, v24
	v_cndmask_b32_e32 v4, v4, v25, vcc
	v_cndmask_b32_e32 v3, v3, v24, vcc
	v_lshlrev_b32_e32 v16, 24, v16
	v_lshlrev_b32_e32 v3, 20, v3
	v_and_b32_e32 v16, 0x80000000, v16
	v_lshl_add_u32 v4, v4, 23, v48
	v_or3_b32 v24, v16, v4, v3
.LBB2_4240:                             ;   in Loop: Header=BB2_4221 Depth=3
	s_or_b64 exec, exec, s[50:51]
.LBB2_4241:                             ;   in Loop: Header=BB2_4221 Depth=3
	s_or_b64 exec, exec, s[42:43]
.LBB2_4242:                             ;   in Loop: Header=BB2_4221 Depth=3
	s_or_b64 exec, exec, s[48:49]
	s_and_saveexec_b64 s[42:43], s[40:41]
	s_cbranch_execz .LBB2_4248
; %bb.4243:                             ;   in Loop: Header=BB2_4221 Depth=3
	v_bfrev_b32_e32 v21, 1
	s_and_saveexec_b64 s[40:41], s[28:29]
	s_cbranch_execz .LBB2_4247
; %bb.4244:                             ;   in Loop: Header=BB2_4221 Depth=3
	v_and_b32_e32 v30, 0xffff, v7
	v_and_b32_e32 v7, 0x7f, v30
	v_cmp_ne_u32_e32 vcc, s97, v7
	v_mov_b32_e32 v21, 0x7f800001
	s_and_saveexec_b64 s[28:29], vcc
	s_cbranch_execz .LBB2_4246
; %bb.4245:                             ;   in Loop: Header=BB2_4221 Depth=3
	v_and_b32_e32 v3, 7, v30
	v_lshrrev_b32_e32 v4, 3, v7
	v_cmp_gt_u32_e32 vcc, 8, v7
	v_ffbh_u32_e32 v7, v3
	v_min_u32_e32 v7, 32, v7
	v_subrev_u32_e32 v16, 28, v7
	v_lshlrev_b64 v[25:26], v16, v[30:31]
	v_sub_u32_e32 v7, 29, v7
	v_and_b32_e32 v16, 7, v25
	v_cndmask_b32_e32 v3, v3, v16, vcc
	v_cndmask_b32_e32 v4, v4, v7, vcc
	v_lshlrev_b32_e32 v3, 20, v3
	v_lshl_or_b32 v3, v4, 23, v3
	v_add_u32_e32 v3, 0x3c000000, v3
	v_or_b32_e32 v21, v3, v6
.LBB2_4246:                             ;   in Loop: Header=BB2_4221 Depth=3
	s_or_b64 exec, exec, s[28:29]
.LBB2_4247:                             ;   in Loop: Header=BB2_4221 Depth=3
	s_or_b64 exec, exec, s[40:41]
.LBB2_4248:                             ;   in Loop: Header=BB2_4221 Depth=3
	s_or_b64 exec, exec, s[42:43]
	v_max_f32_e32 v3, v21, v21
	v_max_f32_e32 v4, v24, v24
	v_min_f32_e32 v21, v4, v3
.LBB2_4249:                             ;   in Loop: Header=BB2_4221 Depth=3
	v_and_b32_e32 v34, 0x7f800000, v21
	v_cmp_ne_u64_e32 vcc, s[90:91], v[34:35]
                                        ; implicit-def: $vgpr7
	s_mov_b64 s[28:29], exec
	buffer_load_dword v26, off, s[0:3], s33 offset:56 ; 4-byte Folded Reload
	s_and_b64 s[42:43], s[28:29], vcc
	s_xor_b64 s[40:41], s[42:43], s[28:29]
	s_mov_b64 exec, s[42:43]
	s_cbranch_execz .LBB2_4267
; %bb.4250:                             ;   in Loop: Header=BB2_4221 Depth=3
	v_and_b32_e32 v34, 0x7fffffff, v21
	v_cmp_gt_u64_e32 vcc, s[92:93], v[34:35]
	v_and_b32_sdwa v6, v21, s59 dst_sel:DWORD dst_unused:UNUSED_PAD src0_sel:BYTE_3 src1_sel:DWORD
                                        ; implicit-def: $vgpr7
	s_and_saveexec_b64 s[28:29], vcc
	s_xor_b64 s[42:43], exec, s[28:29]
	s_cbranch_execz .LBB2_4264
; %bb.4251:                             ;   in Loop: Header=BB2_4221 Depth=3
	v_cmp_ne_u32_e32 vcc, 0, v21
	v_mov_b32_e32 v7, 0
	s_and_saveexec_b64 s[48:49], vcc
	s_cbranch_execz .LBB2_4263
; %bb.4252:                             ;   in Loop: Header=BB2_4221 Depth=3
	v_bfe_u32 v7, v21, 23, 8
	v_cmp_gt_u32_e64 s[28:29], s56, v7
	v_sub_u32_e32 v4, 0x79, v7
	v_and_b32_e32 v3, 0x7fffff, v21
	v_cmp_eq_u32_e32 vcc, 0, v7
	v_cndmask_b32_e64 v4, 0, v4, s[28:29]
	v_mov_b32_e32 v16, 0x78
	v_or_b32_e32 v21, 0x800000, v3
	v_cndmask_b32_e32 v16, v4, v16, vcc
	v_cndmask_b32_e32 v34, v21, v3, vcc
	v_add_u32_e32 v3, 20, v16
	v_lshlrev_b64 v[24:25], v3, -1
	v_add_u32_e32 v3, 19, v16
	s_waitcnt vmcnt(0)
	v_lshlrev_b64 v[26:27], v3, 1
	v_lshrrev_b64 v[44:45], v16, v[34:35]
	v_bfi_b32 v25, v25, 0, 0
	v_bfi_b32 v24, v24, 0, v34
	v_cmp_eq_u64_e64 s[28:29], v[24:25], v[26:27]
	v_mov_b32_e32 v46, v45
	v_mov_b32_e32 v45, v44
	s_and_saveexec_b64 s[50:51], s[28:29]
; %bb.4253:                             ;   in Loop: Header=BB2_4221 Depth=3
	v_bfe_u32 v3, v44, 20, 1
	v_add_co_u32_e64 v3, s[28:29], v44, v3
	v_add_co_u32_e64 v45, s[28:29], -1, v3
; %bb.4254:                             ;   in Loop: Header=BB2_4221 Depth=3
	s_or_b64 exec, exec, s[50:51]
	v_add_u32_e32 v3, 0xffffff81, v7
	v_cndmask_b32_e32 v3, v3, v52, vcc
	v_lshrrev_b32_e32 v4, 23, v44
	v_add3_u32 v21, v16, v3, v4
	v_add_u32_e32 v7, 6, v21
	v_and_b32_e32 v3, 0xfffff, v45
	v_add_u32_e32 v34, v3, v44
	v_cmp_ne_u32_e32 vcc, 0, v7
                                        ; implicit-def: $vgpr44_vgpr45
                                        ; implicit-def: $vgpr16
	s_and_saveexec_b64 s[28:29], vcc
	s_xor_b64 s[28:29], exec, s[28:29]
; %bb.4255:                             ;   in Loop: Header=BB2_4221 Depth=3
	v_cmp_lt_u64_e32 vcc, s[94:95], v[34:35]
	v_add_u32_e32 v3, 7, v21
	v_cndmask_b32_e32 v16, v7, v3, vcc
	v_cndmask_b32_e64 v3, 0, 1, vcc
	v_lshrrev_b64 v[44:45], v3, v[34:35]
; %bb.4256:                             ;   in Loop: Header=BB2_4221 Depth=3
	s_or_saveexec_b64 s[28:29], s[28:29]
	buffer_load_dword v26, off, s[0:3], s33 offset:56 ; 4-byte Folded Reload
	s_xor_b64 exec, exec, s[28:29]
; %bb.4257:                             ;   in Loop: Header=BB2_4221 Depth=3
	v_mov_b32_e32 v45, v35
	v_bfe_u32 v16, v34, 23, 1
	v_mov_b32_e32 v44, v34
; %bb.4258:                             ;   in Loop: Header=BB2_4221 Depth=3
	s_or_b64 exec, exec, s[28:29]
	v_lshrrev_b64 v[24:25], 20, v[44:45]
	v_cmp_gt_i32_e32 vcc, 16, v16
	v_cndmask_b32_e32 v45, 0, v25, vcc
	v_cndmask_b32_e32 v44, 7, v24, vcc
	v_cmp_ne_u64_e32 vcc, 0, v[44:45]
	v_cmp_ne_u32_e64 s[28:29], 0, v16
	s_or_b64 s[28:29], s[28:29], vcc
                                        ; implicit-def: $vgpr7
	s_and_saveexec_b64 vcc, s[28:29]
	s_xor_b64 s[28:29], exec, vcc
; %bb.4259:                             ;   in Loop: Header=BB2_4221 Depth=3
	v_min_i32_e32 v3, 15, v16
	v_lshl_or_b32 v3, v3, 3, v6
	v_and_or_b32 v7, v44, 7, v3
                                        ; implicit-def: $vgpr6
; %bb.4260:                             ;   in Loop: Header=BB2_4221 Depth=3
	s_andn2_saveexec_b64 s[28:29], s[28:29]
; %bb.4261:                             ;   in Loop: Header=BB2_4221 Depth=3
	v_mov_b32_e32 v7, v6
; %bb.4262:                             ;   in Loop: Header=BB2_4221 Depth=3
	s_or_b64 exec, exec, s[28:29]
.LBB2_4263:                             ;   in Loop: Header=BB2_4221 Depth=3
	s_or_b64 exec, exec, s[48:49]
                                        ; implicit-def: $vgpr6
.LBB2_4264:                             ;   in Loop: Header=BB2_4221 Depth=3
	s_andn2_saveexec_b64 s[28:29], s[42:43]
; %bb.4265:                             ;   in Loop: Header=BB2_4221 Depth=3
	v_or_b32_e32 v7, 0x7e, v6
; %bb.4266:                             ;   in Loop: Header=BB2_4221 Depth=3
	s_or_b64 exec, exec, s[28:29]
                                        ; implicit-def: $vgpr21
.LBB2_4267:                             ;   in Loop: Header=BB2_4221 Depth=3
	s_andn2_saveexec_b64 s[28:29], s[40:41]
; %bb.4268:                             ;   in Loop: Header=BB2_4221 Depth=3
	v_or_b32_sdwa v7, v21, s97 dst_sel:DWORD dst_unused:UNUSED_PAD src0_sel:BYTE_3 src1_sel:DWORD
; %bb.4269:                             ;   in Loop: Header=BB2_4221 Depth=3
	s_or_b64 exec, exec, s[28:29]
	s_mov_b64 s[48:49], 0
	s_mov_b64 s[42:43], -1
.LBB2_4270:                             ;   Parent Loop BB2_47 Depth=1
                                        ;     Parent Loop BB2_2331 Depth=2
                                        ;       Parent Loop BB2_4221 Depth=3
                                        ; =>      This Inner Loop Header: Depth=4
	s_cmp_eq_u32 s48, 1
	s_cselect_b64 vcc, -1, 0
	v_cndmask_b32_e32 v24, v8, v10, vcc
	v_cndmask_b32_e32 v25, v9, v11, vcc
	v_add_co_u32_e64 v3, s[28:29], 64, v24
	s_cmp_eq_u32 s48, 0
	v_addc_co_u32_e64 v4, s[28:29], 0, v25, s[28:29]
	s_cselect_b64 s[28:29], -1, 0
	s_and_b64 s[40:41], exec, s[42:43]
	s_mov_b64 s[48:49], 1
	s_mov_b64 s[42:43], 0
	v_cndmask_b32_e32 v11, v11, v4, vcc
	v_cndmask_b32_e32 v10, v10, v3, vcc
	v_cndmask_b32_e64 v9, v9, v4, s[28:29]
	v_cndmask_b32_e64 v8, v8, v3, s[28:29]
	s_mov_b64 vcc, s[40:41]
	flat_store_byte v[24:25], v7 glc slc
	s_cbranch_vccnz .LBB2_4270
; %bb.4271:                             ;   in Loop: Header=BB2_4221 Depth=3
	buffer_load_dword v3, off, s[0:3], s33 offset:116 ; 4-byte Folded Reload
	buffer_load_dword v4, off, s[0:3], s33 offset:120 ; 4-byte Folded Reload
	s_waitcnt vmcnt(0)
	v_sub_u32_e32 v1, v1, v26
	v_add_co_u32_e32 v12, vcc, v12, v3
	v_addc_co_u32_e32 v13, vcc, v13, v4, vcc
	v_add_co_u32_e32 v14, vcc, v14, v3
	buffer_load_dword v3, off, s[0:3], s33 offset:108 ; 4-byte Folded Reload
	v_addc_co_u32_e32 v15, vcc, v15, v4, vcc
	buffer_load_dword v4, off, s[0:3], s33 offset:112 ; 4-byte Folded Reload
	s_waitcnt vmcnt(0)
	v_add_co_u32_e32 v8, vcc, v8, v3
	v_addc_co_u32_e32 v9, vcc, v9, v4, vcc
	v_cmp_gt_i32_e32 vcc, 1, v1
	s_or_b64 s[46:47], vcc, s[46:47]
	v_add_co_u32_e32 v10, vcc, v10, v3
	v_addc_co_u32_e32 v11, vcc, v11, v4, vcc
	s_andn2_b64 exec, exec, s[46:47]
	s_cbranch_execnz .LBB2_4221
.LBB2_4272:                             ;   in Loop: Header=BB2_2331 Depth=2
	s_or_b64 exec, exec, s[44:45]
	s_mov_b64 s[28:29], 0
.LBB2_4273:                             ;   in Loop: Header=BB2_2331 Depth=2
	s_and_b64 vcc, exec, s[28:29]
	s_cbranch_vccz .LBB2_6140
; %bb.4274:                             ;   in Loop: Header=BB2_2331 Depth=2
	s_mov_b64 s[28:29], -1
	s_and_saveexec_b64 s[40:41], s[24:25]
	s_cbranch_execz .LBB2_4276
; %bb.4275:                             ;   in Loop: Header=BB2_2331 Depth=2
	ds_read_b32 v1, v0 offset:720
	s_waitcnt lgkmcnt(0)
	v_and_b32_e32 v1, 15, v1
	v_cmp_eq_u32_e32 vcc, 0, v1
	s_orn2_b64 s[28:29], vcc, exec
.LBB2_4276:                             ;   in Loop: Header=BB2_2331 Depth=2
	s_or_b64 exec, exec, s[40:41]
	s_and_saveexec_b64 s[40:41], s[14:15]
	s_cbranch_execz .LBB2_4278
; %bb.4277:                             ;   in Loop: Header=BB2_2331 Depth=2
	ds_read_b32 v1, v0 offset:784
	s_waitcnt lgkmcnt(0)
	v_and_b32_e32 v1, 15, v1
	v_cmp_eq_u32_e32 vcc, 0, v1
	s_and_b64 s[42:43], s[28:29], vcc
	s_andn2_b64 s[28:29], s[28:29], exec
	s_and_b64 s[42:43], s[42:43], exec
	s_or_b64 s[28:29], s[28:29], s[42:43]
.LBB2_4278:                             ;   in Loop: Header=BB2_2331 Depth=2
	s_or_b64 exec, exec, s[40:41]
	buffer_load_dword v7, off, s[0:3], s33 offset:152 ; 4-byte Folded Reload
	buffer_load_dword v21, off, s[0:3], s33 offset:128 ; 4-byte Folded Reload
	s_xor_b64 s[28:29], s[28:29], -1
	v_cndmask_b32_e64 v1, 0, 1, s[28:29]
	s_mov_b64 s[40:41], -1
	v_mov_b32_e32 v6, 0
	v_cmp_ne_u32_e32 vcc, 0, v1
	s_cbranch_vccz .LBB2_4280
; %bb.4279:                             ;   in Loop: Header=BB2_2331 Depth=2
	s_and_saveexec_b64 s[44:45], s[40:41]
	s_cbranch_execnz .LBB2_5699
	s_branch .LBB2_6139
.LBB2_4280:                             ;   in Loop: Header=BB2_2331 Depth=2
	buffer_load_dword v1, off, s[0:3], s33 offset:140 ; 4-byte Folded Reload
	buffer_load_dword v4, off, s[0:3], s33 offset:152 ; 4-byte Folded Reload
	s_waitcnt vmcnt(0)
	v_sub_u32_e32 v6, v4, v1
	v_ashrrev_i32_e32 v1, 31, v4
	v_lshrrev_b32_e32 v1, 22, v1
	v_add_u32_e32 v1, v4, v1
	v_ashrrev_i32_e32 v3, 10, v1
	v_and_b32_e32 v16, 0xfffffc00, v1
	buffer_load_dword v1, off, s[0:3], s33 offset:144 ; 4-byte Folded Reload
	v_sub_u32_e32 v27, v4, v16
	v_cmp_lt_i32_e64 s[28:29], 15, v27
	s_waitcnt vmcnt(0)
	v_sub_u32_e32 v1, v3, v1
	v_addc_co_u32_e64 v26, vcc, 0, v1, s[28:29]
	v_cmp_lt_i32_e32 vcc, 15, v6
	s_and_saveexec_b64 s[38:39], vcc
	s_cbranch_execz .LBB2_4988
; %bb.4281:                             ;   in Loop: Header=BB2_2331 Depth=2
	s_trap 2
	ds_read_b64 v[7:8], v0
	buffer_load_dword v9, off, s[0:3], s33 offset:156 ; 4-byte Folded Reload
	buffer_load_dword v10, off, s[0:3], s33 offset:160 ; 4-byte Folded Reload
	;; [unrolled: 1-line block ×3, first 2 shown]
	s_bitcmp1_b32 s70, 0
	s_mov_b64 s[48:49], 0
	s_cselect_b64 s[50:51], -1, 0
	s_waitcnt vmcnt(0)
	v_add_co_u32_e32 v44, vcc, v9, v1
	v_addc_co_u32_e32 v45, vcc, 0, v10, vcc
	s_waitcnt lgkmcnt(0)
	v_add_co_u32_e32 v46, vcc, v7, v1
	v_addc_co_u32_e32 v47, vcc, 0, v8, vcc
	buffer_load_dword v7, off, s[0:3], s33 offset:172 ; 4-byte Folded Reload
	buffer_load_dword v8, off, s[0:3], s33 offset:176 ; 4-byte Folded Reload
	s_waitcnt vmcnt(1)
	v_add_co_u32_e32 v55, vcc, v7, v1
	s_waitcnt vmcnt(0)
	v_addc_co_u32_e32 v56, vcc, 0, v8, vcc
	s_branch .LBB2_4283
.LBB2_4282:                             ;   in Loop: Header=BB2_4283 Depth=3
	s_or_b64 exec, exec, s[40:41]
	v_lshl_or_b32 v3, v39, 8, v38
	v_lshlrev_b32_e32 v4, 16, v31
	v_lshlrev_b32_e32 v9, 24, v30
	v_or3_b32 v10, v3, v4, v9
	v_lshl_or_b32 v3, v37, 8, v7
	v_lshlrev_b32_e32 v4, 16, v21
	v_lshlrev_b32_e32 v7, 24, v36
	v_add_co_u32_e32 v44, vcc, v44, v5
	v_or3_b32 v9, v3, v4, v7
	v_lshl_or_b32 v3, v40, 8, v53
	v_lshlrev_b32_e32 v1, 16, v1
	v_lshlrev_b32_e32 v4, 24, v41
	v_addc_co_u32_e32 v45, vcc, 0, v45, vcc
	v_or3_b32 v11, v3, v1, v4
	v_lshlrev_b32_e32 v1, 24, v8
	v_lshlrev_b32_e32 v3, 16, v12
	v_lshl_or_b32 v4, v25, 8, v24
	v_add_co_u32_e32 v46, vcc, v46, v5
	v_or3_b32 v12, v4, v3, v1
	v_addc_co_u32_e32 v47, vcc, 0, v47, vcc
	global_store_dwordx4 v[55:56], v[9:12], off glc slc
	v_add_co_u32_e32 v55, vcc, v55, v5
	v_addc_co_u32_e32 v56, vcc, 0, v56, vcc
	v_sub_u32_e32 v6, v6, v5
	v_cmp_gt_i32_e32 vcc, 16, v6
	s_or_b64 s[48:49], vcc, s[48:49]
	v_sub_u32_e32 v26, v26, v17
	s_andn2_b64 exec, exec, s[48:49]
	s_cbranch_execz .LBB2_4987
.LBB2_4283:                             ;   Parent Loop BB2_47 Depth=1
                                        ;     Parent Loop BB2_2331 Depth=2
                                        ; =>    This Inner Loop Header: Depth=3
	global_load_dwordx4 v[8:11], v[44:45], off glc slc
	global_load_dwordx4 v[12:15], v[46:47], off glc slc
	s_mov_b64 s[44:45], -1
                                        ; implicit-def: $vgpr21
	s_waitcnt vmcnt(1)
	v_cmp_ne_u16_sdwa s[42:43], v8, v35 src0_sel:BYTE_0 src1_sel:DWORD
	s_waitcnt vmcnt(0)
	v_and_b32_e32 v1, 7, v12
	v_ffbh_u32_e32 v1, v1
	v_and_b32_e32 v3, 0x7f, v12
	v_min_u32_e32 v1, 32, v1
	v_cmp_eq_u32_e64 s[40:41], s97, v3
	v_cmp_gt_u32_e32 vcc, 8, v3
	v_subrev_u32_e32 v3, 28, v1
	v_cndmask_b32_e32 v3, 0, v3, vcc
	v_lshlrev_b64 v[24:25], v3, v[12:13]
	v_bfe_u32 v4, v12, 3, 4
	v_sub_u32_e32 v1, 29, v1
	v_cndmask_b32_e32 v1, v4, v1, vcc
	v_lshlrev_b32_e32 v3, 20, v24
	v_lshlrev_b32_e32 v4, 24, v12
	v_and_b32_e32 v3, 0x700000, v3
	v_and_b32_e32 v4, 0x80000000, v4
	v_lshl_add_u32 v1, v1, 23, v48
	v_or3_b32 v1, v4, v1, v3
	s_and_b64 vcc, exec, s[50:51]
	s_cbranch_vccz .LBB2_4297
; %bb.4284:                             ;   in Loop: Header=BB2_4283 Depth=3
	v_mov_b32_e32 v7, 0
	s_and_saveexec_b64 s[44:45], s[42:43]
	s_cbranch_execz .LBB2_4290
; %bb.4285:                             ;   in Loop: Header=BB2_4283 Depth=3
	v_cmp_ne_u16_sdwa vcc, v8, s59 src0_sel:BYTE_0 src1_sel:DWORD
	v_bfrev_b32_e32 v7, 1
	s_and_saveexec_b64 s[46:47], vcc
	s_cbranch_execz .LBB2_4289
; %bb.4286:                             ;   in Loop: Header=BB2_4283 Depth=3
	v_and_b32_e32 v21, 0x7f, v8
	v_cmp_ne_u32_e32 vcc, s97, v21
	v_mov_b32_e32 v7, 0x7f800001
	s_and_saveexec_b64 s[52:53], vcc
	s_cbranch_execz .LBB2_4288
; %bb.4287:                             ;   in Loop: Header=BB2_4283 Depth=3
	v_and_b32_e32 v3, 7, v8
	v_ffbh_u32_e32 v3, v3
	v_min_u32_e32 v3, 32, v3
	v_lshrrev_b32_e32 v4, 3, v21
	v_cmp_gt_u32_e32 vcc, 8, v21
	v_subrev_u32_e32 v7, 28, v3
	v_sub_u32_e32 v3, 29, v3
	v_cndmask_b32_e32 v3, v4, v3, vcc
	v_cndmask_b32_e32 v4, 0, v7, vcc
	v_lshlrev_b64 v[24:25], v4, v[8:9]
	v_lshlrev_b32_e32 v7, 24, v8
	v_lshlrev_b32_e32 v4, 20, v24
	v_and_b32_e32 v4, 0x700000, v4
	v_and_b32_e32 v7, 0x80000000, v7
	v_lshl_add_u32 v3, v3, 23, v48
	v_or3_b32 v7, v7, v3, v4
.LBB2_4288:                             ;   in Loop: Header=BB2_4283 Depth=3
	s_or_b64 exec, exec, s[52:53]
.LBB2_4289:                             ;   in Loop: Header=BB2_4283 Depth=3
	s_or_b64 exec, exec, s[46:47]
.LBB2_4290:                             ;   in Loop: Header=BB2_4283 Depth=3
	s_or_b64 exec, exec, s[44:45]
	v_cmp_gt_i16_sdwa s[46:47], v12, s97 src0_sel:BYTE_0 src1_sel:DWORD
	s_mov_b64 s[44:45], 0
	s_and_saveexec_b64 vcc, s[46:47]
	s_xor_b64 s[46:47], exec, vcc
	s_cbranch_execz .LBB2_4939
; %bb.4291:                             ;   in Loop: Header=BB2_4283 Depth=3
	v_cmp_eq_u16_sdwa s[52:53], v12, s59 src0_sel:BYTE_0 src1_sel:DWORD
	s_mov_b64 s[44:45], -1
	s_and_saveexec_b64 vcc, s[52:53]
; %bb.4292:                             ;   in Loop: Header=BB2_4283 Depth=3
	s_xor_b64 s[44:45], exec, -1
; %bb.4293:                             ;   in Loop: Header=BB2_4283 Depth=3
	s_or_b64 exec, exec, vcc
	s_and_b64 s[44:45], s[44:45], exec
	s_or_saveexec_b64 s[46:47], s[46:47]
	v_bfrev_b32_e32 v21, 1
	s_xor_b64 exec, exec, s[46:47]
	s_cbranch_execnz .LBB2_4940
.LBB2_4294:                             ;   in Loop: Header=BB2_4283 Depth=3
	s_or_b64 exec, exec, s[46:47]
	s_and_saveexec_b64 s[46:47], s[44:45]
.LBB2_4295:                             ;   in Loop: Header=BB2_4283 Depth=3
	v_cndmask_b32_e64 v21, v1, v49, s[40:41]
.LBB2_4296:                             ;   in Loop: Header=BB2_4283 Depth=3
	s_or_b64 exec, exec, s[46:47]
	v_max_f32_e32 v3, v21, v21
	v_max_f32_e32 v4, v7, v7
	;; [unrolled: 1-line block ×3, first 2 shown]
	s_mov_b64 s[44:45], 0
.LBB2_4297:                             ;   in Loop: Header=BB2_4283 Depth=3
	s_and_b64 vcc, exec, s[44:45]
	s_cbranch_vccz .LBB2_4311
; %bb.4298:                             ;   in Loop: Header=BB2_4283 Depth=3
	v_mov_b32_e32 v7, 0
	s_and_saveexec_b64 s[44:45], s[42:43]
	s_cbranch_execz .LBB2_4304
; %bb.4299:                             ;   in Loop: Header=BB2_4283 Depth=3
	v_cmp_ne_u16_sdwa s[46:47], v8, s59 src0_sel:BYTE_0 src1_sel:DWORD
	v_bfrev_b32_e32 v7, 1
	s_and_saveexec_b64 s[42:43], s[46:47]
	s_cbranch_execz .LBB2_4303
; %bb.4300:                             ;   in Loop: Header=BB2_4283 Depth=3
	v_and_b32_e32 v21, 0x7f, v8
	v_cmp_ne_u32_e32 vcc, s97, v21
	v_mov_b32_e32 v7, 0x7f800001
	s_and_saveexec_b64 s[46:47], vcc
	s_cbranch_execz .LBB2_4302
; %bb.4301:                             ;   in Loop: Header=BB2_4283 Depth=3
	v_and_b32_e32 v3, 7, v8
	v_ffbh_u32_e32 v3, v3
	v_min_u32_e32 v3, 32, v3
	v_lshrrev_b32_e32 v4, 3, v21
	v_cmp_gt_u32_e32 vcc, 8, v21
	v_subrev_u32_e32 v7, 28, v3
	v_sub_u32_e32 v3, 29, v3
	v_cndmask_b32_e32 v3, v4, v3, vcc
	v_cndmask_b32_e32 v4, 0, v7, vcc
	v_lshlrev_b64 v[24:25], v4, v[8:9]
	v_lshlrev_b32_e32 v7, 24, v8
	v_lshlrev_b32_e32 v4, 20, v24
	v_and_b32_e32 v4, 0x700000, v4
	v_and_b32_e32 v7, 0x80000000, v7
	v_lshl_add_u32 v3, v3, 23, v48
	v_or3_b32 v7, v7, v3, v4
.LBB2_4302:                             ;   in Loop: Header=BB2_4283 Depth=3
	s_or_b64 exec, exec, s[46:47]
.LBB2_4303:                             ;   in Loop: Header=BB2_4283 Depth=3
	s_or_b64 exec, exec, s[42:43]
.LBB2_4304:                             ;   in Loop: Header=BB2_4283 Depth=3
	s_or_b64 exec, exec, s[44:45]
	v_cmp_gt_i16_sdwa s[44:45], v12, s97 src0_sel:BYTE_0 src1_sel:DWORD
	s_mov_b64 s[42:43], 0
	s_and_saveexec_b64 s[46:47], s[44:45]
	s_xor_b64 s[44:45], exec, s[46:47]
	s_cbranch_execz .LBB2_4941
; %bb.4305:                             ;   in Loop: Header=BB2_4283 Depth=3
	v_cmp_eq_u16_sdwa vcc, v12, s59 src0_sel:BYTE_0 src1_sel:DWORD
	s_mov_b64 s[42:43], -1
	s_and_saveexec_b64 s[46:47], vcc
; %bb.4306:                             ;   in Loop: Header=BB2_4283 Depth=3
	s_xor_b64 s[42:43], exec, -1
; %bb.4307:                             ;   in Loop: Header=BB2_4283 Depth=3
	s_or_b64 exec, exec, s[46:47]
	s_and_b64 s[42:43], s[42:43], exec
	s_or_saveexec_b64 s[44:45], s[44:45]
	v_bfrev_b32_e32 v21, 1
	s_xor_b64 exec, exec, s[44:45]
	s_cbranch_execnz .LBB2_4942
.LBB2_4308:                             ;   in Loop: Header=BB2_4283 Depth=3
	s_or_b64 exec, exec, s[44:45]
	s_and_saveexec_b64 s[44:45], s[42:43]
.LBB2_4309:                             ;   in Loop: Header=BB2_4283 Depth=3
	v_cndmask_b32_e64 v21, v1, v49, s[40:41]
.LBB2_4310:                             ;   in Loop: Header=BB2_4283 Depth=3
	s_or_b64 exec, exec, s[44:45]
	v_max_f32_e32 v1, v21, v21
	v_max_f32_e32 v3, v7, v7
	v_min_f32_e32 v21, v3, v1
.LBB2_4311:                             ;   in Loop: Header=BB2_4283 Depth=3
	v_and_b32_e32 v34, 0x7f800000, v21
	v_cmp_ne_u64_e32 vcc, s[90:91], v[34:35]
                                        ; implicit-def: $vgpr7
	s_and_saveexec_b64 s[40:41], vcc
	s_xor_b64 s[42:43], exec, s[40:41]
	s_cbranch_execz .LBB2_4325
; %bb.4312:                             ;   in Loop: Header=BB2_4283 Depth=3
	v_and_b32_e32 v34, 0x7fffffff, v21
	v_cmp_gt_u64_e32 vcc, s[92:93], v[34:35]
	v_and_b32_sdwa v1, v21, s59 dst_sel:DWORD dst_unused:UNUSED_PAD src0_sel:BYTE_3 src1_sel:DWORD
                                        ; implicit-def: $vgpr7
	s_and_saveexec_b64 s[40:41], vcc
	s_xor_b64 s[44:45], exec, s[40:41]
	s_cbranch_execz .LBB2_4322
; %bb.4313:                             ;   in Loop: Header=BB2_4283 Depth=3
	v_mov_b32_e32 v7, 0
	v_cmp_ne_u32_e32 vcc, 0, v21
	s_and_saveexec_b64 s[46:47], vcc
	s_cbranch_execz .LBB2_4321
; %bb.4314:                             ;   in Loop: Header=BB2_4283 Depth=3
	v_bfe_u32 v7, v21, 23, 8
	v_cmp_gt_u32_e64 s[40:41], s56, v7
	v_sub_u32_e32 v4, 0x79, v7
	v_and_b32_e32 v3, 0x7fffff, v21
	v_cmp_eq_u32_e32 vcc, 0, v7
	v_cndmask_b32_e64 v4, 0, v4, s[40:41]
	v_mov_b32_e32 v21, 0x78
	v_or_b32_e32 v24, 0x800000, v3
	v_cndmask_b32_e32 v21, v4, v21, vcc
	v_cndmask_b32_e32 v34, v24, v3, vcc
	v_add_u32_e32 v3, 20, v21
	v_lshlrev_b64 v[24:25], v3, -1
	v_add_u32_e32 v3, 19, v21
	v_lshlrev_b64 v[30:31], v3, 1
	v_lshrrev_b64 v[57:58], v21, v[34:35]
	v_bfi_b32 v25, v25, 0, 0
	v_bfi_b32 v24, v24, 0, v34
	v_cmp_eq_u64_e64 s[40:41], v[24:25], v[30:31]
	v_mov_b32_e32 v59, v58
	v_mov_b32_e32 v58, v57
	s_and_saveexec_b64 s[52:53], s[40:41]
; %bb.4315:                             ;   in Loop: Header=BB2_4283 Depth=3
	v_bfe_u32 v3, v57, 20, 1
	v_add_co_u32_e64 v3, s[40:41], v57, v3
	v_add_co_u32_e64 v58, s[40:41], -1, v3
; %bb.4316:                             ;   in Loop: Header=BB2_4283 Depth=3
	s_or_b64 exec, exec, s[52:53]
	v_add_u32_e32 v3, 0xffffff81, v7
	v_cndmask_b32_e32 v3, v3, v52, vcc
	v_lshrrev_b32_e32 v4, 23, v57
	v_add3_u32 v24, v21, v3, v4
	v_add_u32_e32 v21, 6, v24
	v_and_b32_e32 v3, 0xfffff, v58
	v_add_u32_e32 v34, v3, v57
	v_cmp_ne_u32_e32 vcc, 0, v21
                                        ; implicit-def: $vgpr57_vgpr58
                                        ; implicit-def: $vgpr7
	s_and_saveexec_b64 s[40:41], vcc
	s_xor_b64 s[40:41], exec, s[40:41]
; %bb.4317:                             ;   in Loop: Header=BB2_4283 Depth=3
	v_cmp_lt_u64_e32 vcc, s[94:95], v[34:35]
	v_add_u32_e32 v3, 7, v24
	v_cndmask_b32_e32 v7, v21, v3, vcc
	v_cndmask_b32_e64 v3, 0, 1, vcc
	v_lshrrev_b64 v[57:58], v3, v[34:35]
; %bb.4318:                             ;   in Loop: Header=BB2_4283 Depth=3
	s_andn2_saveexec_b64 s[40:41], s[40:41]
; %bb.4319:                             ;   in Loop: Header=BB2_4283 Depth=3
	v_mov_b32_e32 v58, v35
	v_bfe_u32 v7, v34, 23, 1
	v_mov_b32_e32 v57, v34
; %bb.4320:                             ;   in Loop: Header=BB2_4283 Depth=3
	s_or_b64 exec, exec, s[40:41]
	v_lshrrev_b64 v[24:25], 20, v[57:58]
	v_cmp_gt_i32_e32 vcc, 16, v7
	v_cndmask_b32_e32 v25, 0, v25, vcc
	v_cndmask_b32_e32 v24, 7, v24, vcc
	v_min_i32_e32 v3, 15, v7
	v_cmp_eq_u64_e64 s[40:41], 0, v[24:25]
	v_lshlrev_b32_e32 v3, 3, v3
	v_cmp_eq_u32_e32 vcc, 0, v7
	v_and_b32_e32 v3, 0xf8, v3
	v_and_or_b32 v3, v24, 7, v3
	s_and_b64 s[40:41], vcc, s[40:41]
	v_cndmask_b32_e64 v3, v3, 0, s[40:41]
	v_or_b32_e32 v7, v3, v1
.LBB2_4321:                             ;   in Loop: Header=BB2_4283 Depth=3
	s_or_b64 exec, exec, s[46:47]
                                        ; implicit-def: $vgpr1
.LBB2_4322:                             ;   in Loop: Header=BB2_4283 Depth=3
	s_andn2_saveexec_b64 s[40:41], s[44:45]
; %bb.4323:                             ;   in Loop: Header=BB2_4283 Depth=3
	v_or_b32_e32 v7, 0x7e, v1
; %bb.4324:                             ;   in Loop: Header=BB2_4283 Depth=3
	s_or_b64 exec, exec, s[40:41]
                                        ; implicit-def: $vgpr21
.LBB2_4325:                             ;   in Loop: Header=BB2_4283 Depth=3
	s_andn2_saveexec_b64 s[40:41], s[42:43]
; %bb.4326:                             ;   in Loop: Header=BB2_4283 Depth=3
	v_or_b32_sdwa v7, v21, s97 dst_sel:DWORD dst_unused:UNUSED_PAD src0_sel:BYTE_3 src1_sel:DWORD
; %bb.4327:                             ;   in Loop: Header=BB2_4283 Depth=3
	s_or_b64 exec, exec, s[40:41]
	v_lshrrev_b16_e32 v34, 8, v12
	v_and_b32_e32 v1, 7, v34
	v_and_b32_e32 v3, 0x7f, v34
	v_cmp_eq_u32_e64 s[40:41], s97, v3
	v_cmp_gt_u32_e32 vcc, 8, v3
	v_ffbh_u32_e32 v3, v1
	v_min_u32_e32 v3, 32, v3
	v_subrev_u32_e32 v21, 28, v3
	v_lshlrev_b64 v[24:25], v21, v[34:35]
	v_bfe_u32 v4, v34, 3, 4
	v_sub_u32_e32 v3, 29, v3
	v_and_b32_e32 v21, 7, v24
	v_cndmask_b32_e32 v3, v4, v3, vcc
	v_cndmask_b32_e32 v1, v1, v21, vcc
	v_lshlrev_b32_e32 v4, 24, v34
	v_lshlrev_b32_e32 v1, 20, v1
	v_and_b32_e32 v4, 0x80000000, v4
	v_lshl_add_u32 v3, v3, 23, v48
	v_lshrrev_b16_e32 v30, 8, v8
	v_or3_b32 v1, v4, v3, v1
	v_cmp_ne_u16_e64 s[42:43], 0, v30
	s_mov_b64 s[44:45], -1
	s_and_b64 vcc, exec, s[50:51]
                                        ; implicit-def: $vgpr21
	s_cbranch_vccz .LBB2_4341
; %bb.4328:                             ;   in Loop: Header=BB2_4283 Depth=3
	v_mov_b32_e32 v21, 0
	s_and_saveexec_b64 s[44:45], s[42:43]
	s_cbranch_execz .LBB2_4334
; %bb.4329:                             ;   in Loop: Header=BB2_4283 Depth=3
	v_cmp_ne_u16_e32 vcc, s59, v30
	v_bfrev_b32_e32 v21, 1
	s_and_saveexec_b64 s[46:47], vcc
	s_cbranch_execz .LBB2_4333
; %bb.4330:                             ;   in Loop: Header=BB2_4283 Depth=3
	v_and_b32_e32 v24, 0x7f, v30
	v_cmp_ne_u32_e32 vcc, s97, v24
	v_mov_b32_e32 v21, 0x7f800001
	s_and_saveexec_b64 s[52:53], vcc
	s_cbranch_execz .LBB2_4332
; %bb.4331:                             ;   in Loop: Header=BB2_4283 Depth=3
	v_and_b32_e32 v3, 7, v30
	v_ffbh_u32_e32 v21, v3
	v_min_u32_e32 v21, 32, v21
	v_lshrrev_b32_e32 v4, 3, v24
	v_cmp_gt_u32_e32 vcc, 8, v24
	v_subrev_u32_e32 v24, 28, v21
	v_lshlrev_b64 v[24:25], v24, v[30:31]
	v_sub_u32_e32 v21, 29, v21
	v_and_b32_e32 v24, 7, v24
	v_cndmask_b32_e32 v4, v4, v21, vcc
	v_cndmask_b32_e32 v3, v3, v24, vcc
	v_lshlrev_b32_e32 v21, 16, v8
	v_lshlrev_b32_e32 v3, 20, v3
	v_and_b32_e32 v21, 0x80000000, v21
	v_lshl_add_u32 v4, v4, 23, v48
	v_or3_b32 v21, v21, v4, v3
.LBB2_4332:                             ;   in Loop: Header=BB2_4283 Depth=3
	s_or_b64 exec, exec, s[52:53]
.LBB2_4333:                             ;   in Loop: Header=BB2_4283 Depth=3
	s_or_b64 exec, exec, s[46:47]
.LBB2_4334:                             ;   in Loop: Header=BB2_4283 Depth=3
	s_or_b64 exec, exec, s[44:45]
	v_cmp_lt_i16_e32 vcc, s97, v34
	s_mov_b64 s[44:45], 0
	s_and_saveexec_b64 s[46:47], vcc
	s_xor_b64 s[46:47], exec, s[46:47]
	s_cbranch_execz .LBB2_4943
; %bb.4335:                             ;   in Loop: Header=BB2_4283 Depth=3
	v_cmp_eq_u16_e32 vcc, s59, v34
	s_mov_b64 s[44:45], -1
	s_and_saveexec_b64 s[52:53], vcc
; %bb.4336:                             ;   in Loop: Header=BB2_4283 Depth=3
	s_xor_b64 s[44:45], exec, -1
; %bb.4337:                             ;   in Loop: Header=BB2_4283 Depth=3
	s_or_b64 exec, exec, s[52:53]
	s_and_b64 s[44:45], s[44:45], exec
	s_or_saveexec_b64 s[46:47], s[46:47]
	v_bfrev_b32_e32 v24, 1
	s_xor_b64 exec, exec, s[46:47]
	s_cbranch_execnz .LBB2_4944
.LBB2_4338:                             ;   in Loop: Header=BB2_4283 Depth=3
	s_or_b64 exec, exec, s[46:47]
	s_and_saveexec_b64 s[46:47], s[44:45]
.LBB2_4339:                             ;   in Loop: Header=BB2_4283 Depth=3
	v_cndmask_b32_e64 v24, v1, v49, s[40:41]
.LBB2_4340:                             ;   in Loop: Header=BB2_4283 Depth=3
	s_or_b64 exec, exec, s[46:47]
	v_max_f32_e32 v3, v24, v24
	v_max_f32_e32 v4, v21, v21
	;; [unrolled: 1-line block ×3, first 2 shown]
	s_mov_b64 s[44:45], 0
.LBB2_4341:                             ;   in Loop: Header=BB2_4283 Depth=3
	s_and_b64 vcc, exec, s[44:45]
	s_cbranch_vccz .LBB2_4355
; %bb.4342:                             ;   in Loop: Header=BB2_4283 Depth=3
	v_mov_b32_e32 v21, 0
	s_and_saveexec_b64 s[44:45], s[42:43]
	s_cbranch_execz .LBB2_4348
; %bb.4343:                             ;   in Loop: Header=BB2_4283 Depth=3
	v_cmp_ne_u16_e32 vcc, s59, v30
	v_bfrev_b32_e32 v21, 1
	s_and_saveexec_b64 s[42:43], vcc
	s_cbranch_execz .LBB2_4347
; %bb.4344:                             ;   in Loop: Header=BB2_4283 Depth=3
	v_and_b32_e32 v24, 0x7f, v30
	v_cmp_ne_u32_e32 vcc, s97, v24
	v_mov_b32_e32 v21, 0x7f800001
	s_and_saveexec_b64 s[46:47], vcc
	s_cbranch_execz .LBB2_4346
; %bb.4345:                             ;   in Loop: Header=BB2_4283 Depth=3
	v_and_b32_e32 v3, 7, v30
	v_ffbh_u32_e32 v21, v3
	v_min_u32_e32 v21, 32, v21
	v_lshrrev_b32_e32 v4, 3, v24
	v_cmp_gt_u32_e32 vcc, 8, v24
	v_subrev_u32_e32 v24, 28, v21
	v_lshlrev_b64 v[24:25], v24, v[30:31]
	v_sub_u32_e32 v21, 29, v21
	v_and_b32_e32 v24, 7, v24
	v_cndmask_b32_e32 v4, v4, v21, vcc
	v_cndmask_b32_e32 v3, v3, v24, vcc
	v_lshlrev_b32_e32 v21, 16, v8
	v_lshlrev_b32_e32 v3, 20, v3
	v_and_b32_e32 v21, 0x80000000, v21
	v_lshl_add_u32 v4, v4, 23, v48
	v_or3_b32 v21, v21, v4, v3
.LBB2_4346:                             ;   in Loop: Header=BB2_4283 Depth=3
	s_or_b64 exec, exec, s[46:47]
.LBB2_4347:                             ;   in Loop: Header=BB2_4283 Depth=3
	s_or_b64 exec, exec, s[42:43]
.LBB2_4348:                             ;   in Loop: Header=BB2_4283 Depth=3
	s_or_b64 exec, exec, s[44:45]
	v_cmp_lt_i16_e32 vcc, s97, v34
	s_mov_b64 s[42:43], 0
	s_and_saveexec_b64 s[44:45], vcc
	s_xor_b64 s[44:45], exec, s[44:45]
	s_cbranch_execz .LBB2_4945
; %bb.4349:                             ;   in Loop: Header=BB2_4283 Depth=3
	v_cmp_eq_u16_e32 vcc, s59, v34
	s_mov_b64 s[42:43], -1
	s_and_saveexec_b64 s[46:47], vcc
; %bb.4350:                             ;   in Loop: Header=BB2_4283 Depth=3
	s_xor_b64 s[42:43], exec, -1
; %bb.4351:                             ;   in Loop: Header=BB2_4283 Depth=3
	s_or_b64 exec, exec, s[46:47]
	s_and_b64 s[42:43], s[42:43], exec
	s_or_saveexec_b64 s[44:45], s[44:45]
	v_bfrev_b32_e32 v24, 1
	s_xor_b64 exec, exec, s[44:45]
	s_cbranch_execnz .LBB2_4946
.LBB2_4352:                             ;   in Loop: Header=BB2_4283 Depth=3
	s_or_b64 exec, exec, s[44:45]
	s_and_saveexec_b64 s[44:45], s[42:43]
.LBB2_4353:                             ;   in Loop: Header=BB2_4283 Depth=3
	v_cndmask_b32_e64 v24, v1, v49, s[40:41]
.LBB2_4354:                             ;   in Loop: Header=BB2_4283 Depth=3
	s_or_b64 exec, exec, s[44:45]
	v_max_f32_e32 v1, v24, v24
	v_max_f32_e32 v3, v21, v21
	v_min_f32_e32 v21, v3, v1
.LBB2_4355:                             ;   in Loop: Header=BB2_4283 Depth=3
	v_and_b32_e32 v34, 0x7f800000, v21
	v_cmp_ne_u64_e32 vcc, s[90:91], v[34:35]
                                        ; implicit-def: $vgpr37
	s_and_saveexec_b64 s[40:41], vcc
	s_xor_b64 s[42:43], exec, s[40:41]
	s_cbranch_execz .LBB2_4369
; %bb.4356:                             ;   in Loop: Header=BB2_4283 Depth=3
	v_and_b32_e32 v34, 0x7fffffff, v21
	v_cmp_gt_u64_e32 vcc, s[92:93], v[34:35]
	v_and_b32_sdwa v1, v21, s59 dst_sel:DWORD dst_unused:UNUSED_PAD src0_sel:BYTE_3 src1_sel:DWORD
                                        ; implicit-def: $vgpr37
	s_and_saveexec_b64 s[40:41], vcc
	s_xor_b64 s[44:45], exec, s[40:41]
	s_cbranch_execz .LBB2_4366
; %bb.4357:                             ;   in Loop: Header=BB2_4283 Depth=3
	v_mov_b32_e32 v37, 0
	v_cmp_ne_u32_e32 vcc, 0, v21
	s_and_saveexec_b64 s[46:47], vcc
	s_cbranch_execz .LBB2_4365
; %bb.4358:                             ;   in Loop: Header=BB2_4283 Depth=3
	v_and_b32_e32 v3, 0x7fffff, v21
	v_bfe_u32 v21, v21, 23, 8
	v_cmp_gt_u32_e64 s[40:41], s56, v21
	v_sub_u32_e32 v4, 0x79, v21
	v_cmp_eq_u32_e32 vcc, 0, v21
	v_cndmask_b32_e64 v4, 0, v4, s[40:41]
	v_mov_b32_e32 v24, 0x78
	v_or_b32_e32 v25, 0x800000, v3
	v_cndmask_b32_e32 v24, v4, v24, vcc
	v_cndmask_b32_e32 v34, v25, v3, vcc
	v_add_u32_e32 v3, 20, v24
	v_lshlrev_b64 v[30:31], v3, -1
	v_add_u32_e32 v3, 19, v24
	v_lshlrev_b64 v[36:37], v3, 1
	v_lshrrev_b64 v[57:58], v24, v[34:35]
	v_bfi_b32 v31, v31, 0, 0
	v_bfi_b32 v30, v30, 0, v34
	v_cmp_eq_u64_e64 s[40:41], v[30:31], v[36:37]
	v_mov_b32_e32 v59, v58
	v_mov_b32_e32 v58, v57
	s_and_saveexec_b64 s[52:53], s[40:41]
; %bb.4359:                             ;   in Loop: Header=BB2_4283 Depth=3
	v_bfe_u32 v3, v57, 20, 1
	v_add_co_u32_e64 v3, s[40:41], v57, v3
	v_add_co_u32_e64 v58, s[40:41], -1, v3
; %bb.4360:                             ;   in Loop: Header=BB2_4283 Depth=3
	s_or_b64 exec, exec, s[52:53]
	v_add_u32_e32 v3, 0xffffff81, v21
	v_cndmask_b32_e32 v3, v3, v52, vcc
	v_lshrrev_b32_e32 v4, 23, v57
	v_add3_u32 v25, v24, v3, v4
	v_add_u32_e32 v24, 6, v25
	v_and_b32_e32 v3, 0xfffff, v58
	v_add_u32_e32 v34, v3, v57
	v_cmp_ne_u32_e32 vcc, 0, v24
                                        ; implicit-def: $vgpr57_vgpr58
                                        ; implicit-def: $vgpr21
	s_and_saveexec_b64 s[40:41], vcc
	s_xor_b64 s[40:41], exec, s[40:41]
; %bb.4361:                             ;   in Loop: Header=BB2_4283 Depth=3
	v_cmp_lt_u64_e32 vcc, s[94:95], v[34:35]
	v_add_u32_e32 v3, 7, v25
	v_cndmask_b32_e32 v21, v24, v3, vcc
	v_cndmask_b32_e64 v3, 0, 1, vcc
	v_lshrrev_b64 v[57:58], v3, v[34:35]
; %bb.4362:                             ;   in Loop: Header=BB2_4283 Depth=3
	s_andn2_saveexec_b64 s[40:41], s[40:41]
; %bb.4363:                             ;   in Loop: Header=BB2_4283 Depth=3
	v_mov_b32_e32 v58, v35
	v_bfe_u32 v21, v34, 23, 1
	v_mov_b32_e32 v57, v34
; %bb.4364:                             ;   in Loop: Header=BB2_4283 Depth=3
	s_or_b64 exec, exec, s[40:41]
	v_lshrrev_b64 v[24:25], 20, v[57:58]
	v_cmp_gt_i32_e32 vcc, 16, v21
	v_cndmask_b32_e32 v25, 0, v25, vcc
	v_cndmask_b32_e32 v24, 7, v24, vcc
	v_min_i32_e32 v3, 15, v21
	v_cmp_eq_u64_e64 s[40:41], 0, v[24:25]
	v_lshlrev_b32_e32 v3, 3, v3
	v_cmp_eq_u32_e32 vcc, 0, v21
	v_and_b32_e32 v3, 0xf8, v3
	v_and_or_b32 v3, v24, 7, v3
	s_and_b64 s[40:41], vcc, s[40:41]
	v_cndmask_b32_e64 v3, v3, 0, s[40:41]
	v_or_b32_e32 v37, v3, v1
.LBB2_4365:                             ;   in Loop: Header=BB2_4283 Depth=3
	s_or_b64 exec, exec, s[46:47]
                                        ; implicit-def: $vgpr1
.LBB2_4366:                             ;   in Loop: Header=BB2_4283 Depth=3
	s_andn2_saveexec_b64 s[40:41], s[44:45]
; %bb.4367:                             ;   in Loop: Header=BB2_4283 Depth=3
	v_or_b32_e32 v37, 0x7e, v1
; %bb.4368:                             ;   in Loop: Header=BB2_4283 Depth=3
	s_or_b64 exec, exec, s[40:41]
                                        ; implicit-def: $vgpr21
.LBB2_4369:                             ;   in Loop: Header=BB2_4283 Depth=3
	s_andn2_saveexec_b64 s[40:41], s[42:43]
; %bb.4370:                             ;   in Loop: Header=BB2_4283 Depth=3
	v_or_b32_sdwa v37, v21, s97 dst_sel:DWORD dst_unused:UNUSED_PAD src0_sel:BYTE_3 src1_sel:DWORD
; %bb.4371:                             ;   in Loop: Header=BB2_4283 Depth=3
	s_or_b64 exec, exec, s[40:41]
	v_bfe_u32 v1, v12, 16, 3
	v_bfe_u32 v3, v12, 16, 7
	v_cmp_eq_u32_e64 s[40:41], s97, v3
	v_cmp_gt_u32_e32 vcc, 8, v3
	v_ffbh_u32_e32 v3, v1
	v_min_u32_e32 v3, 32, v3
	v_lshrrev_b32_e32 v30, 16, v12
	v_subrev_u32_e32 v21, 28, v3
	v_lshlrev_b64 v[24:25], v21, v[30:31]
	v_bfe_u32 v4, v30, 3, 4
	v_sub_u32_e32 v3, 29, v3
	v_and_b32_e32 v21, 7, v24
	v_cndmask_b32_e32 v3, v4, v3, vcc
	v_cndmask_b32_e32 v1, v1, v21, vcc
	v_lshlrev_b32_e32 v4, 8, v12
	v_lshlrev_b32_e32 v1, 20, v1
	v_and_b32_e32 v4, 0x80000000, v4
	v_lshl_add_u32 v3, v3, 23, v48
	v_lshrrev_b32_e32 v34, 16, v8
	v_or3_b32 v1, v4, v3, v1
	v_cmp_ne_u16_sdwa s[42:43], v34, v35 src0_sel:BYTE_0 src1_sel:DWORD
	s_mov_b64 s[44:45], -1
	s_and_b64 vcc, exec, s[50:51]
                                        ; implicit-def: $vgpr24
	s_cbranch_vccz .LBB2_4385
; %bb.4372:                             ;   in Loop: Header=BB2_4283 Depth=3
	v_mov_b32_e32 v21, 0
	s_and_saveexec_b64 s[44:45], s[42:43]
	s_cbranch_execz .LBB2_4378
; %bb.4373:                             ;   in Loop: Header=BB2_4283 Depth=3
	v_cmp_ne_u16_sdwa vcc, v34, s59 src0_sel:BYTE_0 src1_sel:DWORD
	v_bfrev_b32_e32 v21, 1
	s_and_saveexec_b64 s[46:47], vcc
	s_cbranch_execz .LBB2_4377
; %bb.4374:                             ;   in Loop: Header=BB2_4283 Depth=3
	v_bfe_u32 v24, v8, 16, 7
	v_cmp_ne_u32_e32 vcc, s97, v24
	v_mov_b32_e32 v21, 0x7f800001
	s_and_saveexec_b64 s[52:53], vcc
	s_cbranch_execz .LBB2_4376
; %bb.4375:                             ;   in Loop: Header=BB2_4283 Depth=3
	v_and_b32_e32 v3, 7, v34
	v_ffbh_u32_e32 v21, v3
	v_min_u32_e32 v21, 32, v21
	v_lshrrev_b32_e32 v4, 3, v24
	v_cmp_gt_u32_e32 vcc, 8, v24
	v_subrev_u32_e32 v24, 28, v21
	v_lshlrev_b64 v[24:25], v24, v[34:35]
	v_sub_u32_e32 v21, 29, v21
	v_and_b32_e32 v24, 7, v24
	v_cndmask_b32_e32 v4, v4, v21, vcc
	v_cndmask_b32_e32 v3, v3, v24, vcc
	v_lshlrev_b32_e32 v21, 24, v34
	v_lshlrev_b32_e32 v3, 20, v3
	v_and_b32_e32 v21, 0x80000000, v21
	v_lshl_add_u32 v4, v4, 23, v48
	v_or3_b32 v21, v21, v4, v3
.LBB2_4376:                             ;   in Loop: Header=BB2_4283 Depth=3
	s_or_b64 exec, exec, s[52:53]
.LBB2_4377:                             ;   in Loop: Header=BB2_4283 Depth=3
	s_or_b64 exec, exec, s[46:47]
.LBB2_4378:                             ;   in Loop: Header=BB2_4283 Depth=3
	s_or_b64 exec, exec, s[44:45]
	v_cmp_gt_i16_sdwa s[46:47], v30, s97 src0_sel:BYTE_0 src1_sel:DWORD
	s_mov_b64 s[44:45], 0
	s_and_saveexec_b64 vcc, s[46:47]
	s_xor_b64 s[46:47], exec, vcc
	s_cbranch_execz .LBB2_4947
; %bb.4379:                             ;   in Loop: Header=BB2_4283 Depth=3
	v_cmp_eq_u16_sdwa s[52:53], v30, s59 src0_sel:BYTE_0 src1_sel:DWORD
	s_mov_b64 s[44:45], -1
	s_and_saveexec_b64 vcc, s[52:53]
; %bb.4380:                             ;   in Loop: Header=BB2_4283 Depth=3
	s_xor_b64 s[44:45], exec, -1
; %bb.4381:                             ;   in Loop: Header=BB2_4283 Depth=3
	s_or_b64 exec, exec, vcc
	s_and_b64 s[44:45], s[44:45], exec
	s_or_saveexec_b64 s[46:47], s[46:47]
	v_bfrev_b32_e32 v24, 1
	s_xor_b64 exec, exec, s[46:47]
	s_cbranch_execnz .LBB2_4948
.LBB2_4382:                             ;   in Loop: Header=BB2_4283 Depth=3
	s_or_b64 exec, exec, s[46:47]
	s_and_saveexec_b64 s[46:47], s[44:45]
.LBB2_4383:                             ;   in Loop: Header=BB2_4283 Depth=3
	v_cndmask_b32_e64 v24, v1, v49, s[40:41]
.LBB2_4384:                             ;   in Loop: Header=BB2_4283 Depth=3
	s_or_b64 exec, exec, s[46:47]
	v_max_f32_e32 v3, v24, v24
	v_max_f32_e32 v4, v21, v21
	;; [unrolled: 1-line block ×3, first 2 shown]
	s_mov_b64 s[44:45], 0
.LBB2_4385:                             ;   in Loop: Header=BB2_4283 Depth=3
	s_and_b64 vcc, exec, s[44:45]
	s_cbranch_vccz .LBB2_4399
; %bb.4386:                             ;   in Loop: Header=BB2_4283 Depth=3
	v_mov_b32_e32 v21, 0
	s_and_saveexec_b64 s[44:45], s[42:43]
	s_cbranch_execz .LBB2_4392
; %bb.4387:                             ;   in Loop: Header=BB2_4283 Depth=3
	v_cmp_ne_u16_sdwa s[46:47], v34, s59 src0_sel:BYTE_0 src1_sel:DWORD
	v_bfrev_b32_e32 v21, 1
	s_and_saveexec_b64 s[42:43], s[46:47]
	s_cbranch_execz .LBB2_4391
; %bb.4388:                             ;   in Loop: Header=BB2_4283 Depth=3
	v_bfe_u32 v24, v8, 16, 7
	v_cmp_ne_u32_e32 vcc, s97, v24
	v_mov_b32_e32 v21, 0x7f800001
	s_and_saveexec_b64 s[46:47], vcc
	s_cbranch_execz .LBB2_4390
; %bb.4389:                             ;   in Loop: Header=BB2_4283 Depth=3
	v_and_b32_e32 v3, 7, v34
	v_ffbh_u32_e32 v21, v3
	v_min_u32_e32 v21, 32, v21
	v_lshrrev_b32_e32 v4, 3, v24
	v_cmp_gt_u32_e32 vcc, 8, v24
	v_subrev_u32_e32 v24, 28, v21
	v_lshlrev_b64 v[24:25], v24, v[34:35]
	v_sub_u32_e32 v21, 29, v21
	v_and_b32_e32 v24, 7, v24
	v_cndmask_b32_e32 v4, v4, v21, vcc
	v_cndmask_b32_e32 v3, v3, v24, vcc
	v_lshlrev_b32_e32 v21, 24, v34
	v_lshlrev_b32_e32 v3, 20, v3
	v_and_b32_e32 v21, 0x80000000, v21
	v_lshl_add_u32 v4, v4, 23, v48
	v_or3_b32 v21, v21, v4, v3
.LBB2_4390:                             ;   in Loop: Header=BB2_4283 Depth=3
	s_or_b64 exec, exec, s[46:47]
.LBB2_4391:                             ;   in Loop: Header=BB2_4283 Depth=3
	s_or_b64 exec, exec, s[42:43]
.LBB2_4392:                             ;   in Loop: Header=BB2_4283 Depth=3
	s_or_b64 exec, exec, s[44:45]
	v_cmp_gt_i16_sdwa s[44:45], v30, s97 src0_sel:BYTE_0 src1_sel:DWORD
	s_mov_b64 s[42:43], 0
	s_and_saveexec_b64 s[46:47], s[44:45]
	s_xor_b64 s[44:45], exec, s[46:47]
	s_cbranch_execz .LBB2_4949
; %bb.4393:                             ;   in Loop: Header=BB2_4283 Depth=3
	v_cmp_eq_u16_sdwa vcc, v30, s59 src0_sel:BYTE_0 src1_sel:DWORD
	s_mov_b64 s[42:43], -1
	s_and_saveexec_b64 s[46:47], vcc
; %bb.4394:                             ;   in Loop: Header=BB2_4283 Depth=3
	s_xor_b64 s[42:43], exec, -1
; %bb.4395:                             ;   in Loop: Header=BB2_4283 Depth=3
	s_or_b64 exec, exec, s[46:47]
	s_and_b64 s[42:43], s[42:43], exec
                                        ; implicit-def: $vgpr30
	s_or_saveexec_b64 s[44:45], s[44:45]
	v_bfrev_b32_e32 v24, 1
	s_xor_b64 exec, exec, s[44:45]
	s_cbranch_execnz .LBB2_4950
.LBB2_4396:                             ;   in Loop: Header=BB2_4283 Depth=3
	s_or_b64 exec, exec, s[44:45]
	s_and_saveexec_b64 s[44:45], s[42:43]
.LBB2_4397:                             ;   in Loop: Header=BB2_4283 Depth=3
	v_cndmask_b32_e64 v24, v1, v49, s[40:41]
.LBB2_4398:                             ;   in Loop: Header=BB2_4283 Depth=3
	s_or_b64 exec, exec, s[44:45]
	v_max_f32_e32 v1, v24, v24
	v_max_f32_e32 v3, v21, v21
	v_min_f32_e32 v24, v3, v1
.LBB2_4399:                             ;   in Loop: Header=BB2_4283 Depth=3
	v_and_b32_e32 v34, 0x7f800000, v24
	v_cmp_ne_u64_e32 vcc, s[90:91], v[34:35]
                                        ; implicit-def: $vgpr21
	s_and_saveexec_b64 s[40:41], vcc
	s_xor_b64 s[42:43], exec, s[40:41]
	s_cbranch_execz .LBB2_4413
; %bb.4400:                             ;   in Loop: Header=BB2_4283 Depth=3
	v_and_b32_e32 v34, 0x7fffffff, v24
	v_cmp_gt_u64_e32 vcc, s[92:93], v[34:35]
	v_and_b32_sdwa v1, v24, s59 dst_sel:DWORD dst_unused:UNUSED_PAD src0_sel:BYTE_3 src1_sel:DWORD
                                        ; implicit-def: $vgpr21
	s_and_saveexec_b64 s[40:41], vcc
	s_xor_b64 s[44:45], exec, s[40:41]
	s_cbranch_execz .LBB2_4410
; %bb.4401:                             ;   in Loop: Header=BB2_4283 Depth=3
	v_mov_b32_e32 v21, 0
	v_cmp_ne_u32_e32 vcc, 0, v24
	s_and_saveexec_b64 s[46:47], vcc
	s_cbranch_execz .LBB2_4409
; %bb.4402:                             ;   in Loop: Header=BB2_4283 Depth=3
	v_bfe_u32 v21, v24, 23, 8
	v_cmp_gt_u32_e64 s[40:41], s56, v21
	v_sub_u32_e32 v4, 0x79, v21
	v_and_b32_e32 v3, 0x7fffff, v24
	v_cmp_eq_u32_e32 vcc, 0, v21
	v_cndmask_b32_e64 v4, 0, v4, s[40:41]
	v_mov_b32_e32 v24, 0x78
	v_or_b32_e32 v25, 0x800000, v3
	v_cndmask_b32_e32 v24, v4, v24, vcc
	v_cndmask_b32_e32 v34, v25, v3, vcc
	v_add_u32_e32 v3, 20, v24
	v_lshlrev_b64 v[30:31], v3, -1
	v_add_u32_e32 v3, 19, v24
	v_lshlrev_b64 v[38:39], v3, 1
	v_lshrrev_b64 v[57:58], v24, v[34:35]
	v_bfi_b32 v31, v31, 0, 0
	v_bfi_b32 v30, v30, 0, v34
	v_cmp_eq_u64_e64 s[40:41], v[30:31], v[38:39]
	v_mov_b32_e32 v59, v58
	v_mov_b32_e32 v58, v57
	s_and_saveexec_b64 s[52:53], s[40:41]
; %bb.4403:                             ;   in Loop: Header=BB2_4283 Depth=3
	v_bfe_u32 v3, v57, 20, 1
	v_add_co_u32_e64 v3, s[40:41], v57, v3
	v_add_co_u32_e64 v58, s[40:41], -1, v3
; %bb.4404:                             ;   in Loop: Header=BB2_4283 Depth=3
	s_or_b64 exec, exec, s[52:53]
	v_add_u32_e32 v3, 0xffffff81, v21
	v_cndmask_b32_e32 v3, v3, v52, vcc
	v_lshrrev_b32_e32 v4, 23, v57
	v_add3_u32 v25, v24, v3, v4
	v_add_u32_e32 v24, 6, v25
	v_and_b32_e32 v3, 0xfffff, v58
	v_add_u32_e32 v34, v3, v57
	v_cmp_ne_u32_e32 vcc, 0, v24
                                        ; implicit-def: $vgpr57_vgpr58
                                        ; implicit-def: $vgpr21
	s_and_saveexec_b64 s[40:41], vcc
	s_xor_b64 s[40:41], exec, s[40:41]
; %bb.4405:                             ;   in Loop: Header=BB2_4283 Depth=3
	v_cmp_lt_u64_e32 vcc, s[94:95], v[34:35]
	v_add_u32_e32 v3, 7, v25
	v_cndmask_b32_e32 v21, v24, v3, vcc
	v_cndmask_b32_e64 v3, 0, 1, vcc
	v_lshrrev_b64 v[57:58], v3, v[34:35]
; %bb.4406:                             ;   in Loop: Header=BB2_4283 Depth=3
	s_andn2_saveexec_b64 s[40:41], s[40:41]
; %bb.4407:                             ;   in Loop: Header=BB2_4283 Depth=3
	v_mov_b32_e32 v58, v35
	v_bfe_u32 v21, v34, 23, 1
	v_mov_b32_e32 v57, v34
; %bb.4408:                             ;   in Loop: Header=BB2_4283 Depth=3
	s_or_b64 exec, exec, s[40:41]
	v_lshrrev_b64 v[24:25], 20, v[57:58]
	v_cmp_gt_i32_e32 vcc, 16, v21
	v_cndmask_b32_e32 v25, 0, v25, vcc
	v_cndmask_b32_e32 v24, 7, v24, vcc
	v_min_i32_e32 v3, 15, v21
	v_cmp_eq_u64_e64 s[40:41], 0, v[24:25]
	v_lshlrev_b32_e32 v3, 3, v3
	v_cmp_eq_u32_e32 vcc, 0, v21
	v_and_b32_e32 v3, 0xf8, v3
	v_and_or_b32 v3, v24, 7, v3
	s_and_b64 s[40:41], vcc, s[40:41]
	v_cndmask_b32_e64 v3, v3, 0, s[40:41]
	v_or_b32_e32 v21, v3, v1
.LBB2_4409:                             ;   in Loop: Header=BB2_4283 Depth=3
	s_or_b64 exec, exec, s[46:47]
                                        ; implicit-def: $vgpr1
.LBB2_4410:                             ;   in Loop: Header=BB2_4283 Depth=3
	s_andn2_saveexec_b64 s[40:41], s[44:45]
; %bb.4411:                             ;   in Loop: Header=BB2_4283 Depth=3
	v_or_b32_e32 v21, 0x7e, v1
; %bb.4412:                             ;   in Loop: Header=BB2_4283 Depth=3
	s_or_b64 exec, exec, s[40:41]
                                        ; implicit-def: $vgpr24
.LBB2_4413:                             ;   in Loop: Header=BB2_4283 Depth=3
	s_andn2_saveexec_b64 s[40:41], s[42:43]
; %bb.4414:                             ;   in Loop: Header=BB2_4283 Depth=3
	v_or_b32_sdwa v21, v24, s97 dst_sel:DWORD dst_unused:UNUSED_PAD src0_sel:BYTE_3 src1_sel:DWORD
; %bb.4415:                             ;   in Loop: Header=BB2_4283 Depth=3
	s_or_b64 exec, exec, s[40:41]
	v_bfe_u32 v3, v12, 24, 3
	v_bfe_u32 v4, v12, 24, 7
	v_cmp_eq_u32_e64 s[44:45], s97, v4
	v_cmp_gt_u32_e32 vcc, 8, v4
	v_ffbh_u32_e32 v4, v3
	v_min_u32_e32 v4, 32, v4
	v_lshrrev_b32_e32 v1, 24, v12
	v_subrev_u32_e32 v24, 28, v4
	v_lshlrev_b64 v[24:25], v24, v[1:2]
	v_bfe_u32 v31, v1, 3, 4
	v_cmp_eq_u32_e64 s[42:43], s59, v1
	v_sub_u32_e32 v1, 29, v4
	v_and_b32_e32 v4, 7, v24
	v_cndmask_b32_e32 v1, v31, v1, vcc
	v_cndmask_b32_e32 v3, v3, v4, vcc
	v_lshlrev_b32_e32 v3, 20, v3
	v_and_b32_e32 v4, 0x80000000, v12
	v_lshl_add_u32 v1, v1, 23, v48
	v_lshrrev_b32_e32 v30, 24, v8
	v_cmp_gt_u32_e64 s[40:41], s61, v12
	v_or3_b32 v1, v4, v1, v3
	v_cmp_lt_u32_e64 s[46:47], s63, v8
	s_mov_b64 s[52:53], -1
	s_and_b64 vcc, exec, s[50:51]
                                        ; implicit-def: $vgpr24
	s_cbranch_vccz .LBB2_4423
; %bb.4416:                             ;   in Loop: Header=BB2_4283 Depth=3
	v_mov_b32_e32 v24, 0
	s_and_saveexec_b64 s[52:53], s[46:47]
	s_cbranch_execz .LBB2_4422
; %bb.4417:                             ;   in Loop: Header=BB2_4283 Depth=3
	v_cmp_ne_u32_e32 vcc, s59, v30
	v_bfrev_b32_e32 v24, 1
	s_and_saveexec_b64 s[54:55], vcc
	s_cbranch_execz .LBB2_4421
; %bb.4418:                             ;   in Loop: Header=BB2_4283 Depth=3
	v_bfe_u32 v25, v8, 24, 7
	v_cmp_ne_u32_e32 vcc, s97, v25
	v_mov_b32_e32 v24, 0x7f800001
	s_and_saveexec_b64 s[64:65], vcc
	s_cbranch_execz .LBB2_4420
; %bb.4419:                             ;   in Loop: Header=BB2_4283 Depth=3
	v_and_b32_e32 v3, 7, v30
	v_ffbh_u32_e32 v24, v3
	v_min_u32_e32 v31, 32, v24
	v_subrev_u32_e32 v24, 28, v31
	v_lshrrev_b32_e32 v4, 3, v25
	v_cmp_gt_u32_e32 vcc, 8, v25
	v_lshlrev_b64 v[24:25], v24, v[30:31]
	v_sub_u32_e32 v25, 29, v31
	v_and_b32_e32 v24, 7, v24
	v_cndmask_b32_e32 v4, v4, v25, vcc
	v_cndmask_b32_e32 v3, v3, v24, vcc
	v_lshlrev_b32_e32 v24, 24, v30
	v_lshlrev_b32_e32 v3, 20, v3
	v_and_b32_e32 v24, 0x80000000, v24
	v_lshl_add_u32 v4, v4, 23, v48
	v_or3_b32 v24, v24, v4, v3
.LBB2_4420:                             ;   in Loop: Header=BB2_4283 Depth=3
	s_or_b64 exec, exec, s[64:65]
.LBB2_4421:                             ;   in Loop: Header=BB2_4283 Depth=3
	s_or_b64 exec, exec, s[54:55]
.LBB2_4422:                             ;   in Loop: Header=BB2_4283 Depth=3
	s_or_b64 exec, exec, s[52:53]
	v_cndmask_b32_e64 v3, v1, v49, s[44:45]
	v_cndmask_b32_e64 v3, v3, v0, s[42:43]
	;; [unrolled: 1-line block ×3, first 2 shown]
	v_max_f32_e32 v3, v3, v3
	v_max_f32_e32 v4, v24, v24
	;; [unrolled: 1-line block ×3, first 2 shown]
	s_mov_b64 s[52:53], 0
.LBB2_4423:                             ;   in Loop: Header=BB2_4283 Depth=3
	s_and_b64 vcc, exec, s[52:53]
	s_cbranch_vccz .LBB2_4431
; %bb.4424:                             ;   in Loop: Header=BB2_4283 Depth=3
	v_mov_b32_e32 v24, 0
	s_and_saveexec_b64 s[52:53], s[46:47]
	s_cbranch_execz .LBB2_4430
; %bb.4425:                             ;   in Loop: Header=BB2_4283 Depth=3
	v_cmp_ne_u32_e32 vcc, s59, v30
	v_bfrev_b32_e32 v24, 1
	s_and_saveexec_b64 s[46:47], vcc
	s_cbranch_execz .LBB2_4429
; %bb.4426:                             ;   in Loop: Header=BB2_4283 Depth=3
	v_bfe_u32 v25, v8, 24, 7
	v_cmp_ne_u32_e32 vcc, s97, v25
	v_mov_b32_e32 v24, 0x7f800001
	s_and_saveexec_b64 s[54:55], vcc
	s_cbranch_execz .LBB2_4428
; %bb.4427:                             ;   in Loop: Header=BB2_4283 Depth=3
	v_and_b32_e32 v3, 7, v30
	v_ffbh_u32_e32 v24, v3
	v_min_u32_e32 v31, 32, v24
	v_subrev_u32_e32 v24, 28, v31
	v_lshrrev_b32_e32 v4, 3, v25
	v_cmp_gt_u32_e32 vcc, 8, v25
	v_lshlrev_b64 v[24:25], v24, v[30:31]
	v_sub_u32_e32 v25, 29, v31
	v_and_b32_e32 v24, 7, v24
	v_cndmask_b32_e32 v4, v4, v25, vcc
	v_cndmask_b32_e32 v3, v3, v24, vcc
	v_lshlrev_b32_e32 v24, 24, v30
	v_lshlrev_b32_e32 v3, 20, v3
	v_and_b32_e32 v24, 0x80000000, v24
	v_lshl_add_u32 v4, v4, 23, v48
	v_or3_b32 v24, v24, v4, v3
.LBB2_4428:                             ;   in Loop: Header=BB2_4283 Depth=3
	s_or_b64 exec, exec, s[54:55]
.LBB2_4429:                             ;   in Loop: Header=BB2_4283 Depth=3
	s_or_b64 exec, exec, s[46:47]
.LBB2_4430:                             ;   in Loop: Header=BB2_4283 Depth=3
	s_or_b64 exec, exec, s[52:53]
	v_cndmask_b32_e64 v1, v1, v49, s[44:45]
	v_cndmask_b32_e64 v1, v1, v0, s[42:43]
	;; [unrolled: 1-line block ×3, first 2 shown]
	v_max_f32_e32 v1, v1, v1
	v_max_f32_e32 v3, v24, v24
	v_min_f32_e32 v24, v3, v1
.LBB2_4431:                             ;   in Loop: Header=BB2_4283 Depth=3
	v_and_b32_e32 v34, 0x7f800000, v24
	v_cmp_ne_u64_e32 vcc, s[90:91], v[34:35]
                                        ; implicit-def: $vgpr36
	s_and_saveexec_b64 s[40:41], vcc
	s_xor_b64 s[42:43], exec, s[40:41]
	s_cbranch_execz .LBB2_4445
; %bb.4432:                             ;   in Loop: Header=BB2_4283 Depth=3
	v_and_b32_e32 v34, 0x7fffffff, v24
	v_cmp_gt_u64_e32 vcc, s[92:93], v[34:35]
	v_and_b32_sdwa v1, v24, s59 dst_sel:DWORD dst_unused:UNUSED_PAD src0_sel:BYTE_3 src1_sel:DWORD
                                        ; implicit-def: $vgpr36
	s_and_saveexec_b64 s[40:41], vcc
	s_xor_b64 s[44:45], exec, s[40:41]
	s_cbranch_execz .LBB2_4442
; %bb.4433:                             ;   in Loop: Header=BB2_4283 Depth=3
	v_mov_b32_e32 v36, 0
	v_cmp_ne_u32_e32 vcc, 0, v24
	s_and_saveexec_b64 s[46:47], vcc
	s_cbranch_execz .LBB2_4441
; %bb.4434:                             ;   in Loop: Header=BB2_4283 Depth=3
	v_and_b32_e32 v3, 0x7fffff, v24
	v_bfe_u32 v24, v24, 23, 8
	v_cmp_gt_u32_e64 s[40:41], s56, v24
	v_sub_u32_e32 v4, 0x79, v24
	v_cmp_eq_u32_e32 vcc, 0, v24
	v_cndmask_b32_e64 v4, 0, v4, s[40:41]
	v_mov_b32_e32 v25, 0x78
	v_or_b32_e32 v30, 0x800000, v3
	v_cndmask_b32_e32 v25, v4, v25, vcc
	v_cndmask_b32_e32 v34, v30, v3, vcc
	v_add_u32_e32 v3, 20, v25
	v_lshlrev_b64 v[30:31], v3, -1
	v_add_u32_e32 v3, 19, v25
	v_lshlrev_b64 v[38:39], v3, 1
	v_lshrrev_b64 v[57:58], v25, v[34:35]
	v_bfi_b32 v31, v31, 0, 0
	v_bfi_b32 v30, v30, 0, v34
	v_cmp_eq_u64_e64 s[40:41], v[30:31], v[38:39]
	v_mov_b32_e32 v59, v58
	v_mov_b32_e32 v58, v57
	s_and_saveexec_b64 s[52:53], s[40:41]
; %bb.4435:                             ;   in Loop: Header=BB2_4283 Depth=3
	v_bfe_u32 v3, v57, 20, 1
	v_add_co_u32_e64 v3, s[40:41], v57, v3
	v_add_co_u32_e64 v58, s[40:41], -1, v3
; %bb.4436:                             ;   in Loop: Header=BB2_4283 Depth=3
	s_or_b64 exec, exec, s[52:53]
	v_add_u32_e32 v3, 0xffffff81, v24
	v_cndmask_b32_e32 v3, v3, v52, vcc
	v_lshrrev_b32_e32 v4, 23, v57
	v_add3_u32 v30, v25, v3, v4
	v_add_u32_e32 v25, 6, v30
	v_and_b32_e32 v3, 0xfffff, v58
	v_add_u32_e32 v34, v3, v57
	v_cmp_ne_u32_e32 vcc, 0, v25
                                        ; implicit-def: $vgpr57_vgpr58
                                        ; implicit-def: $vgpr24
	s_and_saveexec_b64 s[40:41], vcc
	s_xor_b64 s[40:41], exec, s[40:41]
; %bb.4437:                             ;   in Loop: Header=BB2_4283 Depth=3
	v_cmp_lt_u64_e32 vcc, s[94:95], v[34:35]
	v_add_u32_e32 v3, 7, v30
	v_cndmask_b32_e32 v24, v25, v3, vcc
	v_cndmask_b32_e64 v3, 0, 1, vcc
	v_lshrrev_b64 v[57:58], v3, v[34:35]
; %bb.4438:                             ;   in Loop: Header=BB2_4283 Depth=3
	s_andn2_saveexec_b64 s[40:41], s[40:41]
; %bb.4439:                             ;   in Loop: Header=BB2_4283 Depth=3
	v_mov_b32_e32 v58, v35
	v_bfe_u32 v24, v34, 23, 1
	v_mov_b32_e32 v57, v34
; %bb.4440:                             ;   in Loop: Header=BB2_4283 Depth=3
	s_or_b64 exec, exec, s[40:41]
	v_lshrrev_b64 v[30:31], 20, v[57:58]
	v_cmp_gt_i32_e32 vcc, 16, v24
	v_cndmask_b32_e32 v31, 0, v31, vcc
	v_cndmask_b32_e32 v30, 7, v30, vcc
	v_min_i32_e32 v3, 15, v24
	v_cmp_eq_u64_e64 s[40:41], 0, v[30:31]
	v_lshlrev_b32_e32 v3, 3, v3
	v_cmp_eq_u32_e32 vcc, 0, v24
	v_and_b32_e32 v3, 0xf8, v3
	v_and_or_b32 v3, v30, 7, v3
	s_and_b64 s[40:41], vcc, s[40:41]
	v_cndmask_b32_e64 v3, v3, 0, s[40:41]
	v_or_b32_e32 v36, v3, v1
.LBB2_4441:                             ;   in Loop: Header=BB2_4283 Depth=3
	s_or_b64 exec, exec, s[46:47]
                                        ; implicit-def: $vgpr1
.LBB2_4442:                             ;   in Loop: Header=BB2_4283 Depth=3
	s_andn2_saveexec_b64 s[40:41], s[44:45]
; %bb.4443:                             ;   in Loop: Header=BB2_4283 Depth=3
	v_or_b32_e32 v36, 0x7e, v1
; %bb.4444:                             ;   in Loop: Header=BB2_4283 Depth=3
	s_or_b64 exec, exec, s[40:41]
                                        ; implicit-def: $vgpr24
.LBB2_4445:                             ;   in Loop: Header=BB2_4283 Depth=3
	s_andn2_saveexec_b64 s[40:41], s[42:43]
; %bb.4446:                             ;   in Loop: Header=BB2_4283 Depth=3
	v_or_b32_sdwa v36, v24, s97 dst_sel:DWORD dst_unused:UNUSED_PAD src0_sel:BYTE_3 src1_sel:DWORD
; %bb.4447:                             ;   in Loop: Header=BB2_4283 Depth=3
	s_or_b64 exec, exec, s[40:41]
	v_and_b32_e32 v1, 7, v13
	v_ffbh_u32_e32 v1, v1
	v_and_b32_e32 v3, 0x7f, v13
	v_min_u32_e32 v1, 32, v1
	v_cmp_eq_u32_e64 s[40:41], s97, v3
	v_cmp_gt_u32_e32 vcc, 8, v3
	v_subrev_u32_e32 v3, 28, v1
	v_mov_b32_e32 v34, v13
	v_cndmask_b32_e32 v3, 0, v3, vcc
	v_lshlrev_b64 v[24:25], v3, v[34:35]
	v_bfe_u32 v4, v13, 3, 4
	v_sub_u32_e32 v1, 29, v1
	v_cndmask_b32_e32 v1, v4, v1, vcc
	v_lshlrev_b32_e32 v3, 20, v24
	v_lshlrev_b32_e32 v4, 24, v13
	v_and_b32_e32 v3, 0x700000, v3
	v_and_b32_e32 v4, 0x80000000, v4
	v_lshl_add_u32 v1, v1, 23, v48
	v_or3_b32 v1, v4, v1, v3
	v_mov_b32_e32 v57, v9
	v_mov_b32_e32 v58, v35
	v_cmp_ne_u16_sdwa s[42:43], v9, v35 src0_sel:BYTE_0 src1_sel:DWORD
	s_mov_b64 s[44:45], -1
	s_and_b64 vcc, exec, s[50:51]
                                        ; implicit-def: $vgpr24
	s_cbranch_vccz .LBB2_4461
; %bb.4448:                             ;   in Loop: Header=BB2_4283 Depth=3
	v_mov_b32_e32 v24, 0
	s_and_saveexec_b64 s[44:45], s[42:43]
	s_cbranch_execz .LBB2_4454
; %bb.4449:                             ;   in Loop: Header=BB2_4283 Depth=3
	v_cmp_ne_u16_sdwa vcc, v9, s59 src0_sel:BYTE_0 src1_sel:DWORD
	v_bfrev_b32_e32 v24, 1
	s_and_saveexec_b64 s[46:47], vcc
	s_cbranch_execz .LBB2_4453
; %bb.4450:                             ;   in Loop: Header=BB2_4283 Depth=3
	v_and_b32_e32 v25, 0x7f, v9
	v_cmp_ne_u32_e32 vcc, s97, v25
	v_mov_b32_e32 v24, 0x7f800001
	s_and_saveexec_b64 s[52:53], vcc
	s_cbranch_execz .LBB2_4452
; %bb.4451:                             ;   in Loop: Header=BB2_4283 Depth=3
	v_and_b32_e32 v3, 7, v9
	v_ffbh_u32_e32 v3, v3
	v_min_u32_e32 v3, 32, v3
	v_lshrrev_b32_e32 v4, 3, v25
	v_cmp_gt_u32_e32 vcc, 8, v25
	v_subrev_u32_e32 v24, 28, v3
	v_sub_u32_e32 v3, 29, v3
	v_cndmask_b32_e32 v3, v4, v3, vcc
	v_cndmask_b32_e32 v4, 0, v24, vcc
	v_lshlrev_b64 v[24:25], v4, v[57:58]
	v_lshl_add_u32 v3, v3, 23, v48
	v_lshlrev_b32_e32 v4, 20, v24
	v_lshlrev_b32_e32 v24, 24, v57
	v_and_b32_e32 v4, 0x700000, v4
	v_and_b32_e32 v24, 0x80000000, v24
	v_or3_b32 v24, v24, v3, v4
.LBB2_4452:                             ;   in Loop: Header=BB2_4283 Depth=3
	s_or_b64 exec, exec, s[52:53]
.LBB2_4453:                             ;   in Loop: Header=BB2_4283 Depth=3
	s_or_b64 exec, exec, s[46:47]
.LBB2_4454:                             ;   in Loop: Header=BB2_4283 Depth=3
	s_or_b64 exec, exec, s[44:45]
	v_cmp_gt_i16_sdwa s[46:47], v13, s97 src0_sel:BYTE_0 src1_sel:DWORD
	s_mov_b64 s[44:45], 0
	s_and_saveexec_b64 vcc, s[46:47]
	s_xor_b64 s[46:47], exec, vcc
	s_cbranch_execz .LBB2_4951
; %bb.4455:                             ;   in Loop: Header=BB2_4283 Depth=3
	v_cmp_eq_u16_sdwa s[52:53], v13, s59 src0_sel:BYTE_0 src1_sel:DWORD
	s_mov_b64 s[44:45], -1
	s_and_saveexec_b64 vcc, s[52:53]
; %bb.4456:                             ;   in Loop: Header=BB2_4283 Depth=3
	s_xor_b64 s[44:45], exec, -1
; %bb.4457:                             ;   in Loop: Header=BB2_4283 Depth=3
	s_or_b64 exec, exec, vcc
	s_and_b64 s[44:45], s[44:45], exec
	s_or_saveexec_b64 s[46:47], s[46:47]
	v_bfrev_b32_e32 v25, 1
	s_xor_b64 exec, exec, s[46:47]
	s_cbranch_execnz .LBB2_4952
.LBB2_4458:                             ;   in Loop: Header=BB2_4283 Depth=3
	s_or_b64 exec, exec, s[46:47]
	s_and_saveexec_b64 s[46:47], s[44:45]
.LBB2_4459:                             ;   in Loop: Header=BB2_4283 Depth=3
	v_cndmask_b32_e64 v25, v1, v49, s[40:41]
.LBB2_4460:                             ;   in Loop: Header=BB2_4283 Depth=3
	s_or_b64 exec, exec, s[46:47]
	v_max_f32_e32 v3, v25, v25
	v_max_f32_e32 v4, v24, v24
	;; [unrolled: 1-line block ×3, first 2 shown]
	s_mov_b64 s[44:45], 0
.LBB2_4461:                             ;   in Loop: Header=BB2_4283 Depth=3
	s_and_b64 vcc, exec, s[44:45]
	s_cbranch_vccz .LBB2_4475
; %bb.4462:                             ;   in Loop: Header=BB2_4283 Depth=3
	v_mov_b32_e32 v24, 0
	s_and_saveexec_b64 s[44:45], s[42:43]
	s_cbranch_execz .LBB2_4468
; %bb.4463:                             ;   in Loop: Header=BB2_4283 Depth=3
	v_cmp_ne_u16_sdwa s[46:47], v9, s59 src0_sel:BYTE_0 src1_sel:DWORD
	v_bfrev_b32_e32 v24, 1
	s_and_saveexec_b64 s[42:43], s[46:47]
	s_cbranch_execz .LBB2_4467
; %bb.4464:                             ;   in Loop: Header=BB2_4283 Depth=3
	v_and_b32_e32 v25, 0x7f, v9
	v_cmp_ne_u32_e32 vcc, s97, v25
	v_mov_b32_e32 v24, 0x7f800001
	s_and_saveexec_b64 s[46:47], vcc
	s_cbranch_execz .LBB2_4466
; %bb.4465:                             ;   in Loop: Header=BB2_4283 Depth=3
	v_and_b32_e32 v3, 7, v9
	v_ffbh_u32_e32 v3, v3
	v_min_u32_e32 v3, 32, v3
	v_lshrrev_b32_e32 v4, 3, v25
	v_cmp_gt_u32_e32 vcc, 8, v25
	v_subrev_u32_e32 v24, 28, v3
	v_sub_u32_e32 v3, 29, v3
	v_cndmask_b32_e32 v3, v4, v3, vcc
	v_cndmask_b32_e32 v4, 0, v24, vcc
	v_lshlrev_b64 v[24:25], v4, v[57:58]
	v_lshl_add_u32 v3, v3, 23, v48
	v_lshlrev_b32_e32 v4, 20, v24
	v_lshlrev_b32_e32 v24, 24, v57
	v_and_b32_e32 v4, 0x700000, v4
	v_and_b32_e32 v24, 0x80000000, v24
	v_or3_b32 v24, v24, v3, v4
.LBB2_4466:                             ;   in Loop: Header=BB2_4283 Depth=3
	s_or_b64 exec, exec, s[46:47]
.LBB2_4467:                             ;   in Loop: Header=BB2_4283 Depth=3
	s_or_b64 exec, exec, s[42:43]
.LBB2_4468:                             ;   in Loop: Header=BB2_4283 Depth=3
	s_or_b64 exec, exec, s[44:45]
	v_cmp_gt_i16_sdwa s[44:45], v13, s97 src0_sel:BYTE_0 src1_sel:DWORD
	s_mov_b64 s[42:43], 0
	s_and_saveexec_b64 s[46:47], s[44:45]
	s_xor_b64 s[44:45], exec, s[46:47]
	s_cbranch_execz .LBB2_4953
; %bb.4469:                             ;   in Loop: Header=BB2_4283 Depth=3
	v_cmp_eq_u16_sdwa vcc, v13, s59 src0_sel:BYTE_0 src1_sel:DWORD
	s_mov_b64 s[42:43], -1
	s_and_saveexec_b64 s[46:47], vcc
; %bb.4470:                             ;   in Loop: Header=BB2_4283 Depth=3
	s_xor_b64 s[42:43], exec, -1
; %bb.4471:                             ;   in Loop: Header=BB2_4283 Depth=3
	s_or_b64 exec, exec, s[46:47]
	s_and_b64 s[42:43], s[42:43], exec
	s_or_saveexec_b64 s[44:45], s[44:45]
	v_bfrev_b32_e32 v25, 1
	s_xor_b64 exec, exec, s[44:45]
	s_cbranch_execnz .LBB2_4954
.LBB2_4472:                             ;   in Loop: Header=BB2_4283 Depth=3
	s_or_b64 exec, exec, s[44:45]
	s_and_saveexec_b64 s[44:45], s[42:43]
.LBB2_4473:                             ;   in Loop: Header=BB2_4283 Depth=3
	v_cndmask_b32_e64 v25, v1, v49, s[40:41]
.LBB2_4474:                             ;   in Loop: Header=BB2_4283 Depth=3
	s_or_b64 exec, exec, s[44:45]
	v_max_f32_e32 v1, v25, v25
	v_max_f32_e32 v3, v24, v24
	v_min_f32_e32 v24, v3, v1
.LBB2_4475:                             ;   in Loop: Header=BB2_4283 Depth=3
	v_and_b32_e32 v30, 0x7f800000, v24
	v_mov_b32_e32 v31, v35
	v_cmp_ne_u64_e32 vcc, s[90:91], v[30:31]
                                        ; implicit-def: $vgpr38
	s_and_saveexec_b64 s[40:41], vcc
	s_xor_b64 s[42:43], exec, s[40:41]
	s_cbranch_execz .LBB2_4489
; %bb.4476:                             ;   in Loop: Header=BB2_4283 Depth=3
	v_and_b32_e32 v30, 0x7fffffff, v24
	v_mov_b32_e32 v31, v35
	v_cmp_gt_u64_e32 vcc, s[92:93], v[30:31]
	v_and_b32_sdwa v1, v24, s59 dst_sel:DWORD dst_unused:UNUSED_PAD src0_sel:BYTE_3 src1_sel:DWORD
                                        ; implicit-def: $vgpr38
	s_and_saveexec_b64 s[40:41], vcc
	s_xor_b64 s[44:45], exec, s[40:41]
	s_cbranch_execz .LBB2_4486
; %bb.4477:                             ;   in Loop: Header=BB2_4283 Depth=3
	v_mov_b32_e32 v38, 0
	v_cmp_ne_u32_e32 vcc, 0, v24
	s_and_saveexec_b64 s[46:47], vcc
	s_cbranch_execz .LBB2_4485
; %bb.4478:                             ;   in Loop: Header=BB2_4283 Depth=3
	v_and_b32_e32 v3, 0x7fffff, v24
	v_bfe_u32 v24, v24, 23, 8
	v_cmp_gt_u32_e64 s[40:41], s56, v24
	v_sub_u32_e32 v4, 0x79, v24
	v_cmp_eq_u32_e32 vcc, 0, v24
	v_cndmask_b32_e64 v4, 0, v4, s[40:41]
	v_mov_b32_e32 v25, 0x78
	v_or_b32_e32 v30, 0x800000, v3
	v_cndmask_b32_e32 v25, v4, v25, vcc
	v_cndmask_b32_e32 v30, v30, v3, vcc
	v_add_u32_e32 v3, 20, v25
	v_mov_b32_e32 v31, v35
	v_lshlrev_b64 v[38:39], v3, -1
	v_add_u32_e32 v3, 19, v25
	v_lshlrev_b64 v[40:41], v3, 1
	v_lshrrev_b64 v[58:59], v25, v[30:31]
	v_bfi_b32 v39, v39, 0, 0
	v_bfi_b32 v38, v38, 0, v30
	v_cmp_eq_u64_e64 s[40:41], v[38:39], v[40:41]
	v_mov_b32_e32 v60, v59
	v_mov_b32_e32 v59, v58
	s_and_saveexec_b64 s[52:53], s[40:41]
; %bb.4479:                             ;   in Loop: Header=BB2_4283 Depth=3
	v_bfe_u32 v3, v58, 20, 1
	v_add_co_u32_e64 v3, s[40:41], v58, v3
	v_add_co_u32_e64 v59, s[40:41], -1, v3
; %bb.4480:                             ;   in Loop: Header=BB2_4283 Depth=3
	s_or_b64 exec, exec, s[52:53]
	v_add_u32_e32 v3, 0xffffff81, v24
	v_cndmask_b32_e32 v3, v3, v52, vcc
	v_lshrrev_b32_e32 v4, 23, v58
	v_add3_u32 v30, v25, v3, v4
	v_add_u32_e32 v25, 6, v30
	v_and_b32_e32 v3, 0xfffff, v59
	v_add_u32_e32 v58, v3, v58
	v_mov_b32_e32 v59, v35
	v_cmp_ne_u32_e32 vcc, 0, v25
                                        ; implicit-def: $vgpr24
	s_and_saveexec_b64 s[40:41], vcc
	s_xor_b64 s[40:41], exec, s[40:41]
; %bb.4481:                             ;   in Loop: Header=BB2_4283 Depth=3
	v_cmp_lt_u64_e32 vcc, s[94:95], v[58:59]
	v_add_u32_e32 v3, 7, v30
	v_cndmask_b32_e32 v24, v25, v3, vcc
	v_cndmask_b32_e64 v3, 0, 1, vcc
	v_lshrrev_b64 v[58:59], v3, v[58:59]
; %bb.4482:                             ;   in Loop: Header=BB2_4283 Depth=3
	s_andn2_saveexec_b64 s[40:41], s[40:41]
; %bb.4483:                             ;   in Loop: Header=BB2_4283 Depth=3
	v_bfe_u32 v24, v58, 23, 1
; %bb.4484:                             ;   in Loop: Header=BB2_4283 Depth=3
	s_or_b64 exec, exec, s[40:41]
	v_lshrrev_b64 v[30:31], 20, v[58:59]
	v_cmp_gt_i32_e32 vcc, 16, v24
	v_cndmask_b32_e32 v31, 0, v31, vcc
	v_cndmask_b32_e32 v30, 7, v30, vcc
	v_min_i32_e32 v3, 15, v24
	v_cmp_eq_u64_e64 s[40:41], 0, v[30:31]
	v_lshlrev_b32_e32 v3, 3, v3
	v_cmp_eq_u32_e32 vcc, 0, v24
	v_and_b32_e32 v3, 0xf8, v3
	v_and_or_b32 v3, v30, 7, v3
	s_and_b64 s[40:41], vcc, s[40:41]
	v_cndmask_b32_e64 v3, v3, 0, s[40:41]
	v_or_b32_e32 v38, v3, v1
.LBB2_4485:                             ;   in Loop: Header=BB2_4283 Depth=3
	s_or_b64 exec, exec, s[46:47]
                                        ; implicit-def: $vgpr1
.LBB2_4486:                             ;   in Loop: Header=BB2_4283 Depth=3
	s_andn2_saveexec_b64 s[40:41], s[44:45]
; %bb.4487:                             ;   in Loop: Header=BB2_4283 Depth=3
	v_or_b32_e32 v38, 0x7e, v1
; %bb.4488:                             ;   in Loop: Header=BB2_4283 Depth=3
	s_or_b64 exec, exec, s[40:41]
                                        ; implicit-def: $vgpr24
.LBB2_4489:                             ;   in Loop: Header=BB2_4283 Depth=3
	s_andn2_saveexec_b64 s[40:41], s[42:43]
; %bb.4490:                             ;   in Loop: Header=BB2_4283 Depth=3
	v_or_b32_sdwa v38, v24, s97 dst_sel:DWORD dst_unused:UNUSED_PAD src0_sel:BYTE_3 src1_sel:DWORD
; %bb.4491:                             ;   in Loop: Header=BB2_4283 Depth=3
	s_or_b64 exec, exec, s[40:41]
	v_lshrrev_b16_e32 v34, 8, v34
	v_and_b32_e32 v1, 7, v34
	v_and_b32_e32 v3, 0x7f, v34
	v_cmp_eq_u32_e64 s[40:41], s97, v3
	v_cmp_gt_u32_e32 vcc, 8, v3
	v_ffbh_u32_e32 v3, v1
	v_min_u32_e32 v3, 32, v3
	v_subrev_u32_e32 v24, 28, v3
	v_lshlrev_b64 v[24:25], v24, v[34:35]
	v_bfe_u32 v4, v34, 3, 4
	v_sub_u32_e32 v3, 29, v3
	v_and_b32_e32 v24, 7, v24
	v_cndmask_b32_e32 v3, v4, v3, vcc
	v_cndmask_b32_e32 v1, v1, v24, vcc
	v_lshlrev_b32_e32 v4, 24, v34
	v_lshrrev_b16_e32 v30, 8, v57
	v_lshlrev_b32_e32 v1, 20, v1
	v_and_b32_e32 v4, 0x80000000, v4
	v_lshl_add_u32 v3, v3, 23, v48
	v_or3_b32 v1, v4, v3, v1
	v_cmp_ne_u16_e64 s[42:43], 0, v30
	s_mov_b64 s[44:45], -1
	s_and_b64 vcc, exec, s[50:51]
                                        ; implicit-def: $vgpr24
	s_cbranch_vccz .LBB2_4505
; %bb.4492:                             ;   in Loop: Header=BB2_4283 Depth=3
	v_mov_b32_e32 v24, 0
	s_and_saveexec_b64 s[44:45], s[42:43]
	s_cbranch_execz .LBB2_4498
; %bb.4493:                             ;   in Loop: Header=BB2_4283 Depth=3
	v_cmp_ne_u16_e32 vcc, s59, v30
	v_bfrev_b32_e32 v24, 1
	s_and_saveexec_b64 s[46:47], vcc
	s_cbranch_execz .LBB2_4497
; %bb.4494:                             ;   in Loop: Header=BB2_4283 Depth=3
	v_and_b32_e32 v25, 0x7f, v30
	v_cmp_ne_u32_e32 vcc, s97, v25
	v_mov_b32_e32 v24, 0x7f800001
	s_and_saveexec_b64 s[52:53], vcc
	s_cbranch_execz .LBB2_4496
; %bb.4495:                             ;   in Loop: Header=BB2_4283 Depth=3
	v_and_b32_e32 v3, 7, v30
	v_ffbh_u32_e32 v24, v3
	v_min_u32_e32 v31, 32, v24
	v_subrev_u32_e32 v24, 28, v31
	v_lshrrev_b32_e32 v4, 3, v25
	v_cmp_gt_u32_e32 vcc, 8, v25
	v_lshlrev_b64 v[24:25], v24, v[30:31]
	v_sub_u32_e32 v25, 29, v31
	v_and_b32_e32 v24, 7, v24
	v_cndmask_b32_e32 v4, v4, v25, vcc
	v_cndmask_b32_e32 v3, v3, v24, vcc
	v_lshlrev_b32_e32 v24, 16, v57
	v_lshlrev_b32_e32 v3, 20, v3
	v_and_b32_e32 v24, 0x80000000, v24
	v_lshl_add_u32 v4, v4, 23, v48
	v_or3_b32 v24, v24, v4, v3
.LBB2_4496:                             ;   in Loop: Header=BB2_4283 Depth=3
	s_or_b64 exec, exec, s[52:53]
.LBB2_4497:                             ;   in Loop: Header=BB2_4283 Depth=3
	s_or_b64 exec, exec, s[46:47]
.LBB2_4498:                             ;   in Loop: Header=BB2_4283 Depth=3
	s_or_b64 exec, exec, s[44:45]
	v_cmp_lt_i16_e32 vcc, s97, v34
	s_mov_b64 s[44:45], 0
	s_and_saveexec_b64 s[46:47], vcc
	s_xor_b64 s[46:47], exec, s[46:47]
	s_cbranch_execz .LBB2_4955
; %bb.4499:                             ;   in Loop: Header=BB2_4283 Depth=3
	v_cmp_eq_u16_e32 vcc, s59, v34
	s_mov_b64 s[44:45], -1
	s_and_saveexec_b64 s[52:53], vcc
; %bb.4500:                             ;   in Loop: Header=BB2_4283 Depth=3
	s_xor_b64 s[44:45], exec, -1
; %bb.4501:                             ;   in Loop: Header=BB2_4283 Depth=3
	s_or_b64 exec, exec, s[52:53]
	s_and_b64 s[44:45], s[44:45], exec
	s_or_saveexec_b64 s[46:47], s[46:47]
	v_bfrev_b32_e32 v25, 1
	s_xor_b64 exec, exec, s[46:47]
	s_cbranch_execnz .LBB2_4956
.LBB2_4502:                             ;   in Loop: Header=BB2_4283 Depth=3
	s_or_b64 exec, exec, s[46:47]
	s_and_saveexec_b64 s[46:47], s[44:45]
.LBB2_4503:                             ;   in Loop: Header=BB2_4283 Depth=3
	v_cndmask_b32_e64 v25, v1, v49, s[40:41]
.LBB2_4504:                             ;   in Loop: Header=BB2_4283 Depth=3
	s_or_b64 exec, exec, s[46:47]
	v_max_f32_e32 v3, v25, v25
	v_max_f32_e32 v4, v24, v24
	;; [unrolled: 1-line block ×3, first 2 shown]
	s_mov_b64 s[44:45], 0
.LBB2_4505:                             ;   in Loop: Header=BB2_4283 Depth=3
	s_and_b64 vcc, exec, s[44:45]
	s_cbranch_vccz .LBB2_4519
; %bb.4506:                             ;   in Loop: Header=BB2_4283 Depth=3
	v_mov_b32_e32 v24, 0
	s_and_saveexec_b64 s[44:45], s[42:43]
	s_cbranch_execz .LBB2_4512
; %bb.4507:                             ;   in Loop: Header=BB2_4283 Depth=3
	v_cmp_ne_u16_e32 vcc, s59, v30
	v_bfrev_b32_e32 v24, 1
	s_and_saveexec_b64 s[42:43], vcc
	s_cbranch_execz .LBB2_4511
; %bb.4508:                             ;   in Loop: Header=BB2_4283 Depth=3
	v_and_b32_e32 v25, 0x7f, v30
	v_cmp_ne_u32_e32 vcc, s97, v25
	v_mov_b32_e32 v24, 0x7f800001
	s_and_saveexec_b64 s[46:47], vcc
	s_cbranch_execz .LBB2_4510
; %bb.4509:                             ;   in Loop: Header=BB2_4283 Depth=3
	v_and_b32_e32 v3, 7, v30
	v_ffbh_u32_e32 v24, v3
	v_min_u32_e32 v31, 32, v24
	v_subrev_u32_e32 v24, 28, v31
	v_lshrrev_b32_e32 v4, 3, v25
	v_cmp_gt_u32_e32 vcc, 8, v25
	v_lshlrev_b64 v[24:25], v24, v[30:31]
	v_sub_u32_e32 v25, 29, v31
	v_and_b32_e32 v24, 7, v24
	v_cndmask_b32_e32 v4, v4, v25, vcc
	v_cndmask_b32_e32 v3, v3, v24, vcc
	v_lshlrev_b32_e32 v24, 16, v57
	v_lshlrev_b32_e32 v3, 20, v3
	v_and_b32_e32 v24, 0x80000000, v24
	v_lshl_add_u32 v4, v4, 23, v48
	v_or3_b32 v24, v24, v4, v3
.LBB2_4510:                             ;   in Loop: Header=BB2_4283 Depth=3
	s_or_b64 exec, exec, s[46:47]
.LBB2_4511:                             ;   in Loop: Header=BB2_4283 Depth=3
	s_or_b64 exec, exec, s[42:43]
.LBB2_4512:                             ;   in Loop: Header=BB2_4283 Depth=3
	s_or_b64 exec, exec, s[44:45]
	v_cmp_lt_i16_e32 vcc, s97, v34
	s_mov_b64 s[42:43], 0
	s_and_saveexec_b64 s[44:45], vcc
	s_xor_b64 s[44:45], exec, s[44:45]
	s_cbranch_execz .LBB2_4957
; %bb.4513:                             ;   in Loop: Header=BB2_4283 Depth=3
	v_cmp_eq_u16_e32 vcc, s59, v34
	s_mov_b64 s[42:43], -1
	s_and_saveexec_b64 s[46:47], vcc
; %bb.4514:                             ;   in Loop: Header=BB2_4283 Depth=3
	s_xor_b64 s[42:43], exec, -1
; %bb.4515:                             ;   in Loop: Header=BB2_4283 Depth=3
	s_or_b64 exec, exec, s[46:47]
	s_and_b64 s[42:43], s[42:43], exec
	s_or_saveexec_b64 s[44:45], s[44:45]
	v_bfrev_b32_e32 v25, 1
	s_xor_b64 exec, exec, s[44:45]
	s_cbranch_execnz .LBB2_4958
.LBB2_4516:                             ;   in Loop: Header=BB2_4283 Depth=3
	s_or_b64 exec, exec, s[44:45]
	s_and_saveexec_b64 s[44:45], s[42:43]
.LBB2_4517:                             ;   in Loop: Header=BB2_4283 Depth=3
	v_cndmask_b32_e64 v25, v1, v49, s[40:41]
.LBB2_4518:                             ;   in Loop: Header=BB2_4283 Depth=3
	s_or_b64 exec, exec, s[44:45]
	v_max_f32_e32 v1, v25, v25
	v_max_f32_e32 v3, v24, v24
	v_min_f32_e32 v24, v3, v1
.LBB2_4519:                             ;   in Loop: Header=BB2_4283 Depth=3
	v_and_b32_e32 v34, 0x7f800000, v24
	v_cmp_ne_u64_e32 vcc, s[90:91], v[34:35]
                                        ; implicit-def: $vgpr39
	s_and_saveexec_b64 s[40:41], vcc
	s_xor_b64 s[42:43], exec, s[40:41]
	s_cbranch_execz .LBB2_4533
; %bb.4520:                             ;   in Loop: Header=BB2_4283 Depth=3
	v_and_b32_e32 v34, 0x7fffffff, v24
	v_cmp_gt_u64_e32 vcc, s[92:93], v[34:35]
	v_and_b32_sdwa v1, v24, s59 dst_sel:DWORD dst_unused:UNUSED_PAD src0_sel:BYTE_3 src1_sel:DWORD
                                        ; implicit-def: $vgpr39
	s_and_saveexec_b64 s[40:41], vcc
	s_xor_b64 s[44:45], exec, s[40:41]
	s_cbranch_execz .LBB2_4530
; %bb.4521:                             ;   in Loop: Header=BB2_4283 Depth=3
	v_mov_b32_e32 v39, 0
	v_cmp_ne_u32_e32 vcc, 0, v24
	s_and_saveexec_b64 s[46:47], vcc
	s_cbranch_execz .LBB2_4529
; %bb.4522:                             ;   in Loop: Header=BB2_4283 Depth=3
	v_and_b32_e32 v3, 0x7fffff, v24
	v_bfe_u32 v24, v24, 23, 8
	v_cmp_gt_u32_e64 s[40:41], s56, v24
	v_sub_u32_e32 v4, 0x79, v24
	v_cmp_eq_u32_e32 vcc, 0, v24
	v_cndmask_b32_e64 v4, 0, v4, s[40:41]
	v_mov_b32_e32 v25, 0x78
	v_or_b32_e32 v30, 0x800000, v3
	v_cndmask_b32_e32 v25, v4, v25, vcc
	v_cndmask_b32_e32 v34, v30, v3, vcc
	v_add_u32_e32 v3, 20, v25
	v_lshlrev_b64 v[30:31], v3, -1
	v_add_u32_e32 v3, 19, v25
	v_lshlrev_b64 v[39:40], v3, 1
	v_lshrrev_b64 v[57:58], v25, v[34:35]
	v_bfi_b32 v31, v31, 0, 0
	v_bfi_b32 v30, v30, 0, v34
	v_cmp_eq_u64_e64 s[40:41], v[30:31], v[39:40]
	v_mov_b32_e32 v59, v58
	v_mov_b32_e32 v58, v57
	s_and_saveexec_b64 s[52:53], s[40:41]
; %bb.4523:                             ;   in Loop: Header=BB2_4283 Depth=3
	v_bfe_u32 v3, v57, 20, 1
	v_add_co_u32_e64 v3, s[40:41], v57, v3
	v_add_co_u32_e64 v58, s[40:41], -1, v3
; %bb.4524:                             ;   in Loop: Header=BB2_4283 Depth=3
	s_or_b64 exec, exec, s[52:53]
	v_add_u32_e32 v3, 0xffffff81, v24
	v_cndmask_b32_e32 v3, v3, v52, vcc
	v_lshrrev_b32_e32 v4, 23, v57
	v_add3_u32 v30, v25, v3, v4
	v_add_u32_e32 v25, 6, v30
	v_and_b32_e32 v3, 0xfffff, v58
	v_add_u32_e32 v34, v3, v57
	v_cmp_ne_u32_e32 vcc, 0, v25
                                        ; implicit-def: $vgpr57_vgpr58
                                        ; implicit-def: $vgpr24
	s_and_saveexec_b64 s[40:41], vcc
	s_xor_b64 s[40:41], exec, s[40:41]
; %bb.4525:                             ;   in Loop: Header=BB2_4283 Depth=3
	v_cmp_lt_u64_e32 vcc, s[94:95], v[34:35]
	v_add_u32_e32 v3, 7, v30
	v_cndmask_b32_e32 v24, v25, v3, vcc
	v_cndmask_b32_e64 v3, 0, 1, vcc
	v_lshrrev_b64 v[57:58], v3, v[34:35]
; %bb.4526:                             ;   in Loop: Header=BB2_4283 Depth=3
	s_andn2_saveexec_b64 s[40:41], s[40:41]
; %bb.4527:                             ;   in Loop: Header=BB2_4283 Depth=3
	v_mov_b32_e32 v58, v35
	v_bfe_u32 v24, v34, 23, 1
	v_mov_b32_e32 v57, v34
; %bb.4528:                             ;   in Loop: Header=BB2_4283 Depth=3
	s_or_b64 exec, exec, s[40:41]
	v_lshrrev_b64 v[30:31], 20, v[57:58]
	v_cmp_gt_i32_e32 vcc, 16, v24
	v_cndmask_b32_e32 v31, 0, v31, vcc
	v_cndmask_b32_e32 v30, 7, v30, vcc
	v_min_i32_e32 v3, 15, v24
	v_cmp_eq_u64_e64 s[40:41], 0, v[30:31]
	v_lshlrev_b32_e32 v3, 3, v3
	v_cmp_eq_u32_e32 vcc, 0, v24
	v_and_b32_e32 v3, 0xf8, v3
	v_and_or_b32 v3, v30, 7, v3
	s_and_b64 s[40:41], vcc, s[40:41]
	v_cndmask_b32_e64 v3, v3, 0, s[40:41]
	v_or_b32_e32 v39, v3, v1
.LBB2_4529:                             ;   in Loop: Header=BB2_4283 Depth=3
	s_or_b64 exec, exec, s[46:47]
                                        ; implicit-def: $vgpr1
.LBB2_4530:                             ;   in Loop: Header=BB2_4283 Depth=3
	s_andn2_saveexec_b64 s[40:41], s[44:45]
; %bb.4531:                             ;   in Loop: Header=BB2_4283 Depth=3
	v_or_b32_e32 v39, 0x7e, v1
; %bb.4532:                             ;   in Loop: Header=BB2_4283 Depth=3
	s_or_b64 exec, exec, s[40:41]
                                        ; implicit-def: $vgpr24
.LBB2_4533:                             ;   in Loop: Header=BB2_4283 Depth=3
	s_andn2_saveexec_b64 s[40:41], s[42:43]
; %bb.4534:                             ;   in Loop: Header=BB2_4283 Depth=3
	v_or_b32_sdwa v39, v24, s97 dst_sel:DWORD dst_unused:UNUSED_PAD src0_sel:BYTE_3 src1_sel:DWORD
; %bb.4535:                             ;   in Loop: Header=BB2_4283 Depth=3
	s_or_b64 exec, exec, s[40:41]
	v_bfe_u32 v1, v13, 16, 3
	v_bfe_u32 v3, v13, 16, 7
	v_cmp_eq_u32_e64 s[40:41], s97, v3
	v_cmp_gt_u32_e32 vcc, 8, v3
	v_ffbh_u32_e32 v3, v1
	v_min_u32_e32 v3, 32, v3
	v_lshrrev_b32_e32 v30, 16, v13
	v_subrev_u32_e32 v24, 28, v3
	v_lshlrev_b64 v[24:25], v24, v[30:31]
	v_bfe_u32 v4, v30, 3, 4
	v_sub_u32_e32 v3, 29, v3
	v_and_b32_e32 v24, 7, v24
	v_cndmask_b32_e32 v3, v4, v3, vcc
	v_cndmask_b32_e32 v1, v1, v24, vcc
	v_lshlrev_b32_e32 v4, 8, v13
	v_lshlrev_b32_e32 v1, 20, v1
	v_and_b32_e32 v4, 0x80000000, v4
	v_lshl_add_u32 v3, v3, 23, v48
	v_lshrrev_b32_e32 v34, 16, v9
	v_or3_b32 v1, v4, v3, v1
	v_cmp_ne_u16_sdwa s[42:43], v34, v35 src0_sel:BYTE_0 src1_sel:DWORD
	s_mov_b64 s[44:45], -1
	s_and_b64 vcc, exec, s[50:51]
                                        ; implicit-def: $vgpr24
	s_cbranch_vccz .LBB2_4549
; %bb.4536:                             ;   in Loop: Header=BB2_4283 Depth=3
	v_mov_b32_e32 v24, 0
	s_and_saveexec_b64 s[44:45], s[42:43]
	s_cbranch_execz .LBB2_4542
; %bb.4537:                             ;   in Loop: Header=BB2_4283 Depth=3
	v_cmp_ne_u16_sdwa vcc, v34, s59 src0_sel:BYTE_0 src1_sel:DWORD
	v_bfrev_b32_e32 v24, 1
	s_and_saveexec_b64 s[46:47], vcc
	s_cbranch_execz .LBB2_4541
; %bb.4538:                             ;   in Loop: Header=BB2_4283 Depth=3
	v_bfe_u32 v25, v9, 16, 7
	v_cmp_ne_u32_e32 vcc, s97, v25
	v_mov_b32_e32 v24, 0x7f800001
	s_and_saveexec_b64 s[52:53], vcc
	s_cbranch_execz .LBB2_4540
; %bb.4539:                             ;   in Loop: Header=BB2_4283 Depth=3
	v_and_b32_e32 v3, 7, v34
	v_ffbh_u32_e32 v24, v3
	v_min_u32_e32 v31, 32, v24
	v_subrev_u32_e32 v24, 28, v31
	v_lshrrev_b32_e32 v4, 3, v25
	v_cmp_gt_u32_e32 vcc, 8, v25
	v_lshlrev_b64 v[24:25], v24, v[34:35]
	v_sub_u32_e32 v25, 29, v31
	v_and_b32_e32 v24, 7, v24
	v_cndmask_b32_e32 v4, v4, v25, vcc
	v_cndmask_b32_e32 v3, v3, v24, vcc
	v_lshlrev_b32_e32 v24, 24, v34
	v_lshlrev_b32_e32 v3, 20, v3
	v_and_b32_e32 v24, 0x80000000, v24
	v_lshl_add_u32 v4, v4, 23, v48
	v_or3_b32 v24, v24, v4, v3
.LBB2_4540:                             ;   in Loop: Header=BB2_4283 Depth=3
	s_or_b64 exec, exec, s[52:53]
.LBB2_4541:                             ;   in Loop: Header=BB2_4283 Depth=3
	s_or_b64 exec, exec, s[46:47]
.LBB2_4542:                             ;   in Loop: Header=BB2_4283 Depth=3
	s_or_b64 exec, exec, s[44:45]
	v_cmp_gt_i16_sdwa s[46:47], v30, s97 src0_sel:BYTE_0 src1_sel:DWORD
	s_mov_b64 s[44:45], 0
	s_and_saveexec_b64 vcc, s[46:47]
	s_xor_b64 s[46:47], exec, vcc
	s_cbranch_execz .LBB2_4959
; %bb.4543:                             ;   in Loop: Header=BB2_4283 Depth=3
	v_cmp_eq_u16_sdwa s[52:53], v30, s59 src0_sel:BYTE_0 src1_sel:DWORD
	s_mov_b64 s[44:45], -1
	s_and_saveexec_b64 vcc, s[52:53]
; %bb.4544:                             ;   in Loop: Header=BB2_4283 Depth=3
	s_xor_b64 s[44:45], exec, -1
; %bb.4545:                             ;   in Loop: Header=BB2_4283 Depth=3
	s_or_b64 exec, exec, vcc
	s_and_b64 s[44:45], s[44:45], exec
	s_or_saveexec_b64 s[46:47], s[46:47]
	v_bfrev_b32_e32 v25, 1
	s_xor_b64 exec, exec, s[46:47]
	s_cbranch_execnz .LBB2_4960
.LBB2_4546:                             ;   in Loop: Header=BB2_4283 Depth=3
	s_or_b64 exec, exec, s[46:47]
	s_and_saveexec_b64 s[46:47], s[44:45]
.LBB2_4547:                             ;   in Loop: Header=BB2_4283 Depth=3
	v_cndmask_b32_e64 v25, v1, v49, s[40:41]
.LBB2_4548:                             ;   in Loop: Header=BB2_4283 Depth=3
	s_or_b64 exec, exec, s[46:47]
	v_max_f32_e32 v3, v25, v25
	v_max_f32_e32 v4, v24, v24
	;; [unrolled: 1-line block ×3, first 2 shown]
	s_mov_b64 s[44:45], 0
.LBB2_4549:                             ;   in Loop: Header=BB2_4283 Depth=3
	s_and_b64 vcc, exec, s[44:45]
	s_cbranch_vccz .LBB2_4563
; %bb.4550:                             ;   in Loop: Header=BB2_4283 Depth=3
	v_mov_b32_e32 v24, 0
	s_and_saveexec_b64 s[44:45], s[42:43]
	s_cbranch_execz .LBB2_4556
; %bb.4551:                             ;   in Loop: Header=BB2_4283 Depth=3
	v_cmp_ne_u16_sdwa s[46:47], v34, s59 src0_sel:BYTE_0 src1_sel:DWORD
	v_bfrev_b32_e32 v24, 1
	s_and_saveexec_b64 s[42:43], s[46:47]
	s_cbranch_execz .LBB2_4555
; %bb.4552:                             ;   in Loop: Header=BB2_4283 Depth=3
	v_bfe_u32 v25, v9, 16, 7
	v_cmp_ne_u32_e32 vcc, s97, v25
	v_mov_b32_e32 v24, 0x7f800001
	s_and_saveexec_b64 s[46:47], vcc
	s_cbranch_execz .LBB2_4554
; %bb.4553:                             ;   in Loop: Header=BB2_4283 Depth=3
	v_and_b32_e32 v3, 7, v34
	v_ffbh_u32_e32 v24, v3
	v_min_u32_e32 v31, 32, v24
	v_subrev_u32_e32 v24, 28, v31
	v_lshrrev_b32_e32 v4, 3, v25
	v_cmp_gt_u32_e32 vcc, 8, v25
	v_lshlrev_b64 v[24:25], v24, v[34:35]
	v_sub_u32_e32 v25, 29, v31
	v_and_b32_e32 v24, 7, v24
	v_cndmask_b32_e32 v4, v4, v25, vcc
	v_cndmask_b32_e32 v3, v3, v24, vcc
	v_lshlrev_b32_e32 v24, 24, v34
	v_lshlrev_b32_e32 v3, 20, v3
	v_and_b32_e32 v24, 0x80000000, v24
	v_lshl_add_u32 v4, v4, 23, v48
	v_or3_b32 v24, v24, v4, v3
.LBB2_4554:                             ;   in Loop: Header=BB2_4283 Depth=3
	s_or_b64 exec, exec, s[46:47]
.LBB2_4555:                             ;   in Loop: Header=BB2_4283 Depth=3
	s_or_b64 exec, exec, s[42:43]
.LBB2_4556:                             ;   in Loop: Header=BB2_4283 Depth=3
	s_or_b64 exec, exec, s[44:45]
	v_cmp_gt_i16_sdwa s[44:45], v30, s97 src0_sel:BYTE_0 src1_sel:DWORD
	s_mov_b64 s[42:43], 0
	s_and_saveexec_b64 s[46:47], s[44:45]
	s_xor_b64 s[44:45], exec, s[46:47]
	s_cbranch_execz .LBB2_4961
; %bb.4557:                             ;   in Loop: Header=BB2_4283 Depth=3
	v_cmp_eq_u16_sdwa vcc, v30, s59 src0_sel:BYTE_0 src1_sel:DWORD
	s_mov_b64 s[42:43], -1
	s_and_saveexec_b64 s[46:47], vcc
; %bb.4558:                             ;   in Loop: Header=BB2_4283 Depth=3
	s_xor_b64 s[42:43], exec, -1
; %bb.4559:                             ;   in Loop: Header=BB2_4283 Depth=3
	s_or_b64 exec, exec, s[46:47]
	s_and_b64 s[42:43], s[42:43], exec
                                        ; implicit-def: $vgpr30
	s_or_saveexec_b64 s[44:45], s[44:45]
	v_bfrev_b32_e32 v25, 1
	s_xor_b64 exec, exec, s[44:45]
	s_cbranch_execnz .LBB2_4962
.LBB2_4560:                             ;   in Loop: Header=BB2_4283 Depth=3
	s_or_b64 exec, exec, s[44:45]
	s_and_saveexec_b64 s[44:45], s[42:43]
.LBB2_4561:                             ;   in Loop: Header=BB2_4283 Depth=3
	v_cndmask_b32_e64 v25, v1, v49, s[40:41]
.LBB2_4562:                             ;   in Loop: Header=BB2_4283 Depth=3
	s_or_b64 exec, exec, s[44:45]
	v_max_f32_e32 v1, v25, v25
	v_max_f32_e32 v3, v24, v24
	v_min_f32_e32 v24, v3, v1
.LBB2_4563:                             ;   in Loop: Header=BB2_4283 Depth=3
	v_and_b32_e32 v34, 0x7f800000, v24
	v_cmp_ne_u64_e32 vcc, s[90:91], v[34:35]
                                        ; implicit-def: $vgpr31
	s_and_saveexec_b64 s[40:41], vcc
	s_xor_b64 s[42:43], exec, s[40:41]
	s_cbranch_execz .LBB2_4577
; %bb.4564:                             ;   in Loop: Header=BB2_4283 Depth=3
	v_and_b32_e32 v34, 0x7fffffff, v24
	v_cmp_gt_u64_e32 vcc, s[92:93], v[34:35]
	v_and_b32_sdwa v1, v24, s59 dst_sel:DWORD dst_unused:UNUSED_PAD src0_sel:BYTE_3 src1_sel:DWORD
                                        ; implicit-def: $vgpr31
	s_and_saveexec_b64 s[40:41], vcc
	s_xor_b64 s[44:45], exec, s[40:41]
	s_cbranch_execz .LBB2_4574
; %bb.4565:                             ;   in Loop: Header=BB2_4283 Depth=3
	v_mov_b32_e32 v31, 0
	v_cmp_ne_u32_e32 vcc, 0, v24
	s_and_saveexec_b64 s[46:47], vcc
	s_cbranch_execz .LBB2_4573
; %bb.4566:                             ;   in Loop: Header=BB2_4283 Depth=3
	v_and_b32_e32 v3, 0x7fffff, v24
	v_bfe_u32 v24, v24, 23, 8
	v_cmp_gt_u32_e64 s[40:41], s56, v24
	v_sub_u32_e32 v4, 0x79, v24
	v_cmp_eq_u32_e32 vcc, 0, v24
	v_cndmask_b32_e64 v4, 0, v4, s[40:41]
	v_mov_b32_e32 v25, 0x78
	v_or_b32_e32 v30, 0x800000, v3
	v_cndmask_b32_e32 v25, v4, v25, vcc
	v_cndmask_b32_e32 v34, v30, v3, vcc
	v_add_u32_e32 v3, 20, v25
	v_lshlrev_b64 v[30:31], v3, -1
	v_add_u32_e32 v3, 19, v25
	v_lshlrev_b64 v[40:41], v3, 1
	v_lshrrev_b64 v[57:58], v25, v[34:35]
	v_bfi_b32 v31, v31, 0, 0
	v_bfi_b32 v30, v30, 0, v34
	v_cmp_eq_u64_e64 s[40:41], v[30:31], v[40:41]
	v_mov_b32_e32 v59, v58
	v_mov_b32_e32 v58, v57
	s_and_saveexec_b64 s[52:53], s[40:41]
; %bb.4567:                             ;   in Loop: Header=BB2_4283 Depth=3
	v_bfe_u32 v3, v57, 20, 1
	v_add_co_u32_e64 v3, s[40:41], v57, v3
	v_add_co_u32_e64 v58, s[40:41], -1, v3
; %bb.4568:                             ;   in Loop: Header=BB2_4283 Depth=3
	s_or_b64 exec, exec, s[52:53]
	v_add_u32_e32 v3, 0xffffff81, v24
	v_cndmask_b32_e32 v3, v3, v52, vcc
	v_lshrrev_b32_e32 v4, 23, v57
	v_add3_u32 v30, v25, v3, v4
	v_add_u32_e32 v25, 6, v30
	v_and_b32_e32 v3, 0xfffff, v58
	v_add_u32_e32 v34, v3, v57
	v_cmp_ne_u32_e32 vcc, 0, v25
                                        ; implicit-def: $vgpr57_vgpr58
                                        ; implicit-def: $vgpr24
	s_and_saveexec_b64 s[40:41], vcc
	s_xor_b64 s[40:41], exec, s[40:41]
; %bb.4569:                             ;   in Loop: Header=BB2_4283 Depth=3
	v_cmp_lt_u64_e32 vcc, s[94:95], v[34:35]
	v_add_u32_e32 v3, 7, v30
	v_cndmask_b32_e32 v24, v25, v3, vcc
	v_cndmask_b32_e64 v3, 0, 1, vcc
	v_lshrrev_b64 v[57:58], v3, v[34:35]
; %bb.4570:                             ;   in Loop: Header=BB2_4283 Depth=3
	s_andn2_saveexec_b64 s[40:41], s[40:41]
; %bb.4571:                             ;   in Loop: Header=BB2_4283 Depth=3
	v_mov_b32_e32 v58, v35
	v_bfe_u32 v24, v34, 23, 1
	v_mov_b32_e32 v57, v34
; %bb.4572:                             ;   in Loop: Header=BB2_4283 Depth=3
	s_or_b64 exec, exec, s[40:41]
	v_lshrrev_b64 v[30:31], 20, v[57:58]
	v_cmp_gt_i32_e32 vcc, 16, v24
	v_cndmask_b32_e32 v31, 0, v31, vcc
	v_cndmask_b32_e32 v30, 7, v30, vcc
	v_min_i32_e32 v3, 15, v24
	v_cmp_eq_u64_e64 s[40:41], 0, v[30:31]
	v_lshlrev_b32_e32 v3, 3, v3
	v_cmp_eq_u32_e32 vcc, 0, v24
	v_and_b32_e32 v3, 0xf8, v3
	v_and_or_b32 v3, v30, 7, v3
	s_and_b64 s[40:41], vcc, s[40:41]
	v_cndmask_b32_e64 v3, v3, 0, s[40:41]
	v_or_b32_e32 v31, v3, v1
.LBB2_4573:                             ;   in Loop: Header=BB2_4283 Depth=3
	s_or_b64 exec, exec, s[46:47]
                                        ; implicit-def: $vgpr1
.LBB2_4574:                             ;   in Loop: Header=BB2_4283 Depth=3
	s_andn2_saveexec_b64 s[40:41], s[44:45]
; %bb.4575:                             ;   in Loop: Header=BB2_4283 Depth=3
	v_or_b32_e32 v31, 0x7e, v1
; %bb.4576:                             ;   in Loop: Header=BB2_4283 Depth=3
	s_or_b64 exec, exec, s[40:41]
                                        ; implicit-def: $vgpr24
.LBB2_4577:                             ;   in Loop: Header=BB2_4283 Depth=3
	s_andn2_saveexec_b64 s[40:41], s[42:43]
; %bb.4578:                             ;   in Loop: Header=BB2_4283 Depth=3
	v_or_b32_sdwa v31, v24, s97 dst_sel:DWORD dst_unused:UNUSED_PAD src0_sel:BYTE_3 src1_sel:DWORD
; %bb.4579:                             ;   in Loop: Header=BB2_4283 Depth=3
	s_or_b64 exec, exec, s[40:41]
	v_bfe_u32 v3, v13, 24, 3
	v_bfe_u32 v4, v13, 24, 7
	v_cmp_eq_u32_e64 s[44:45], s97, v4
	v_cmp_gt_u32_e32 vcc, 8, v4
	v_ffbh_u32_e32 v4, v3
	v_min_u32_e32 v4, 32, v4
	v_lshrrev_b32_e32 v1, 24, v13
	v_subrev_u32_e32 v24, 28, v4
	v_lshlrev_b64 v[24:25], v24, v[1:2]
	v_cmp_gt_u64_e64 s[40:41], s[60:61], v[12:13]
	v_bfe_u32 v12, v1, 3, 4
	v_cmp_eq_u32_e64 s[42:43], s59, v1
	v_sub_u32_e32 v1, 29, v4
	v_and_b32_e32 v4, 7, v24
	v_cndmask_b32_e32 v1, v12, v1, vcc
	v_cndmask_b32_e32 v3, v3, v4, vcc
	v_lshlrev_b32_e32 v3, 20, v3
	v_and_b32_e32 v4, 0x80000000, v13
	v_lshl_add_u32 v1, v1, 23, v48
	v_cmp_lt_u64_e64 s[46:47], s[62:63], v[8:9]
	v_lshrrev_b32_e32 v30, 24, v9
	v_or3_b32 v1, v4, v1, v3
	s_mov_b64 s[52:53], -1
	s_and_b64 vcc, exec, s[50:51]
                                        ; implicit-def: $vgpr8
	s_cbranch_vccz .LBB2_4587
; %bb.4580:                             ;   in Loop: Header=BB2_4283 Depth=3
	v_mov_b32_e32 v8, 0
	s_and_saveexec_b64 s[52:53], s[46:47]
	s_cbranch_execz .LBB2_4586
; %bb.4581:                             ;   in Loop: Header=BB2_4283 Depth=3
	v_cmp_ne_u32_e32 vcc, s59, v30
	v_bfrev_b32_e32 v8, 1
	s_and_saveexec_b64 s[54:55], vcc
	s_cbranch_execz .LBB2_4585
; %bb.4582:                             ;   in Loop: Header=BB2_4283 Depth=3
	v_bfe_u32 v12, v9, 24, 7
	v_cmp_ne_u32_e32 vcc, s97, v12
	v_mov_b32_e32 v8, 0x7f800001
	s_and_saveexec_b64 s[64:65], vcc
	s_cbranch_execz .LBB2_4584
; %bb.4583:                             ;   in Loop: Header=BB2_4283 Depth=3
	v_and_b32_e32 v3, 7, v30
	v_ffbh_u32_e32 v8, v3
	v_min_u32_e32 v8, 32, v8
	v_lshrrev_b32_e32 v4, 3, v12
	v_cmp_gt_u32_e32 vcc, 8, v12
	v_subrev_u32_e32 v12, 28, v8
	v_lshlrev_b64 v[12:13], v12, v[30:31]
	v_sub_u32_e32 v8, 29, v8
	v_and_b32_e32 v12, 7, v12
	v_cndmask_b32_e32 v4, v4, v8, vcc
	v_cndmask_b32_e32 v3, v3, v12, vcc
	v_lshlrev_b32_e32 v8, 24, v30
	v_lshlrev_b32_e32 v3, 20, v3
	v_and_b32_e32 v8, 0x80000000, v8
	v_lshl_add_u32 v4, v4, 23, v48
	v_or3_b32 v8, v8, v4, v3
.LBB2_4584:                             ;   in Loop: Header=BB2_4283 Depth=3
	s_or_b64 exec, exec, s[64:65]
.LBB2_4585:                             ;   in Loop: Header=BB2_4283 Depth=3
	s_or_b64 exec, exec, s[54:55]
.LBB2_4586:                             ;   in Loop: Header=BB2_4283 Depth=3
	s_or_b64 exec, exec, s[52:53]
	v_cndmask_b32_e64 v3, v1, v49, s[44:45]
	v_cndmask_b32_e64 v3, v3, v0, s[42:43]
	;; [unrolled: 1-line block ×3, first 2 shown]
	v_max_f32_e32 v3, v3, v3
	v_max_f32_e32 v4, v8, v8
	;; [unrolled: 1-line block ×3, first 2 shown]
	s_mov_b64 s[52:53], 0
.LBB2_4587:                             ;   in Loop: Header=BB2_4283 Depth=3
	s_and_b64 vcc, exec, s[52:53]
	s_cbranch_vccz .LBB2_4595
; %bb.4588:                             ;   in Loop: Header=BB2_4283 Depth=3
	v_mov_b32_e32 v8, 0
	s_and_saveexec_b64 s[52:53], s[46:47]
	s_cbranch_execz .LBB2_4594
; %bb.4589:                             ;   in Loop: Header=BB2_4283 Depth=3
	v_cmp_ne_u32_e32 vcc, s59, v30
	v_bfrev_b32_e32 v8, 1
	s_and_saveexec_b64 s[46:47], vcc
	s_cbranch_execz .LBB2_4593
; %bb.4590:                             ;   in Loop: Header=BB2_4283 Depth=3
	v_bfe_u32 v9, v9, 24, 7
	v_cmp_ne_u32_e32 vcc, s97, v9
	v_mov_b32_e32 v8, 0x7f800001
	s_and_saveexec_b64 s[54:55], vcc
	s_cbranch_execz .LBB2_4592
; %bb.4591:                             ;   in Loop: Header=BB2_4283 Depth=3
	v_and_b32_e32 v3, 7, v30
	v_ffbh_u32_e32 v8, v3
	v_min_u32_e32 v12, 32, v8
	v_subrev_u32_e32 v8, 28, v12
	v_lshrrev_b32_e32 v4, 3, v9
	v_cmp_gt_u32_e32 vcc, 8, v9
	v_lshlrev_b64 v[8:9], v8, v[30:31]
	v_sub_u32_e32 v9, 29, v12
	v_and_b32_e32 v8, 7, v8
	v_cndmask_b32_e32 v4, v4, v9, vcc
	v_cndmask_b32_e32 v3, v3, v8, vcc
	v_lshlrev_b32_e32 v8, 24, v30
	v_lshlrev_b32_e32 v3, 20, v3
	v_and_b32_e32 v8, 0x80000000, v8
	v_lshl_add_u32 v4, v4, 23, v48
	v_or3_b32 v8, v8, v4, v3
.LBB2_4592:                             ;   in Loop: Header=BB2_4283 Depth=3
	s_or_b64 exec, exec, s[54:55]
.LBB2_4593:                             ;   in Loop: Header=BB2_4283 Depth=3
	s_or_b64 exec, exec, s[46:47]
.LBB2_4594:                             ;   in Loop: Header=BB2_4283 Depth=3
	s_or_b64 exec, exec, s[52:53]
	v_cndmask_b32_e64 v1, v1, v49, s[44:45]
	v_cndmask_b32_e64 v1, v1, v0, s[42:43]
	;; [unrolled: 1-line block ×3, first 2 shown]
	v_max_f32_e32 v1, v1, v1
	v_max_f32_e32 v3, v8, v8
	v_min_f32_e32 v8, v3, v1
.LBB2_4595:                             ;   in Loop: Header=BB2_4283 Depth=3
	v_and_b32_e32 v34, 0x7f800000, v8
	v_cmp_ne_u64_e32 vcc, s[90:91], v[34:35]
                                        ; implicit-def: $vgpr30
	s_and_saveexec_b64 s[40:41], vcc
	s_xor_b64 s[42:43], exec, s[40:41]
	s_cbranch_execz .LBB2_4609
; %bb.4596:                             ;   in Loop: Header=BB2_4283 Depth=3
	v_and_b32_e32 v34, 0x7fffffff, v8
	v_cmp_gt_u64_e32 vcc, s[92:93], v[34:35]
	v_and_b32_sdwa v1, v8, s59 dst_sel:DWORD dst_unused:UNUSED_PAD src0_sel:BYTE_3 src1_sel:DWORD
                                        ; implicit-def: $vgpr30
	s_and_saveexec_b64 s[40:41], vcc
	s_xor_b64 s[44:45], exec, s[40:41]
	s_cbranch_execz .LBB2_4606
; %bb.4597:                             ;   in Loop: Header=BB2_4283 Depth=3
	v_mov_b32_e32 v30, 0
	v_cmp_ne_u32_e32 vcc, 0, v8
	s_and_saveexec_b64 s[46:47], vcc
	s_cbranch_execz .LBB2_4605
; %bb.4598:                             ;   in Loop: Header=BB2_4283 Depth=3
	v_bfe_u32 v24, v8, 23, 8
	v_cmp_gt_u32_e64 s[40:41], s56, v24
	v_sub_u32_e32 v4, 0x79, v24
	v_and_b32_e32 v3, 0x7fffff, v8
	v_cmp_eq_u32_e32 vcc, 0, v24
	v_cndmask_b32_e64 v4, 0, v4, s[40:41]
	v_mov_b32_e32 v9, 0x78
	v_or_b32_e32 v8, 0x800000, v3
	v_cndmask_b32_e32 v25, v4, v9, vcc
	v_cndmask_b32_e32 v34, v8, v3, vcc
	v_add_u32_e32 v3, 20, v25
	v_lshlrev_b64 v[8:9], v3, -1
	v_add_u32_e32 v3, 19, v25
	v_lshlrev_b64 v[12:13], v3, 1
	v_bfi_b32 v9, v9, 0, 0
	v_bfi_b32 v8, v8, 0, v34
	v_cmp_eq_u64_e64 s[40:41], v[8:9], v[12:13]
	v_lshrrev_b64 v[8:9], v25, v[34:35]
	v_mov_b32_e32 v13, v9
	v_mov_b32_e32 v12, v8
	s_and_saveexec_b64 s[52:53], s[40:41]
; %bb.4599:                             ;   in Loop: Header=BB2_4283 Depth=3
	v_bfe_u32 v3, v8, 20, 1
	v_add_co_u32_e64 v3, s[40:41], v8, v3
	v_add_co_u32_e64 v12, s[40:41], -1, v3
; %bb.4600:                             ;   in Loop: Header=BB2_4283 Depth=3
	s_or_b64 exec, exec, s[52:53]
	v_add_u32_e32 v3, 0xffffff81, v24
	v_cndmask_b32_e32 v3, v3, v52, vcc
	v_lshrrev_b32_e32 v4, 23, v8
	v_add3_u32 v24, v25, v3, v4
	v_add_u32_e32 v13, 6, v24
	v_and_b32_e32 v3, 0xfffff, v12
	v_add_u32_e32 v34, v3, v8
	v_cmp_ne_u32_e32 vcc, 0, v13
                                        ; implicit-def: $vgpr8_vgpr9
                                        ; implicit-def: $vgpr12
	s_and_saveexec_b64 s[40:41], vcc
	s_xor_b64 s[40:41], exec, s[40:41]
; %bb.4601:                             ;   in Loop: Header=BB2_4283 Depth=3
	v_cmp_lt_u64_e32 vcc, s[94:95], v[34:35]
	v_add_u32_e32 v3, 7, v24
	v_cndmask_b32_e32 v12, v13, v3, vcc
	v_cndmask_b32_e64 v3, 0, 1, vcc
	v_lshrrev_b64 v[8:9], v3, v[34:35]
; %bb.4602:                             ;   in Loop: Header=BB2_4283 Depth=3
	s_andn2_saveexec_b64 s[40:41], s[40:41]
; %bb.4603:                             ;   in Loop: Header=BB2_4283 Depth=3
	v_mov_b32_e32 v8, v34
	v_bfe_u32 v12, v34, 23, 1
	v_mov_b32_e32 v9, v35
; %bb.4604:                             ;   in Loop: Header=BB2_4283 Depth=3
	s_or_b64 exec, exec, s[40:41]
	v_lshrrev_b64 v[8:9], 20, v[8:9]
	v_cmp_gt_i32_e32 vcc, 16, v12
	v_cndmask_b32_e32 v9, 0, v9, vcc
	v_cndmask_b32_e32 v8, 7, v8, vcc
	v_min_i32_e32 v3, 15, v12
	v_cmp_eq_u64_e64 s[40:41], 0, v[8:9]
	v_lshlrev_b32_e32 v3, 3, v3
	v_cmp_eq_u32_e32 vcc, 0, v12
	v_and_b32_e32 v3, 0xf8, v3
	v_and_or_b32 v3, v8, 7, v3
	s_and_b64 s[40:41], vcc, s[40:41]
	v_cndmask_b32_e64 v3, v3, 0, s[40:41]
	v_or_b32_e32 v30, v3, v1
.LBB2_4605:                             ;   in Loop: Header=BB2_4283 Depth=3
	s_or_b64 exec, exec, s[46:47]
                                        ; implicit-def: $vgpr1
.LBB2_4606:                             ;   in Loop: Header=BB2_4283 Depth=3
	s_andn2_saveexec_b64 s[40:41], s[44:45]
; %bb.4607:                             ;   in Loop: Header=BB2_4283 Depth=3
	v_or_b32_e32 v30, 0x7e, v1
; %bb.4608:                             ;   in Loop: Header=BB2_4283 Depth=3
	s_or_b64 exec, exec, s[40:41]
                                        ; implicit-def: $vgpr8
.LBB2_4609:                             ;   in Loop: Header=BB2_4283 Depth=3
	s_andn2_saveexec_b64 s[40:41], s[42:43]
; %bb.4610:                             ;   in Loop: Header=BB2_4283 Depth=3
	v_or_b32_sdwa v30, v8, s97 dst_sel:DWORD dst_unused:UNUSED_PAD src0_sel:BYTE_3 src1_sel:DWORD
; %bb.4611:                             ;   in Loop: Header=BB2_4283 Depth=3
	s_or_b64 exec, exec, s[40:41]
	v_and_b32_e32 v1, 7, v14
	v_ffbh_u32_e32 v1, v1
	v_and_b32_e32 v3, 0x7f, v14
	v_min_u32_e32 v1, 32, v1
	v_cmp_eq_u32_e64 s[40:41], s97, v3
	v_cmp_gt_u32_e32 vcc, 8, v3
	v_subrev_u32_e32 v3, 28, v1
	v_cndmask_b32_e32 v3, 0, v3, vcc
	v_lshlrev_b64 v[8:9], v3, v[14:15]
	v_bfe_u32 v4, v14, 3, 4
	v_sub_u32_e32 v1, 29, v1
	v_cndmask_b32_e32 v1, v4, v1, vcc
	v_lshlrev_b32_e32 v3, 20, v8
	v_lshlrev_b32_e32 v4, 24, v14
	v_and_b32_e32 v3, 0x700000, v3
	v_and_b32_e32 v4, 0x80000000, v4
	v_lshl_add_u32 v1, v1, 23, v48
	v_or3_b32 v1, v4, v1, v3
	v_cmp_ne_u16_sdwa s[42:43], v10, v35 src0_sel:BYTE_0 src1_sel:DWORD
	s_mov_b64 s[44:45], -1
	s_and_b64 vcc, exec, s[50:51]
                                        ; implicit-def: $vgpr8
	s_cbranch_vccz .LBB2_4625
; %bb.4612:                             ;   in Loop: Header=BB2_4283 Depth=3
	v_mov_b32_e32 v8, 0
	s_and_saveexec_b64 s[44:45], s[42:43]
	s_cbranch_execz .LBB2_4618
; %bb.4613:                             ;   in Loop: Header=BB2_4283 Depth=3
	v_cmp_ne_u16_sdwa vcc, v10, s59 src0_sel:BYTE_0 src1_sel:DWORD
	v_bfrev_b32_e32 v8, 1
	s_and_saveexec_b64 s[46:47], vcc
	s_cbranch_execz .LBB2_4617
; %bb.4614:                             ;   in Loop: Header=BB2_4283 Depth=3
	v_and_b32_e32 v9, 0x7f, v10
	v_cmp_ne_u32_e32 vcc, s97, v9
	v_mov_b32_e32 v8, 0x7f800001
	s_and_saveexec_b64 s[52:53], vcc
	s_cbranch_execz .LBB2_4616
; %bb.4615:                             ;   in Loop: Header=BB2_4283 Depth=3
	v_and_b32_e32 v3, 7, v10
	v_ffbh_u32_e32 v3, v3
	v_min_u32_e32 v3, 32, v3
	v_lshrrev_b32_e32 v4, 3, v9
	v_cmp_gt_u32_e32 vcc, 8, v9
	v_subrev_u32_e32 v8, 28, v3
	v_sub_u32_e32 v3, 29, v3
	v_cndmask_b32_e32 v3, v4, v3, vcc
	v_cndmask_b32_e32 v4, 0, v8, vcc
	v_lshlrev_b64 v[8:9], v4, v[10:11]
	v_lshl_add_u32 v3, v3, 23, v48
	v_lshlrev_b32_e32 v4, 20, v8
	v_lshlrev_b32_e32 v8, 24, v10
	v_and_b32_e32 v4, 0x700000, v4
	v_and_b32_e32 v8, 0x80000000, v8
	v_or3_b32 v8, v8, v3, v4
.LBB2_4616:                             ;   in Loop: Header=BB2_4283 Depth=3
	s_or_b64 exec, exec, s[52:53]
.LBB2_4617:                             ;   in Loop: Header=BB2_4283 Depth=3
	s_or_b64 exec, exec, s[46:47]
.LBB2_4618:                             ;   in Loop: Header=BB2_4283 Depth=3
	s_or_b64 exec, exec, s[44:45]
	v_cmp_gt_i16_sdwa s[46:47], v14, s97 src0_sel:BYTE_0 src1_sel:DWORD
	s_mov_b64 s[44:45], 0
	s_and_saveexec_b64 vcc, s[46:47]
	s_xor_b64 s[46:47], exec, vcc
	s_cbranch_execz .LBB2_4963
; %bb.4619:                             ;   in Loop: Header=BB2_4283 Depth=3
	v_cmp_eq_u16_sdwa s[52:53], v14, s59 src0_sel:BYTE_0 src1_sel:DWORD
	s_mov_b64 s[44:45], -1
	s_and_saveexec_b64 vcc, s[52:53]
; %bb.4620:                             ;   in Loop: Header=BB2_4283 Depth=3
	s_xor_b64 s[44:45], exec, -1
; %bb.4621:                             ;   in Loop: Header=BB2_4283 Depth=3
	s_or_b64 exec, exec, vcc
	s_and_b64 s[44:45], s[44:45], exec
	s_or_saveexec_b64 s[46:47], s[46:47]
	v_bfrev_b32_e32 v9, 1
	s_xor_b64 exec, exec, s[46:47]
	s_cbranch_execnz .LBB2_4964
.LBB2_4622:                             ;   in Loop: Header=BB2_4283 Depth=3
	s_or_b64 exec, exec, s[46:47]
	s_and_saveexec_b64 s[46:47], s[44:45]
.LBB2_4623:                             ;   in Loop: Header=BB2_4283 Depth=3
	v_cndmask_b32_e64 v9, v1, v49, s[40:41]
.LBB2_4624:                             ;   in Loop: Header=BB2_4283 Depth=3
	s_or_b64 exec, exec, s[46:47]
	v_max_f32_e32 v3, v9, v9
	v_max_f32_e32 v4, v8, v8
	;; [unrolled: 1-line block ×3, first 2 shown]
	s_mov_b64 s[44:45], 0
.LBB2_4625:                             ;   in Loop: Header=BB2_4283 Depth=3
	s_and_b64 vcc, exec, s[44:45]
	s_cbranch_vccz .LBB2_4639
; %bb.4626:                             ;   in Loop: Header=BB2_4283 Depth=3
	v_mov_b32_e32 v8, 0
	s_and_saveexec_b64 s[44:45], s[42:43]
	s_cbranch_execz .LBB2_4632
; %bb.4627:                             ;   in Loop: Header=BB2_4283 Depth=3
	v_cmp_ne_u16_sdwa s[46:47], v10, s59 src0_sel:BYTE_0 src1_sel:DWORD
	v_bfrev_b32_e32 v8, 1
	s_and_saveexec_b64 s[42:43], s[46:47]
	s_cbranch_execz .LBB2_4631
; %bb.4628:                             ;   in Loop: Header=BB2_4283 Depth=3
	v_and_b32_e32 v9, 0x7f, v10
	v_cmp_ne_u32_e32 vcc, s97, v9
	v_mov_b32_e32 v8, 0x7f800001
	s_and_saveexec_b64 s[46:47], vcc
	s_cbranch_execz .LBB2_4630
; %bb.4629:                             ;   in Loop: Header=BB2_4283 Depth=3
	v_and_b32_e32 v3, 7, v10
	v_ffbh_u32_e32 v3, v3
	v_min_u32_e32 v3, 32, v3
	v_lshrrev_b32_e32 v4, 3, v9
	v_cmp_gt_u32_e32 vcc, 8, v9
	v_subrev_u32_e32 v8, 28, v3
	v_sub_u32_e32 v3, 29, v3
	v_cndmask_b32_e32 v3, v4, v3, vcc
	v_cndmask_b32_e32 v4, 0, v8, vcc
	v_lshlrev_b64 v[8:9], v4, v[10:11]
	v_lshl_add_u32 v3, v3, 23, v48
	v_lshlrev_b32_e32 v4, 20, v8
	v_lshlrev_b32_e32 v8, 24, v10
	v_and_b32_e32 v4, 0x700000, v4
	v_and_b32_e32 v8, 0x80000000, v8
	v_or3_b32 v8, v8, v3, v4
.LBB2_4630:                             ;   in Loop: Header=BB2_4283 Depth=3
	s_or_b64 exec, exec, s[46:47]
.LBB2_4631:                             ;   in Loop: Header=BB2_4283 Depth=3
	s_or_b64 exec, exec, s[42:43]
.LBB2_4632:                             ;   in Loop: Header=BB2_4283 Depth=3
	s_or_b64 exec, exec, s[44:45]
	v_cmp_gt_i16_sdwa s[44:45], v14, s97 src0_sel:BYTE_0 src1_sel:DWORD
	s_mov_b64 s[42:43], 0
	s_and_saveexec_b64 s[46:47], s[44:45]
	s_xor_b64 s[44:45], exec, s[46:47]
	s_cbranch_execz .LBB2_4965
; %bb.4633:                             ;   in Loop: Header=BB2_4283 Depth=3
	v_cmp_eq_u16_sdwa vcc, v14, s59 src0_sel:BYTE_0 src1_sel:DWORD
	s_mov_b64 s[42:43], -1
	s_and_saveexec_b64 s[46:47], vcc
; %bb.4634:                             ;   in Loop: Header=BB2_4283 Depth=3
	s_xor_b64 s[42:43], exec, -1
; %bb.4635:                             ;   in Loop: Header=BB2_4283 Depth=3
	s_or_b64 exec, exec, s[46:47]
	s_and_b64 s[42:43], s[42:43], exec
	s_or_saveexec_b64 s[44:45], s[44:45]
	v_bfrev_b32_e32 v9, 1
	s_xor_b64 exec, exec, s[44:45]
	s_cbranch_execnz .LBB2_4966
.LBB2_4636:                             ;   in Loop: Header=BB2_4283 Depth=3
	s_or_b64 exec, exec, s[44:45]
	s_and_saveexec_b64 s[44:45], s[42:43]
.LBB2_4637:                             ;   in Loop: Header=BB2_4283 Depth=3
	v_cndmask_b32_e64 v9, v1, v49, s[40:41]
.LBB2_4638:                             ;   in Loop: Header=BB2_4283 Depth=3
	s_or_b64 exec, exec, s[44:45]
	v_max_f32_e32 v1, v9, v9
	v_max_f32_e32 v3, v8, v8
	v_min_f32_e32 v8, v3, v1
.LBB2_4639:                             ;   in Loop: Header=BB2_4283 Depth=3
	v_and_b32_e32 v34, 0x7f800000, v8
	v_cmp_ne_u64_e32 vcc, s[90:91], v[34:35]
                                        ; implicit-def: $vgpr53
	s_and_saveexec_b64 s[40:41], vcc
	s_xor_b64 s[42:43], exec, s[40:41]
	s_cbranch_execz .LBB2_4653
; %bb.4640:                             ;   in Loop: Header=BB2_4283 Depth=3
	v_and_b32_e32 v34, 0x7fffffff, v8
	v_cmp_gt_u64_e32 vcc, s[92:93], v[34:35]
	v_and_b32_sdwa v1, v8, s59 dst_sel:DWORD dst_unused:UNUSED_PAD src0_sel:BYTE_3 src1_sel:DWORD
                                        ; implicit-def: $vgpr53
	s_and_saveexec_b64 s[40:41], vcc
	s_xor_b64 s[44:45], exec, s[40:41]
	s_cbranch_execz .LBB2_4650
; %bb.4641:                             ;   in Loop: Header=BB2_4283 Depth=3
	v_mov_b32_e32 v53, 0
	v_cmp_ne_u32_e32 vcc, 0, v8
	s_and_saveexec_b64 s[46:47], vcc
	s_cbranch_execz .LBB2_4649
; %bb.4642:                             ;   in Loop: Header=BB2_4283 Depth=3
	v_bfe_u32 v24, v8, 23, 8
	v_cmp_gt_u32_e64 s[40:41], s56, v24
	v_sub_u32_e32 v4, 0x79, v24
	v_and_b32_e32 v3, 0x7fffff, v8
	v_cmp_eq_u32_e32 vcc, 0, v24
	v_cndmask_b32_e64 v4, 0, v4, s[40:41]
	v_mov_b32_e32 v9, 0x78
	v_or_b32_e32 v8, 0x800000, v3
	v_cndmask_b32_e32 v25, v4, v9, vcc
	v_cndmask_b32_e32 v34, v8, v3, vcc
	v_add_u32_e32 v3, 20, v25
	v_lshlrev_b64 v[8:9], v3, -1
	v_add_u32_e32 v3, 19, v25
	v_lshlrev_b64 v[12:13], v3, 1
	v_bfi_b32 v9, v9, 0, 0
	v_bfi_b32 v8, v8, 0, v34
	v_cmp_eq_u64_e64 s[40:41], v[8:9], v[12:13]
	v_lshrrev_b64 v[8:9], v25, v[34:35]
	v_mov_b32_e32 v13, v9
	v_mov_b32_e32 v12, v8
	s_and_saveexec_b64 s[52:53], s[40:41]
; %bb.4643:                             ;   in Loop: Header=BB2_4283 Depth=3
	v_bfe_u32 v3, v8, 20, 1
	v_add_co_u32_e64 v3, s[40:41], v8, v3
	v_add_co_u32_e64 v12, s[40:41], -1, v3
; %bb.4644:                             ;   in Loop: Header=BB2_4283 Depth=3
	s_or_b64 exec, exec, s[52:53]
	v_add_u32_e32 v3, 0xffffff81, v24
	v_cndmask_b32_e32 v3, v3, v52, vcc
	v_lshrrev_b32_e32 v4, 23, v8
	v_add3_u32 v24, v25, v3, v4
	v_add_u32_e32 v13, 6, v24
	v_and_b32_e32 v3, 0xfffff, v12
	v_add_u32_e32 v34, v3, v8
	v_cmp_ne_u32_e32 vcc, 0, v13
                                        ; implicit-def: $vgpr8_vgpr9
                                        ; implicit-def: $vgpr12
	s_and_saveexec_b64 s[40:41], vcc
	s_xor_b64 s[40:41], exec, s[40:41]
; %bb.4645:                             ;   in Loop: Header=BB2_4283 Depth=3
	v_cmp_lt_u64_e32 vcc, s[94:95], v[34:35]
	v_add_u32_e32 v3, 7, v24
	v_cndmask_b32_e32 v12, v13, v3, vcc
	v_cndmask_b32_e64 v3, 0, 1, vcc
	v_lshrrev_b64 v[8:9], v3, v[34:35]
; %bb.4646:                             ;   in Loop: Header=BB2_4283 Depth=3
	s_andn2_saveexec_b64 s[40:41], s[40:41]
; %bb.4647:                             ;   in Loop: Header=BB2_4283 Depth=3
	v_mov_b32_e32 v8, v34
	v_bfe_u32 v12, v34, 23, 1
	v_mov_b32_e32 v9, v35
; %bb.4648:                             ;   in Loop: Header=BB2_4283 Depth=3
	s_or_b64 exec, exec, s[40:41]
	v_lshrrev_b64 v[8:9], 20, v[8:9]
	v_cmp_gt_i32_e32 vcc, 16, v12
	v_cndmask_b32_e32 v9, 0, v9, vcc
	v_cndmask_b32_e32 v8, 7, v8, vcc
	v_min_i32_e32 v3, 15, v12
	v_cmp_eq_u64_e64 s[40:41], 0, v[8:9]
	v_lshlrev_b32_e32 v3, 3, v3
	v_cmp_eq_u32_e32 vcc, 0, v12
	v_and_b32_e32 v3, 0xf8, v3
	v_and_or_b32 v3, v8, 7, v3
	s_and_b64 s[40:41], vcc, s[40:41]
	v_cndmask_b32_e64 v3, v3, 0, s[40:41]
	v_or_b32_e32 v53, v3, v1
.LBB2_4649:                             ;   in Loop: Header=BB2_4283 Depth=3
	s_or_b64 exec, exec, s[46:47]
                                        ; implicit-def: $vgpr1
.LBB2_4650:                             ;   in Loop: Header=BB2_4283 Depth=3
	s_andn2_saveexec_b64 s[40:41], s[44:45]
; %bb.4651:                             ;   in Loop: Header=BB2_4283 Depth=3
	v_or_b32_e32 v53, 0x7e, v1
; %bb.4652:                             ;   in Loop: Header=BB2_4283 Depth=3
	s_or_b64 exec, exec, s[40:41]
                                        ; implicit-def: $vgpr8
.LBB2_4653:                             ;   in Loop: Header=BB2_4283 Depth=3
	s_andn2_saveexec_b64 s[40:41], s[42:43]
; %bb.4654:                             ;   in Loop: Header=BB2_4283 Depth=3
	v_or_b32_sdwa v53, v8, s97 dst_sel:DWORD dst_unused:UNUSED_PAD src0_sel:BYTE_3 src1_sel:DWORD
; %bb.4655:                             ;   in Loop: Header=BB2_4283 Depth=3
	s_or_b64 exec, exec, s[40:41]
	v_lshrrev_b16_e32 v34, 8, v14
	v_and_b32_e32 v1, 7, v34
	v_and_b32_e32 v3, 0x7f, v34
	v_cmp_eq_u32_e64 s[40:41], s97, v3
	v_cmp_gt_u32_e32 vcc, 8, v3
	v_ffbh_u32_e32 v3, v1
	v_min_u32_e32 v3, 32, v3
	v_subrev_u32_e32 v9, 28, v3
	v_lshlrev_b64 v[12:13], v9, v[34:35]
	v_bfe_u32 v4, v34, 3, 4
	v_sub_u32_e32 v3, 29, v3
	v_and_b32_e32 v9, 7, v12
	v_cndmask_b32_e32 v3, v4, v3, vcc
	v_cndmask_b32_e32 v1, v1, v9, vcc
	v_lshlrev_b32_e32 v4, 24, v34
	v_lshrrev_b16_e32 v8, 8, v10
	v_lshlrev_b32_e32 v1, 20, v1
	v_and_b32_e32 v4, 0x80000000, v4
	v_lshl_add_u32 v3, v3, 23, v48
	v_or3_b32 v1, v4, v3, v1
	v_cmp_ne_u16_e64 s[42:43], 0, v8
	s_mov_b64 s[44:45], -1
	s_and_b64 vcc, exec, s[50:51]
                                        ; implicit-def: $vgpr9
	s_cbranch_vccz .LBB2_4669
; %bb.4656:                             ;   in Loop: Header=BB2_4283 Depth=3
	v_mov_b32_e32 v9, 0
	s_and_saveexec_b64 s[44:45], s[42:43]
	s_cbranch_execz .LBB2_4662
; %bb.4657:                             ;   in Loop: Header=BB2_4283 Depth=3
	v_cmp_ne_u16_e32 vcc, s59, v8
	v_bfrev_b32_e32 v9, 1
	s_and_saveexec_b64 s[46:47], vcc
	s_cbranch_execz .LBB2_4661
; %bb.4658:                             ;   in Loop: Header=BB2_4283 Depth=3
	v_and_b32_e32 v12, 0x7f, v8
	v_cmp_ne_u32_e32 vcc, s97, v12
	v_mov_b32_e32 v9, 0x7f800001
	s_and_saveexec_b64 s[52:53], vcc
	s_cbranch_execz .LBB2_4660
; %bb.4659:                             ;   in Loop: Header=BB2_4283 Depth=3
	v_and_b32_e32 v3, 7, v8
	v_ffbh_u32_e32 v9, v3
	v_min_u32_e32 v9, 32, v9
	v_lshrrev_b32_e32 v4, 3, v12
	v_cmp_gt_u32_e32 vcc, 8, v12
	v_subrev_u32_e32 v12, 28, v9
	v_lshlrev_b64 v[12:13], v12, v[8:9]
	v_sub_u32_e32 v9, 29, v9
	v_and_b32_e32 v12, 7, v12
	v_cndmask_b32_e32 v4, v4, v9, vcc
	v_cndmask_b32_e32 v3, v3, v12, vcc
	v_lshlrev_b32_e32 v9, 16, v10
	v_lshlrev_b32_e32 v3, 20, v3
	v_and_b32_e32 v9, 0x80000000, v9
	v_lshl_add_u32 v4, v4, 23, v48
	v_or3_b32 v9, v9, v4, v3
.LBB2_4660:                             ;   in Loop: Header=BB2_4283 Depth=3
	s_or_b64 exec, exec, s[52:53]
.LBB2_4661:                             ;   in Loop: Header=BB2_4283 Depth=3
	s_or_b64 exec, exec, s[46:47]
.LBB2_4662:                             ;   in Loop: Header=BB2_4283 Depth=3
	s_or_b64 exec, exec, s[44:45]
	v_cmp_lt_i16_e32 vcc, s97, v34
	s_mov_b64 s[44:45], 0
	s_and_saveexec_b64 s[46:47], vcc
	s_xor_b64 s[46:47], exec, s[46:47]
	s_cbranch_execz .LBB2_4967
; %bb.4663:                             ;   in Loop: Header=BB2_4283 Depth=3
	v_cmp_eq_u16_e32 vcc, s59, v34
	s_mov_b64 s[44:45], -1
	s_and_saveexec_b64 s[52:53], vcc
; %bb.4664:                             ;   in Loop: Header=BB2_4283 Depth=3
	s_xor_b64 s[44:45], exec, -1
; %bb.4665:                             ;   in Loop: Header=BB2_4283 Depth=3
	s_or_b64 exec, exec, s[52:53]
	s_and_b64 s[44:45], s[44:45], exec
	s_or_saveexec_b64 s[46:47], s[46:47]
	v_bfrev_b32_e32 v12, 1
	s_xor_b64 exec, exec, s[46:47]
	s_cbranch_execnz .LBB2_4968
.LBB2_4666:                             ;   in Loop: Header=BB2_4283 Depth=3
	s_or_b64 exec, exec, s[46:47]
	s_and_saveexec_b64 s[46:47], s[44:45]
.LBB2_4667:                             ;   in Loop: Header=BB2_4283 Depth=3
	v_cndmask_b32_e64 v12, v1, v49, s[40:41]
.LBB2_4668:                             ;   in Loop: Header=BB2_4283 Depth=3
	s_or_b64 exec, exec, s[46:47]
	v_max_f32_e32 v3, v12, v12
	v_max_f32_e32 v4, v9, v9
	;; [unrolled: 1-line block ×3, first 2 shown]
	s_mov_b64 s[44:45], 0
.LBB2_4669:                             ;   in Loop: Header=BB2_4283 Depth=3
	s_and_b64 vcc, exec, s[44:45]
	s_cbranch_vccz .LBB2_4683
; %bb.4670:                             ;   in Loop: Header=BB2_4283 Depth=3
	v_mov_b32_e32 v9, 0
	s_and_saveexec_b64 s[44:45], s[42:43]
	s_cbranch_execz .LBB2_4676
; %bb.4671:                             ;   in Loop: Header=BB2_4283 Depth=3
	v_cmp_ne_u16_e32 vcc, s59, v8
	v_bfrev_b32_e32 v9, 1
	s_and_saveexec_b64 s[42:43], vcc
	s_cbranch_execz .LBB2_4675
; %bb.4672:                             ;   in Loop: Header=BB2_4283 Depth=3
	v_and_b32_e32 v12, 0x7f, v8
	v_cmp_ne_u32_e32 vcc, s97, v12
	v_mov_b32_e32 v9, 0x7f800001
	s_and_saveexec_b64 s[46:47], vcc
	s_cbranch_execz .LBB2_4674
; %bb.4673:                             ;   in Loop: Header=BB2_4283 Depth=3
	v_and_b32_e32 v3, 7, v8
	v_ffbh_u32_e32 v9, v3
	v_lshrrev_b32_e32 v4, 3, v12
	v_cmp_gt_u32_e32 vcc, 8, v12
	v_min_u32_e32 v12, 32, v9
	v_subrev_u32_e32 v9, 28, v12
	v_lshlrev_b64 v[8:9], v9, v[8:9]
	v_sub_u32_e32 v9, 29, v12
	v_and_b32_e32 v8, 7, v8
	v_cndmask_b32_e32 v4, v4, v9, vcc
	v_cndmask_b32_e32 v3, v3, v8, vcc
	v_lshlrev_b32_e32 v8, 16, v10
	v_lshlrev_b32_e32 v3, 20, v3
	v_and_b32_e32 v8, 0x80000000, v8
	v_lshl_add_u32 v4, v4, 23, v48
	v_or3_b32 v9, v8, v4, v3
.LBB2_4674:                             ;   in Loop: Header=BB2_4283 Depth=3
	s_or_b64 exec, exec, s[46:47]
.LBB2_4675:                             ;   in Loop: Header=BB2_4283 Depth=3
	s_or_b64 exec, exec, s[42:43]
.LBB2_4676:                             ;   in Loop: Header=BB2_4283 Depth=3
	s_or_b64 exec, exec, s[44:45]
	v_cmp_lt_i16_e32 vcc, s97, v34
	s_mov_b64 s[42:43], 0
	s_and_saveexec_b64 s[44:45], vcc
	s_xor_b64 s[44:45], exec, s[44:45]
	s_cbranch_execz .LBB2_4969
; %bb.4677:                             ;   in Loop: Header=BB2_4283 Depth=3
	v_cmp_eq_u16_e32 vcc, s59, v34
	s_mov_b64 s[42:43], -1
	s_and_saveexec_b64 s[46:47], vcc
; %bb.4678:                             ;   in Loop: Header=BB2_4283 Depth=3
	s_xor_b64 s[42:43], exec, -1
; %bb.4679:                             ;   in Loop: Header=BB2_4283 Depth=3
	s_or_b64 exec, exec, s[46:47]
	s_and_b64 s[42:43], s[42:43], exec
	s_or_saveexec_b64 s[44:45], s[44:45]
	v_bfrev_b32_e32 v8, 1
	s_xor_b64 exec, exec, s[44:45]
	s_cbranch_execnz .LBB2_4970
.LBB2_4680:                             ;   in Loop: Header=BB2_4283 Depth=3
	s_or_b64 exec, exec, s[44:45]
	s_and_saveexec_b64 s[44:45], s[42:43]
.LBB2_4681:                             ;   in Loop: Header=BB2_4283 Depth=3
	v_cndmask_b32_e64 v8, v1, v49, s[40:41]
.LBB2_4682:                             ;   in Loop: Header=BB2_4283 Depth=3
	s_or_b64 exec, exec, s[44:45]
	v_max_f32_e32 v1, v8, v8
	v_max_f32_e32 v3, v9, v9
	v_min_f32_e32 v9, v3, v1
.LBB2_4683:                             ;   in Loop: Header=BB2_4283 Depth=3
	v_and_b32_e32 v34, 0x7f800000, v9
	v_cmp_ne_u64_e32 vcc, s[90:91], v[34:35]
                                        ; implicit-def: $vgpr40
	s_and_saveexec_b64 s[40:41], vcc
	s_xor_b64 s[42:43], exec, s[40:41]
	s_cbranch_execz .LBB2_4697
; %bb.4684:                             ;   in Loop: Header=BB2_4283 Depth=3
	v_and_b32_e32 v34, 0x7fffffff, v9
	v_cmp_gt_u64_e32 vcc, s[92:93], v[34:35]
	v_and_b32_sdwa v1, v9, s59 dst_sel:DWORD dst_unused:UNUSED_PAD src0_sel:BYTE_3 src1_sel:DWORD
                                        ; implicit-def: $vgpr40
	s_and_saveexec_b64 s[40:41], vcc
	s_xor_b64 s[44:45], exec, s[40:41]
	s_cbranch_execz .LBB2_4694
; %bb.4685:                             ;   in Loop: Header=BB2_4283 Depth=3
	v_mov_b32_e32 v40, 0
	v_cmp_ne_u32_e32 vcc, 0, v9
	s_and_saveexec_b64 s[46:47], vcc
	s_cbranch_execz .LBB2_4693
; %bb.4686:                             ;   in Loop: Header=BB2_4283 Depth=3
	v_bfe_u32 v24, v9, 23, 8
	v_cmp_gt_u32_e64 s[40:41], s56, v24
	v_sub_u32_e32 v4, 0x79, v24
	v_and_b32_e32 v3, 0x7fffff, v9
	v_cmp_eq_u32_e32 vcc, 0, v24
	v_cndmask_b32_e64 v4, 0, v4, s[40:41]
	v_mov_b32_e32 v9, 0x78
	v_or_b32_e32 v8, 0x800000, v3
	v_cndmask_b32_e32 v25, v4, v9, vcc
	v_cndmask_b32_e32 v34, v8, v3, vcc
	v_add_u32_e32 v3, 20, v25
	v_lshlrev_b64 v[8:9], v3, -1
	v_add_u32_e32 v3, 19, v25
	v_lshlrev_b64 v[12:13], v3, 1
	v_bfi_b32 v9, v9, 0, 0
	v_bfi_b32 v8, v8, 0, v34
	v_cmp_eq_u64_e64 s[40:41], v[8:9], v[12:13]
	v_lshrrev_b64 v[8:9], v25, v[34:35]
	v_mov_b32_e32 v13, v9
	v_mov_b32_e32 v12, v8
	s_and_saveexec_b64 s[52:53], s[40:41]
; %bb.4687:                             ;   in Loop: Header=BB2_4283 Depth=3
	v_bfe_u32 v3, v8, 20, 1
	v_add_co_u32_e64 v3, s[40:41], v8, v3
	v_add_co_u32_e64 v12, s[40:41], -1, v3
; %bb.4688:                             ;   in Loop: Header=BB2_4283 Depth=3
	s_or_b64 exec, exec, s[52:53]
	v_add_u32_e32 v3, 0xffffff81, v24
	v_cndmask_b32_e32 v3, v3, v52, vcc
	v_lshrrev_b32_e32 v4, 23, v8
	v_add3_u32 v24, v25, v3, v4
	v_add_u32_e32 v13, 6, v24
	v_and_b32_e32 v3, 0xfffff, v12
	v_add_u32_e32 v34, v3, v8
	v_cmp_ne_u32_e32 vcc, 0, v13
                                        ; implicit-def: $vgpr8_vgpr9
                                        ; implicit-def: $vgpr12
	s_and_saveexec_b64 s[40:41], vcc
	s_xor_b64 s[40:41], exec, s[40:41]
; %bb.4689:                             ;   in Loop: Header=BB2_4283 Depth=3
	v_cmp_lt_u64_e32 vcc, s[94:95], v[34:35]
	v_add_u32_e32 v3, 7, v24
	v_cndmask_b32_e32 v12, v13, v3, vcc
	v_cndmask_b32_e64 v3, 0, 1, vcc
	v_lshrrev_b64 v[8:9], v3, v[34:35]
; %bb.4690:                             ;   in Loop: Header=BB2_4283 Depth=3
	s_andn2_saveexec_b64 s[40:41], s[40:41]
; %bb.4691:                             ;   in Loop: Header=BB2_4283 Depth=3
	v_mov_b32_e32 v8, v34
	v_bfe_u32 v12, v34, 23, 1
	v_mov_b32_e32 v9, v35
; %bb.4692:                             ;   in Loop: Header=BB2_4283 Depth=3
	s_or_b64 exec, exec, s[40:41]
	v_lshrrev_b64 v[8:9], 20, v[8:9]
	v_cmp_gt_i32_e32 vcc, 16, v12
	v_cndmask_b32_e32 v9, 0, v9, vcc
	v_cndmask_b32_e32 v8, 7, v8, vcc
	v_min_i32_e32 v3, 15, v12
	v_cmp_eq_u64_e64 s[40:41], 0, v[8:9]
	v_lshlrev_b32_e32 v3, 3, v3
	v_cmp_eq_u32_e32 vcc, 0, v12
	v_and_b32_e32 v3, 0xf8, v3
	v_and_or_b32 v3, v8, 7, v3
	s_and_b64 s[40:41], vcc, s[40:41]
	v_cndmask_b32_e64 v3, v3, 0, s[40:41]
	v_or_b32_e32 v40, v3, v1
.LBB2_4693:                             ;   in Loop: Header=BB2_4283 Depth=3
	s_or_b64 exec, exec, s[46:47]
                                        ; implicit-def: $vgpr1
.LBB2_4694:                             ;   in Loop: Header=BB2_4283 Depth=3
	s_andn2_saveexec_b64 s[40:41], s[44:45]
; %bb.4695:                             ;   in Loop: Header=BB2_4283 Depth=3
	v_or_b32_e32 v40, 0x7e, v1
; %bb.4696:                             ;   in Loop: Header=BB2_4283 Depth=3
	s_or_b64 exec, exec, s[40:41]
                                        ; implicit-def: $vgpr9
.LBB2_4697:                             ;   in Loop: Header=BB2_4283 Depth=3
	s_andn2_saveexec_b64 s[40:41], s[42:43]
; %bb.4698:                             ;   in Loop: Header=BB2_4283 Depth=3
	v_or_b32_sdwa v40, v9, s97 dst_sel:DWORD dst_unused:UNUSED_PAD src0_sel:BYTE_3 src1_sel:DWORD
; %bb.4699:                             ;   in Loop: Header=BB2_4283 Depth=3
	s_or_b64 exec, exec, s[40:41]
	v_bfe_u32 v1, v14, 16, 3
	v_bfe_u32 v3, v14, 16, 7
	v_cmp_eq_u32_e64 s[40:41], s97, v3
	v_cmp_gt_u32_e32 vcc, 8, v3
	v_ffbh_u32_e32 v3, v1
	v_min_u32_e32 v3, 32, v3
	v_lshrrev_b32_e32 v8, 16, v14
	v_subrev_u32_e32 v9, 28, v3
	v_lshlrev_b64 v[12:13], v9, v[8:9]
	v_bfe_u32 v4, v8, 3, 4
	v_sub_u32_e32 v3, 29, v3
	v_and_b32_e32 v9, 7, v12
	v_cndmask_b32_e32 v3, v4, v3, vcc
	v_cndmask_b32_e32 v1, v1, v9, vcc
	v_lshlrev_b32_e32 v4, 8, v14
	v_lshlrev_b32_e32 v1, 20, v1
	v_and_b32_e32 v4, 0x80000000, v4
	v_lshl_add_u32 v3, v3, 23, v48
	v_lshrrev_b32_e32 v9, 16, v10
	v_or3_b32 v1, v4, v3, v1
	v_cmp_ne_u16_sdwa s[42:43], v9, v35 src0_sel:BYTE_0 src1_sel:DWORD
	s_mov_b64 s[44:45], -1
	s_and_b64 vcc, exec, s[50:51]
                                        ; implicit-def: $vgpr12
	s_cbranch_vccz .LBB2_4713
; %bb.4700:                             ;   in Loop: Header=BB2_4283 Depth=3
	v_mov_b32_e32 v12, 0
	s_and_saveexec_b64 s[44:45], s[42:43]
	s_cbranch_execz .LBB2_4706
; %bb.4701:                             ;   in Loop: Header=BB2_4283 Depth=3
	v_cmp_ne_u16_sdwa vcc, v9, s59 src0_sel:BYTE_0 src1_sel:DWORD
	v_bfrev_b32_e32 v12, 1
	s_and_saveexec_b64 s[46:47], vcc
	s_cbranch_execz .LBB2_4705
; %bb.4702:                             ;   in Loop: Header=BB2_4283 Depth=3
	v_bfe_u32 v13, v10, 16, 7
	v_cmp_ne_u32_e32 vcc, s97, v13
	v_mov_b32_e32 v12, 0x7f800001
	s_and_saveexec_b64 s[52:53], vcc
	s_cbranch_execz .LBB2_4704
; %bb.4703:                             ;   in Loop: Header=BB2_4283 Depth=3
	v_and_b32_e32 v3, 7, v9
	v_ffbh_u32_e32 v12, v3
	v_min_u32_e32 v24, 32, v12
	v_subrev_u32_e32 v12, 28, v24
	v_lshrrev_b32_e32 v4, 3, v13
	v_cmp_gt_u32_e32 vcc, 8, v13
	v_lshlrev_b64 v[12:13], v12, v[9:10]
	v_sub_u32_e32 v13, 29, v24
	v_and_b32_e32 v12, 7, v12
	v_cndmask_b32_e32 v4, v4, v13, vcc
	v_cndmask_b32_e32 v3, v3, v12, vcc
	v_lshlrev_b32_e32 v12, 24, v9
	v_lshlrev_b32_e32 v3, 20, v3
	v_and_b32_e32 v12, 0x80000000, v12
	v_lshl_add_u32 v4, v4, 23, v48
	v_or3_b32 v12, v12, v4, v3
.LBB2_4704:                             ;   in Loop: Header=BB2_4283 Depth=3
	s_or_b64 exec, exec, s[52:53]
.LBB2_4705:                             ;   in Loop: Header=BB2_4283 Depth=3
	s_or_b64 exec, exec, s[46:47]
.LBB2_4706:                             ;   in Loop: Header=BB2_4283 Depth=3
	s_or_b64 exec, exec, s[44:45]
	v_cmp_gt_i16_sdwa s[46:47], v8, s97 src0_sel:BYTE_0 src1_sel:DWORD
	s_mov_b64 s[44:45], 0
	s_and_saveexec_b64 vcc, s[46:47]
	s_xor_b64 s[46:47], exec, vcc
	s_cbranch_execz .LBB2_4971
; %bb.4707:                             ;   in Loop: Header=BB2_4283 Depth=3
	v_cmp_eq_u16_sdwa s[52:53], v8, s59 src0_sel:BYTE_0 src1_sel:DWORD
	s_mov_b64 s[44:45], -1
	s_and_saveexec_b64 vcc, s[52:53]
; %bb.4708:                             ;   in Loop: Header=BB2_4283 Depth=3
	s_xor_b64 s[44:45], exec, -1
; %bb.4709:                             ;   in Loop: Header=BB2_4283 Depth=3
	s_or_b64 exec, exec, vcc
	s_and_b64 s[44:45], s[44:45], exec
	s_or_saveexec_b64 s[46:47], s[46:47]
	v_bfrev_b32_e32 v13, 1
	s_xor_b64 exec, exec, s[46:47]
	s_cbranch_execnz .LBB2_4972
.LBB2_4710:                             ;   in Loop: Header=BB2_4283 Depth=3
	s_or_b64 exec, exec, s[46:47]
	s_and_saveexec_b64 s[46:47], s[44:45]
.LBB2_4711:                             ;   in Loop: Header=BB2_4283 Depth=3
	v_cndmask_b32_e64 v13, v1, v49, s[40:41]
.LBB2_4712:                             ;   in Loop: Header=BB2_4283 Depth=3
	s_or_b64 exec, exec, s[46:47]
	v_max_f32_e32 v3, v13, v13
	v_max_f32_e32 v4, v12, v12
	;; [unrolled: 1-line block ×3, first 2 shown]
	s_mov_b64 s[44:45], 0
.LBB2_4713:                             ;   in Loop: Header=BB2_4283 Depth=3
	s_and_b64 vcc, exec, s[44:45]
	s_cbranch_vccz .LBB2_4727
; %bb.4714:                             ;   in Loop: Header=BB2_4283 Depth=3
	v_mov_b32_e32 v12, 0
	s_and_saveexec_b64 s[44:45], s[42:43]
	s_cbranch_execz .LBB2_4720
; %bb.4715:                             ;   in Loop: Header=BB2_4283 Depth=3
	v_cmp_ne_u16_sdwa s[46:47], v9, s59 src0_sel:BYTE_0 src1_sel:DWORD
	v_bfrev_b32_e32 v12, 1
	s_and_saveexec_b64 s[42:43], s[46:47]
	s_cbranch_execz .LBB2_4719
; %bb.4716:                             ;   in Loop: Header=BB2_4283 Depth=3
	v_bfe_u32 v13, v10, 16, 7
	v_cmp_ne_u32_e32 vcc, s97, v13
	v_mov_b32_e32 v12, 0x7f800001
	s_and_saveexec_b64 s[46:47], vcc
	s_cbranch_execz .LBB2_4718
; %bb.4717:                             ;   in Loop: Header=BB2_4283 Depth=3
	v_and_b32_e32 v3, 7, v9
	v_ffbh_u32_e32 v12, v3
	v_min_u32_e32 v24, 32, v12
	v_subrev_u32_e32 v12, 28, v24
	v_lshrrev_b32_e32 v4, 3, v13
	v_cmp_gt_u32_e32 vcc, 8, v13
	v_lshlrev_b64 v[12:13], v12, v[9:10]
	v_sub_u32_e32 v13, 29, v24
	v_and_b32_e32 v12, 7, v12
	v_cndmask_b32_e32 v4, v4, v13, vcc
	v_cndmask_b32_e32 v3, v3, v12, vcc
	v_lshlrev_b32_e32 v9, 24, v9
	v_lshlrev_b32_e32 v3, 20, v3
	v_and_b32_e32 v9, 0x80000000, v9
	v_lshl_add_u32 v4, v4, 23, v48
	v_or3_b32 v12, v9, v4, v3
.LBB2_4718:                             ;   in Loop: Header=BB2_4283 Depth=3
	s_or_b64 exec, exec, s[46:47]
.LBB2_4719:                             ;   in Loop: Header=BB2_4283 Depth=3
	s_or_b64 exec, exec, s[42:43]
.LBB2_4720:                             ;   in Loop: Header=BB2_4283 Depth=3
	s_or_b64 exec, exec, s[44:45]
	v_cmp_gt_i16_sdwa s[44:45], v8, s97 src0_sel:BYTE_0 src1_sel:DWORD
	s_mov_b64 s[42:43], 0
	s_and_saveexec_b64 s[46:47], s[44:45]
	s_xor_b64 s[44:45], exec, s[46:47]
	s_cbranch_execz .LBB2_4973
; %bb.4721:                             ;   in Loop: Header=BB2_4283 Depth=3
	v_cmp_eq_u16_sdwa vcc, v8, s59 src0_sel:BYTE_0 src1_sel:DWORD
	s_mov_b64 s[42:43], -1
	s_and_saveexec_b64 s[46:47], vcc
; %bb.4722:                             ;   in Loop: Header=BB2_4283 Depth=3
	s_xor_b64 s[42:43], exec, -1
; %bb.4723:                             ;   in Loop: Header=BB2_4283 Depth=3
	s_or_b64 exec, exec, s[46:47]
	s_and_b64 s[42:43], s[42:43], exec
                                        ; implicit-def: $vgpr8
	s_or_saveexec_b64 s[44:45], s[44:45]
	v_bfrev_b32_e32 v9, 1
	s_xor_b64 exec, exec, s[44:45]
	s_cbranch_execnz .LBB2_4974
.LBB2_4724:                             ;   in Loop: Header=BB2_4283 Depth=3
	s_or_b64 exec, exec, s[44:45]
	s_and_saveexec_b64 s[44:45], s[42:43]
.LBB2_4725:                             ;   in Loop: Header=BB2_4283 Depth=3
	v_cndmask_b32_e64 v9, v1, v49, s[40:41]
.LBB2_4726:                             ;   in Loop: Header=BB2_4283 Depth=3
	s_or_b64 exec, exec, s[44:45]
	v_max_f32_e32 v1, v9, v9
	v_max_f32_e32 v3, v12, v12
	v_min_f32_e32 v12, v3, v1
.LBB2_4727:                             ;   in Loop: Header=BB2_4283 Depth=3
	v_and_b32_e32 v34, 0x7f800000, v12
	v_cmp_ne_u64_e32 vcc, s[90:91], v[34:35]
                                        ; implicit-def: $vgpr1
	s_and_saveexec_b64 s[40:41], vcc
	s_xor_b64 s[42:43], exec, s[40:41]
	s_cbranch_execz .LBB2_4741
; %bb.4728:                             ;   in Loop: Header=BB2_4283 Depth=3
	v_and_b32_e32 v34, 0x7fffffff, v12
	v_cmp_gt_u64_e32 vcc, s[92:93], v[34:35]
	v_and_b32_sdwa v24, v12, s59 dst_sel:DWORD dst_unused:UNUSED_PAD src0_sel:BYTE_3 src1_sel:DWORD
                                        ; implicit-def: $vgpr1
	s_and_saveexec_b64 s[40:41], vcc
	s_xor_b64 s[44:45], exec, s[40:41]
	s_cbranch_execz .LBB2_4738
; %bb.4729:                             ;   in Loop: Header=BB2_4283 Depth=3
	v_mov_b32_e32 v1, 0
	v_cmp_ne_u32_e32 vcc, 0, v12
	s_and_saveexec_b64 s[46:47], vcc
	s_cbranch_execz .LBB2_4737
; %bb.4730:                             ;   in Loop: Header=BB2_4283 Depth=3
	v_bfe_u32 v1, v12, 23, 8
	v_cmp_gt_u32_e64 s[40:41], s56, v1
	v_sub_u32_e32 v4, 0x79, v1
	v_and_b32_e32 v3, 0x7fffff, v12
	v_cmp_eq_u32_e32 vcc, 0, v1
	v_cndmask_b32_e64 v4, 0, v4, s[40:41]
	v_mov_b32_e32 v9, 0x78
	v_or_b32_e32 v8, 0x800000, v3
	v_cndmask_b32_e32 v25, v4, v9, vcc
	v_cndmask_b32_e32 v34, v8, v3, vcc
	v_add_u32_e32 v3, 20, v25
	v_lshlrev_b64 v[8:9], v3, -1
	v_add_u32_e32 v3, 19, v25
	v_lshlrev_b64 v[12:13], v3, 1
	v_bfi_b32 v9, v9, 0, 0
	v_bfi_b32 v8, v8, 0, v34
	v_cmp_eq_u64_e64 s[40:41], v[8:9], v[12:13]
	v_lshrrev_b64 v[8:9], v25, v[34:35]
	v_mov_b32_e32 v13, v9
	v_mov_b32_e32 v12, v8
	s_and_saveexec_b64 s[52:53], s[40:41]
; %bb.4731:                             ;   in Loop: Header=BB2_4283 Depth=3
	v_bfe_u32 v3, v8, 20, 1
	v_add_co_u32_e64 v3, s[40:41], v8, v3
	v_add_co_u32_e64 v12, s[40:41], -1, v3
; %bb.4732:                             ;   in Loop: Header=BB2_4283 Depth=3
	s_or_b64 exec, exec, s[52:53]
	v_add_u32_e32 v1, 0xffffff81, v1
	v_cndmask_b32_e32 v1, v1, v52, vcc
	v_lshrrev_b32_e32 v3, 23, v8
	v_add3_u32 v25, v25, v1, v3
	v_add_u32_e32 v13, 6, v25
	v_and_b32_e32 v1, 0xfffff, v12
	v_add_u32_e32 v34, v1, v8
	v_cmp_ne_u32_e32 vcc, 0, v13
                                        ; implicit-def: $vgpr8_vgpr9
                                        ; implicit-def: $vgpr1
	s_and_saveexec_b64 s[40:41], vcc
	s_xor_b64 s[40:41], exec, s[40:41]
; %bb.4733:                             ;   in Loop: Header=BB2_4283 Depth=3
	v_cmp_lt_u64_e32 vcc, s[94:95], v[34:35]
	v_add_u32_e32 v1, 7, v25
	v_cndmask_b32_e64 v3, 0, 1, vcc
	v_cndmask_b32_e32 v1, v13, v1, vcc
	v_lshrrev_b64 v[8:9], v3, v[34:35]
; %bb.4734:                             ;   in Loop: Header=BB2_4283 Depth=3
	s_andn2_saveexec_b64 s[40:41], s[40:41]
; %bb.4735:                             ;   in Loop: Header=BB2_4283 Depth=3
	v_mov_b32_e32 v8, v34
	v_bfe_u32 v1, v34, 23, 1
	v_mov_b32_e32 v9, v35
; %bb.4736:                             ;   in Loop: Header=BB2_4283 Depth=3
	s_or_b64 exec, exec, s[40:41]
	v_lshrrev_b64 v[8:9], 20, v[8:9]
	v_cmp_gt_i32_e32 vcc, 16, v1
	v_cndmask_b32_e32 v9, 0, v9, vcc
	v_cndmask_b32_e32 v8, 7, v8, vcc
	v_cmp_eq_u32_e32 vcc, 0, v1
	v_min_i32_e32 v1, 15, v1
	v_cmp_eq_u64_e64 s[40:41], 0, v[8:9]
	v_lshlrev_b32_e32 v1, 3, v1
	v_and_b32_e32 v1, 0xf8, v1
	v_and_or_b32 v1, v8, 7, v1
	s_and_b64 s[40:41], vcc, s[40:41]
	v_cndmask_b32_e64 v1, v1, 0, s[40:41]
	v_or_b32_e32 v1, v1, v24
.LBB2_4737:                             ;   in Loop: Header=BB2_4283 Depth=3
	s_or_b64 exec, exec, s[46:47]
                                        ; implicit-def: $vgpr24
.LBB2_4738:                             ;   in Loop: Header=BB2_4283 Depth=3
	s_andn2_saveexec_b64 s[40:41], s[44:45]
; %bb.4739:                             ;   in Loop: Header=BB2_4283 Depth=3
	v_or_b32_e32 v1, 0x7e, v24
; %bb.4740:                             ;   in Loop: Header=BB2_4283 Depth=3
	s_or_b64 exec, exec, s[40:41]
                                        ; implicit-def: $vgpr12
.LBB2_4741:                             ;   in Loop: Header=BB2_4283 Depth=3
	s_andn2_saveexec_b64 s[40:41], s[42:43]
; %bb.4742:                             ;   in Loop: Header=BB2_4283 Depth=3
	v_or_b32_sdwa v1, v12, s97 dst_sel:DWORD dst_unused:UNUSED_PAD src0_sel:BYTE_3 src1_sel:DWORD
; %bb.4743:                             ;   in Loop: Header=BB2_4283 Depth=3
	s_or_b64 exec, exec, s[40:41]
	v_bfe_u32 v3, v14, 24, 3
	v_bfe_u32 v4, v14, 24, 7
	v_cmp_eq_u32_e64 s[44:45], s97, v4
	v_cmp_gt_u32_e32 vcc, 8, v4
	v_ffbh_u32_e32 v4, v3
	v_min_u32_e32 v4, 32, v4
	v_lshrrev_b32_e32 v9, 24, v14
	v_subrev_u32_e32 v12, 28, v4
	v_lshlrev_b64 v[12:13], v12, v[9:10]
	v_bfe_u32 v24, v9, 3, 4
	v_cmp_eq_u32_e64 s[42:43], s59, v9
	v_sub_u32_e32 v4, 29, v4
	v_and_b32_e32 v9, 7, v12
	v_cndmask_b32_e32 v4, v24, v4, vcc
	v_cndmask_b32_e32 v3, v3, v9, vcc
	v_lshlrev_b32_e32 v3, 20, v3
	v_and_b32_e32 v9, 0x80000000, v14
	v_lshl_add_u32 v4, v4, 23, v48
	v_lshrrev_b32_e32 v8, 24, v10
	v_cmp_gt_u32_e64 s[40:41], s61, v14
	v_or3_b32 v9, v9, v4, v3
	v_cmp_lt_u32_e64 s[46:47], s63, v10
	s_mov_b64 s[52:53], -1
	s_and_b64 vcc, exec, s[50:51]
                                        ; implicit-def: $vgpr12
	s_cbranch_vccz .LBB2_4751
; %bb.4744:                             ;   in Loop: Header=BB2_4283 Depth=3
	v_mov_b32_e32 v12, 0
	s_and_saveexec_b64 s[52:53], s[46:47]
	s_cbranch_execz .LBB2_4750
; %bb.4745:                             ;   in Loop: Header=BB2_4283 Depth=3
	v_cmp_ne_u32_e32 vcc, s59, v8
	v_bfrev_b32_e32 v12, 1
	s_and_saveexec_b64 s[54:55], vcc
	s_cbranch_execz .LBB2_4749
; %bb.4746:                             ;   in Loop: Header=BB2_4283 Depth=3
	v_bfe_u32 v13, v10, 24, 7
	v_cmp_ne_u32_e32 vcc, s97, v13
	v_mov_b32_e32 v12, 0x7f800001
	s_and_saveexec_b64 s[64:65], vcc
	s_cbranch_execz .LBB2_4748
; %bb.4747:                             ;   in Loop: Header=BB2_4283 Depth=3
	v_and_b32_e32 v3, 7, v8
	v_ffbh_u32_e32 v12, v3
	v_min_u32_e32 v24, 32, v12
	v_subrev_u32_e32 v12, 28, v24
	v_lshrrev_b32_e32 v4, 3, v13
	v_cmp_gt_u32_e32 vcc, 8, v13
	v_lshlrev_b64 v[12:13], v12, v[8:9]
	v_sub_u32_e32 v13, 29, v24
	v_and_b32_e32 v12, 7, v12
	v_cndmask_b32_e32 v4, v4, v13, vcc
	v_cndmask_b32_e32 v3, v3, v12, vcc
	v_lshlrev_b32_e32 v12, 24, v8
	v_lshlrev_b32_e32 v3, 20, v3
	v_and_b32_e32 v12, 0x80000000, v12
	v_lshl_add_u32 v4, v4, 23, v48
	v_or3_b32 v12, v12, v4, v3
.LBB2_4748:                             ;   in Loop: Header=BB2_4283 Depth=3
	s_or_b64 exec, exec, s[64:65]
.LBB2_4749:                             ;   in Loop: Header=BB2_4283 Depth=3
	s_or_b64 exec, exec, s[54:55]
.LBB2_4750:                             ;   in Loop: Header=BB2_4283 Depth=3
	s_or_b64 exec, exec, s[52:53]
	v_cndmask_b32_e64 v3, v9, v49, s[44:45]
	v_cndmask_b32_e64 v3, v3, v0, s[42:43]
	;; [unrolled: 1-line block ×3, first 2 shown]
	v_max_f32_e32 v3, v3, v3
	v_max_f32_e32 v4, v12, v12
	;; [unrolled: 1-line block ×3, first 2 shown]
	s_mov_b64 s[52:53], 0
.LBB2_4751:                             ;   in Loop: Header=BB2_4283 Depth=3
	s_and_b64 vcc, exec, s[52:53]
	s_cbranch_vccz .LBB2_4759
; %bb.4752:                             ;   in Loop: Header=BB2_4283 Depth=3
	v_mov_b32_e32 v12, 0
	s_and_saveexec_b64 s[52:53], s[46:47]
	s_cbranch_execz .LBB2_4758
; %bb.4753:                             ;   in Loop: Header=BB2_4283 Depth=3
	v_cmp_ne_u32_e32 vcc, s59, v8
	v_bfrev_b32_e32 v12, 1
	s_and_saveexec_b64 s[46:47], vcc
	s_cbranch_execz .LBB2_4757
; %bb.4754:                             ;   in Loop: Header=BB2_4283 Depth=3
	v_bfe_u32 v13, v10, 24, 7
	v_cmp_ne_u32_e32 vcc, s97, v13
	v_mov_b32_e32 v12, 0x7f800001
	s_and_saveexec_b64 s[54:55], vcc
	s_cbranch_execz .LBB2_4756
; %bb.4755:                             ;   in Loop: Header=BB2_4283 Depth=3
	v_and_b32_e32 v3, 7, v8
	v_ffbh_u32_e32 v12, v3
	v_min_u32_e32 v24, 32, v12
	v_subrev_u32_e32 v12, 28, v24
	v_lshrrev_b32_e32 v4, 3, v13
	v_cmp_gt_u32_e32 vcc, 8, v13
	v_lshlrev_b64 v[12:13], v12, v[8:9]
	v_sub_u32_e32 v13, 29, v24
	v_and_b32_e32 v12, 7, v12
	v_cndmask_b32_e32 v4, v4, v13, vcc
	v_cndmask_b32_e32 v3, v3, v12, vcc
	v_lshlrev_b32_e32 v8, 24, v8
	v_lshlrev_b32_e32 v3, 20, v3
	v_and_b32_e32 v8, 0x80000000, v8
	v_lshl_add_u32 v4, v4, 23, v48
	v_or3_b32 v12, v8, v4, v3
.LBB2_4756:                             ;   in Loop: Header=BB2_4283 Depth=3
	s_or_b64 exec, exec, s[54:55]
.LBB2_4757:                             ;   in Loop: Header=BB2_4283 Depth=3
	s_or_b64 exec, exec, s[46:47]
.LBB2_4758:                             ;   in Loop: Header=BB2_4283 Depth=3
	s_or_b64 exec, exec, s[52:53]
	v_cndmask_b32_e64 v3, v9, v49, s[44:45]
	v_cndmask_b32_e64 v3, v3, v0, s[42:43]
	;; [unrolled: 1-line block ×3, first 2 shown]
	v_max_f32_e32 v3, v3, v3
	v_max_f32_e32 v4, v12, v12
	v_min_f32_e32 v12, v4, v3
.LBB2_4759:                             ;   in Loop: Header=BB2_4283 Depth=3
	v_and_b32_e32 v34, 0x7f800000, v12
	v_cmp_ne_u64_e32 vcc, s[90:91], v[34:35]
                                        ; implicit-def: $vgpr41
	s_and_saveexec_b64 s[40:41], vcc
	s_xor_b64 s[42:43], exec, s[40:41]
	s_cbranch_execz .LBB2_4773
; %bb.4760:                             ;   in Loop: Header=BB2_4283 Depth=3
	v_and_b32_e32 v34, 0x7fffffff, v12
	v_cmp_gt_u64_e32 vcc, s[92:93], v[34:35]
	v_and_b32_sdwa v24, v12, s59 dst_sel:DWORD dst_unused:UNUSED_PAD src0_sel:BYTE_3 src1_sel:DWORD
                                        ; implicit-def: $vgpr41
	s_and_saveexec_b64 s[40:41], vcc
	s_xor_b64 s[44:45], exec, s[40:41]
	s_cbranch_execz .LBB2_4770
; %bb.4761:                             ;   in Loop: Header=BB2_4283 Depth=3
	v_mov_b32_e32 v41, 0
	v_cmp_ne_u32_e32 vcc, 0, v12
	s_and_saveexec_b64 s[46:47], vcc
	s_cbranch_execz .LBB2_4769
; %bb.4762:                             ;   in Loop: Header=BB2_4283 Depth=3
	v_bfe_u32 v25, v12, 23, 8
	v_cmp_gt_u32_e64 s[40:41], s56, v25
	v_sub_u32_e32 v4, 0x79, v25
	v_and_b32_e32 v3, 0x7fffff, v12
	v_cmp_eq_u32_e32 vcc, 0, v25
	v_cndmask_b32_e64 v4, 0, v4, s[40:41]
	v_mov_b32_e32 v9, 0x78
	v_or_b32_e32 v8, 0x800000, v3
	v_cndmask_b32_e32 v41, v4, v9, vcc
	v_cndmask_b32_e32 v34, v8, v3, vcc
	v_add_u32_e32 v3, 20, v41
	v_lshlrev_b64 v[8:9], v3, -1
	v_add_u32_e32 v3, 19, v41
	v_lshlrev_b64 v[12:13], v3, 1
	v_bfi_b32 v9, v9, 0, 0
	v_bfi_b32 v8, v8, 0, v34
	v_cmp_eq_u64_e64 s[40:41], v[8:9], v[12:13]
	v_lshrrev_b64 v[8:9], v41, v[34:35]
	v_mov_b32_e32 v13, v9
	v_mov_b32_e32 v12, v8
	s_and_saveexec_b64 s[52:53], s[40:41]
; %bb.4763:                             ;   in Loop: Header=BB2_4283 Depth=3
	v_bfe_u32 v3, v8, 20, 1
	v_add_co_u32_e64 v3, s[40:41], v8, v3
	v_add_co_u32_e64 v12, s[40:41], -1, v3
; %bb.4764:                             ;   in Loop: Header=BB2_4283 Depth=3
	s_or_b64 exec, exec, s[52:53]
	v_add_u32_e32 v3, 0xffffff81, v25
	v_cndmask_b32_e32 v3, v3, v52, vcc
	v_lshrrev_b32_e32 v4, 23, v8
	v_add3_u32 v25, v41, v3, v4
	v_add_u32_e32 v13, 6, v25
	v_and_b32_e32 v3, 0xfffff, v12
	v_add_u32_e32 v34, v3, v8
	v_cmp_ne_u32_e32 vcc, 0, v13
                                        ; implicit-def: $vgpr8_vgpr9
                                        ; implicit-def: $vgpr12
	s_and_saveexec_b64 s[40:41], vcc
	s_xor_b64 s[40:41], exec, s[40:41]
; %bb.4765:                             ;   in Loop: Header=BB2_4283 Depth=3
	v_cmp_lt_u64_e32 vcc, s[94:95], v[34:35]
	v_add_u32_e32 v3, 7, v25
	v_cndmask_b32_e32 v12, v13, v3, vcc
	v_cndmask_b32_e64 v3, 0, 1, vcc
	v_lshrrev_b64 v[8:9], v3, v[34:35]
; %bb.4766:                             ;   in Loop: Header=BB2_4283 Depth=3
	s_andn2_saveexec_b64 s[40:41], s[40:41]
; %bb.4767:                             ;   in Loop: Header=BB2_4283 Depth=3
	v_mov_b32_e32 v8, v34
	v_bfe_u32 v12, v34, 23, 1
	v_mov_b32_e32 v9, v35
; %bb.4768:                             ;   in Loop: Header=BB2_4283 Depth=3
	s_or_b64 exec, exec, s[40:41]
	v_lshrrev_b64 v[8:9], 20, v[8:9]
	v_cmp_gt_i32_e32 vcc, 16, v12
	v_cndmask_b32_e32 v9, 0, v9, vcc
	v_cndmask_b32_e32 v8, 7, v8, vcc
	v_min_i32_e32 v3, 15, v12
	v_cmp_eq_u64_e64 s[40:41], 0, v[8:9]
	v_lshlrev_b32_e32 v3, 3, v3
	v_cmp_eq_u32_e32 vcc, 0, v12
	v_and_b32_e32 v3, 0xf8, v3
	v_and_or_b32 v3, v8, 7, v3
	s_and_b64 s[40:41], vcc, s[40:41]
	v_cndmask_b32_e64 v3, v3, 0, s[40:41]
	v_or_b32_e32 v41, v3, v24
.LBB2_4769:                             ;   in Loop: Header=BB2_4283 Depth=3
	s_or_b64 exec, exec, s[46:47]
                                        ; implicit-def: $vgpr24
.LBB2_4770:                             ;   in Loop: Header=BB2_4283 Depth=3
	s_andn2_saveexec_b64 s[40:41], s[44:45]
; %bb.4771:                             ;   in Loop: Header=BB2_4283 Depth=3
	v_or_b32_e32 v41, 0x7e, v24
; %bb.4772:                             ;   in Loop: Header=BB2_4283 Depth=3
	s_or_b64 exec, exec, s[40:41]
                                        ; implicit-def: $vgpr12
.LBB2_4773:                             ;   in Loop: Header=BB2_4283 Depth=3
	s_andn2_saveexec_b64 s[40:41], s[42:43]
; %bb.4774:                             ;   in Loop: Header=BB2_4283 Depth=3
	v_or_b32_sdwa v41, v12, s97 dst_sel:DWORD dst_unused:UNUSED_PAD src0_sel:BYTE_3 src1_sel:DWORD
; %bb.4775:                             ;   in Loop: Header=BB2_4283 Depth=3
	s_or_b64 exec, exec, s[40:41]
	v_and_b32_e32 v3, 7, v15
	v_ffbh_u32_e32 v3, v3
	v_and_b32_e32 v4, 0x7f, v15
	v_min_u32_e32 v3, 32, v3
	v_cmp_eq_u32_e64 s[40:41], s97, v4
	v_cmp_gt_u32_e32 vcc, 8, v4
	v_subrev_u32_e32 v4, 28, v3
	v_mov_b32_e32 v8, v15
	v_mov_b32_e32 v9, v35
	v_bfe_u32 v12, v15, 3, 4
	v_sub_u32_e32 v3, 29, v3
	v_cndmask_b32_e32 v4, 0, v4, vcc
	v_cndmask_b32_e32 v3, v12, v3, vcc
	v_lshlrev_b64 v[12:13], v4, v[8:9]
	v_lshlrev_b32_e32 v9, 24, v15
	v_lshlrev_b32_e32 v4, 20, v12
	v_and_b32_e32 v4, 0x700000, v4
	v_and_b32_e32 v9, 0x80000000, v9
	v_lshl_add_u32 v3, v3, 23, v48
	v_mov_b32_e32 v34, v11
	v_or3_b32 v9, v9, v3, v4
	v_cmp_ne_u16_sdwa s[42:43], v11, v35 src0_sel:BYTE_0 src1_sel:DWORD
	s_mov_b64 s[44:45], -1
	s_and_b64 vcc, exec, s[50:51]
                                        ; implicit-def: $vgpr12
	s_cbranch_vccz .LBB2_4789
; %bb.4776:                             ;   in Loop: Header=BB2_4283 Depth=3
	v_mov_b32_e32 v12, 0
	s_and_saveexec_b64 s[44:45], s[42:43]
	s_cbranch_execz .LBB2_4782
; %bb.4777:                             ;   in Loop: Header=BB2_4283 Depth=3
	v_cmp_ne_u16_sdwa vcc, v11, s59 src0_sel:BYTE_0 src1_sel:DWORD
	v_bfrev_b32_e32 v12, 1
	s_and_saveexec_b64 s[46:47], vcc
	s_cbranch_execz .LBB2_4781
; %bb.4778:                             ;   in Loop: Header=BB2_4283 Depth=3
	v_and_b32_e32 v13, 0x7f, v11
	v_cmp_ne_u32_e32 vcc, s97, v13
	v_mov_b32_e32 v12, 0x7f800001
	s_and_saveexec_b64 s[52:53], vcc
	s_cbranch_execz .LBB2_4780
; %bb.4779:                             ;   in Loop: Header=BB2_4283 Depth=3
	v_and_b32_e32 v3, 7, v11
	v_ffbh_u32_e32 v3, v3
	v_min_u32_e32 v3, 32, v3
	v_lshrrev_b32_e32 v4, 3, v13
	v_cmp_gt_u32_e32 vcc, 8, v13
	v_subrev_u32_e32 v12, 28, v3
	v_sub_u32_e32 v3, 29, v3
	v_cndmask_b32_e32 v3, v4, v3, vcc
	v_cndmask_b32_e32 v4, 0, v12, vcc
	v_lshlrev_b64 v[12:13], v4, v[34:35]
	v_lshl_add_u32 v3, v3, 23, v48
	v_lshlrev_b32_e32 v4, 20, v12
	v_lshlrev_b32_e32 v12, 24, v34
	v_and_b32_e32 v4, 0x700000, v4
	v_and_b32_e32 v12, 0x80000000, v12
	v_or3_b32 v12, v12, v3, v4
.LBB2_4780:                             ;   in Loop: Header=BB2_4283 Depth=3
	s_or_b64 exec, exec, s[52:53]
.LBB2_4781:                             ;   in Loop: Header=BB2_4283 Depth=3
	s_or_b64 exec, exec, s[46:47]
.LBB2_4782:                             ;   in Loop: Header=BB2_4283 Depth=3
	s_or_b64 exec, exec, s[44:45]
	v_cmp_gt_i16_sdwa s[46:47], v15, s97 src0_sel:BYTE_0 src1_sel:DWORD
	s_mov_b64 s[44:45], 0
	s_and_saveexec_b64 vcc, s[46:47]
	s_xor_b64 s[46:47], exec, vcc
	s_cbranch_execz .LBB2_4975
; %bb.4783:                             ;   in Loop: Header=BB2_4283 Depth=3
	v_cmp_eq_u16_sdwa s[52:53], v15, s59 src0_sel:BYTE_0 src1_sel:DWORD
	s_mov_b64 s[44:45], -1
	s_and_saveexec_b64 vcc, s[52:53]
; %bb.4784:                             ;   in Loop: Header=BB2_4283 Depth=3
	s_xor_b64 s[44:45], exec, -1
; %bb.4785:                             ;   in Loop: Header=BB2_4283 Depth=3
	s_or_b64 exec, exec, vcc
	s_and_b64 s[44:45], s[44:45], exec
	s_or_saveexec_b64 s[46:47], s[46:47]
	v_bfrev_b32_e32 v13, 1
	s_xor_b64 exec, exec, s[46:47]
	s_cbranch_execnz .LBB2_4976
.LBB2_4786:                             ;   in Loop: Header=BB2_4283 Depth=3
	s_or_b64 exec, exec, s[46:47]
	s_and_saveexec_b64 s[46:47], s[44:45]
.LBB2_4787:                             ;   in Loop: Header=BB2_4283 Depth=3
	v_cndmask_b32_e64 v13, v9, v49, s[40:41]
.LBB2_4788:                             ;   in Loop: Header=BB2_4283 Depth=3
	s_or_b64 exec, exec, s[46:47]
	v_max_f32_e32 v3, v13, v13
	v_max_f32_e32 v4, v12, v12
	;; [unrolled: 1-line block ×3, first 2 shown]
	s_mov_b64 s[44:45], 0
.LBB2_4789:                             ;   in Loop: Header=BB2_4283 Depth=3
	s_and_b64 vcc, exec, s[44:45]
	s_cbranch_vccz .LBB2_4803
; %bb.4790:                             ;   in Loop: Header=BB2_4283 Depth=3
	v_mov_b32_e32 v12, 0
	s_and_saveexec_b64 s[44:45], s[42:43]
	s_cbranch_execz .LBB2_4796
; %bb.4791:                             ;   in Loop: Header=BB2_4283 Depth=3
	v_cmp_ne_u16_sdwa s[46:47], v11, s59 src0_sel:BYTE_0 src1_sel:DWORD
	v_bfrev_b32_e32 v12, 1
	s_and_saveexec_b64 s[42:43], s[46:47]
	s_cbranch_execz .LBB2_4795
; %bb.4792:                             ;   in Loop: Header=BB2_4283 Depth=3
	v_and_b32_e32 v13, 0x7f, v11
	v_cmp_ne_u32_e32 vcc, s97, v13
	v_mov_b32_e32 v12, 0x7f800001
	s_and_saveexec_b64 s[46:47], vcc
	s_cbranch_execz .LBB2_4794
; %bb.4793:                             ;   in Loop: Header=BB2_4283 Depth=3
	v_and_b32_e32 v3, 7, v11
	v_ffbh_u32_e32 v3, v3
	v_min_u32_e32 v3, 32, v3
	v_lshrrev_b32_e32 v4, 3, v13
	v_cmp_gt_u32_e32 vcc, 8, v13
	v_subrev_u32_e32 v12, 28, v3
	v_sub_u32_e32 v3, 29, v3
	v_cndmask_b32_e32 v3, v4, v3, vcc
	v_cndmask_b32_e32 v4, 0, v12, vcc
	v_lshlrev_b64 v[12:13], v4, v[34:35]
	v_lshl_add_u32 v3, v3, 23, v48
	v_lshlrev_b32_e32 v4, 20, v12
	v_lshlrev_b32_e32 v12, 24, v34
	v_and_b32_e32 v4, 0x700000, v4
	v_and_b32_e32 v12, 0x80000000, v12
	v_or3_b32 v12, v12, v3, v4
.LBB2_4794:                             ;   in Loop: Header=BB2_4283 Depth=3
	s_or_b64 exec, exec, s[46:47]
.LBB2_4795:                             ;   in Loop: Header=BB2_4283 Depth=3
	s_or_b64 exec, exec, s[42:43]
.LBB2_4796:                             ;   in Loop: Header=BB2_4283 Depth=3
	s_or_b64 exec, exec, s[44:45]
	v_cmp_gt_i16_sdwa s[44:45], v15, s97 src0_sel:BYTE_0 src1_sel:DWORD
	s_mov_b64 s[42:43], 0
	s_and_saveexec_b64 s[46:47], s[44:45]
	s_xor_b64 s[44:45], exec, s[46:47]
	s_cbranch_execz .LBB2_4977
; %bb.4797:                             ;   in Loop: Header=BB2_4283 Depth=3
	v_cmp_eq_u16_sdwa vcc, v15, s59 src0_sel:BYTE_0 src1_sel:DWORD
	s_mov_b64 s[42:43], -1
	s_and_saveexec_b64 s[46:47], vcc
; %bb.4798:                             ;   in Loop: Header=BB2_4283 Depth=3
	s_xor_b64 s[42:43], exec, -1
; %bb.4799:                             ;   in Loop: Header=BB2_4283 Depth=3
	s_or_b64 exec, exec, s[46:47]
	s_and_b64 s[42:43], s[42:43], exec
	s_or_saveexec_b64 s[44:45], s[44:45]
	v_bfrev_b32_e32 v13, 1
	s_xor_b64 exec, exec, s[44:45]
	s_cbranch_execnz .LBB2_4978
.LBB2_4800:                             ;   in Loop: Header=BB2_4283 Depth=3
	s_or_b64 exec, exec, s[44:45]
	s_and_saveexec_b64 s[44:45], s[42:43]
.LBB2_4801:                             ;   in Loop: Header=BB2_4283 Depth=3
	v_cndmask_b32_e64 v13, v9, v49, s[40:41]
.LBB2_4802:                             ;   in Loop: Header=BB2_4283 Depth=3
	s_or_b64 exec, exec, s[44:45]
	v_max_f32_e32 v3, v13, v13
	v_max_f32_e32 v4, v12, v12
	v_min_f32_e32 v12, v4, v3
.LBB2_4803:                             ;   in Loop: Header=BB2_4283 Depth=3
	v_and_b32_e32 v24, 0x7f800000, v12
	v_mov_b32_e32 v25, v35
	v_cmp_ne_u64_e32 vcc, s[90:91], v[24:25]
                                        ; implicit-def: $vgpr24
	s_and_saveexec_b64 s[40:41], vcc
	s_xor_b64 s[42:43], exec, s[40:41]
	s_cbranch_execz .LBB2_4817
; %bb.4804:                             ;   in Loop: Header=BB2_4283 Depth=3
	v_and_b32_e32 v24, 0x7fffffff, v12
	v_mov_b32_e32 v25, v35
	v_cmp_gt_u64_e32 vcc, s[92:93], v[24:25]
	v_and_b32_sdwa v9, v12, s59 dst_sel:DWORD dst_unused:UNUSED_PAD src0_sel:BYTE_3 src1_sel:DWORD
                                        ; implicit-def: $vgpr24
	s_and_saveexec_b64 s[40:41], vcc
	s_xor_b64 s[44:45], exec, s[40:41]
	s_cbranch_execz .LBB2_4814
; %bb.4805:                             ;   in Loop: Header=BB2_4283 Depth=3
	v_mov_b32_e32 v24, 0
	v_cmp_ne_u32_e32 vcc, 0, v12
	s_and_saveexec_b64 s[46:47], vcc
	s_cbranch_execz .LBB2_4813
; %bb.4806:                             ;   in Loop: Header=BB2_4283 Depth=3
	v_bfe_u32 v24, v12, 23, 8
	v_cmp_gt_u32_e64 s[40:41], s56, v24
	v_sub_u32_e32 v4, 0x79, v24
	v_and_b32_e32 v3, 0x7fffff, v12
	v_cmp_eq_u32_e32 vcc, 0, v24
	v_cndmask_b32_e64 v4, 0, v4, s[40:41]
	v_mov_b32_e32 v13, 0x78
	v_or_b32_e32 v12, 0x800000, v3
	v_cndmask_b32_e32 v25, v4, v13, vcc
	v_cndmask_b32_e32 v12, v12, v3, vcc
	v_add_u32_e32 v3, 20, v25
	v_lshlrev_b64 v[57:58], v3, -1
	v_mov_b32_e32 v13, v35
	v_add_u32_e32 v3, 19, v25
	v_bfi_b32 v57, v57, 0, v12
	v_lshlrev_b64 v[59:60], v3, 1
	v_lshrrev_b64 v[12:13], v25, v[12:13]
	v_bfi_b32 v58, v58, 0, 0
	v_cmp_eq_u64_e64 s[40:41], v[57:58], v[59:60]
	v_mov_b32_e32 v58, v13
	v_mov_b32_e32 v57, v12
	s_and_saveexec_b64 s[52:53], s[40:41]
; %bb.4807:                             ;   in Loop: Header=BB2_4283 Depth=3
	v_bfe_u32 v3, v12, 20, 1
	v_add_co_u32_e64 v3, s[40:41], v12, v3
	v_add_co_u32_e64 v57, s[40:41], -1, v3
; %bb.4808:                             ;   in Loop: Header=BB2_4283 Depth=3
	s_or_b64 exec, exec, s[52:53]
	v_add_u32_e32 v3, 0xffffff81, v24
	v_cndmask_b32_e32 v3, v3, v52, vcc
	v_lshrrev_b32_e32 v4, 23, v12
	v_add3_u32 v58, v25, v3, v4
	v_add_u32_e32 v25, 6, v58
	v_and_b32_e32 v3, 0xfffff, v57
	v_add_u32_e32 v12, v3, v12
	v_mov_b32_e32 v13, v35
	v_cmp_ne_u32_e32 vcc, 0, v25
                                        ; implicit-def: $vgpr24
	s_and_saveexec_b64 s[40:41], vcc
	s_xor_b64 s[40:41], exec, s[40:41]
; %bb.4809:                             ;   in Loop: Header=BB2_4283 Depth=3
	v_cmp_lt_u64_e32 vcc, s[94:95], v[12:13]
	v_add_u32_e32 v3, 7, v58
	v_cndmask_b32_e32 v24, v25, v3, vcc
	v_cndmask_b32_e64 v3, 0, 1, vcc
	v_lshrrev_b64 v[12:13], v3, v[12:13]
; %bb.4810:                             ;   in Loop: Header=BB2_4283 Depth=3
	s_andn2_saveexec_b64 s[40:41], s[40:41]
; %bb.4811:                             ;   in Loop: Header=BB2_4283 Depth=3
	v_bfe_u32 v24, v12, 23, 1
; %bb.4812:                             ;   in Loop: Header=BB2_4283 Depth=3
	s_or_b64 exec, exec, s[40:41]
	v_lshrrev_b64 v[12:13], 20, v[12:13]
	v_cmp_gt_i32_e32 vcc, 16, v24
	v_cndmask_b32_e32 v13, 0, v13, vcc
	v_cndmask_b32_e32 v12, 7, v12, vcc
	v_min_i32_e32 v3, 15, v24
	v_cmp_eq_u64_e64 s[40:41], 0, v[12:13]
	v_lshlrev_b32_e32 v3, 3, v3
	v_cmp_eq_u32_e32 vcc, 0, v24
	v_and_b32_e32 v3, 0xf8, v3
	v_and_or_b32 v3, v12, 7, v3
	s_and_b64 s[40:41], vcc, s[40:41]
	v_cndmask_b32_e64 v3, v3, 0, s[40:41]
	v_or_b32_e32 v24, v3, v9
.LBB2_4813:                             ;   in Loop: Header=BB2_4283 Depth=3
	s_or_b64 exec, exec, s[46:47]
                                        ; implicit-def: $vgpr9
.LBB2_4814:                             ;   in Loop: Header=BB2_4283 Depth=3
	s_andn2_saveexec_b64 s[40:41], s[44:45]
; %bb.4815:                             ;   in Loop: Header=BB2_4283 Depth=3
	v_or_b32_e32 v24, 0x7e, v9
; %bb.4816:                             ;   in Loop: Header=BB2_4283 Depth=3
	s_or_b64 exec, exec, s[40:41]
                                        ; implicit-def: $vgpr12
.LBB2_4817:                             ;   in Loop: Header=BB2_4283 Depth=3
	s_andn2_saveexec_b64 s[40:41], s[42:43]
; %bb.4818:                             ;   in Loop: Header=BB2_4283 Depth=3
	v_or_b32_sdwa v24, v12, s97 dst_sel:DWORD dst_unused:UNUSED_PAD src0_sel:BYTE_3 src1_sel:DWORD
; %bb.4819:                             ;   in Loop: Header=BB2_4283 Depth=3
	s_or_b64 exec, exec, s[40:41]
	v_lshrrev_b16_e32 v8, 8, v8
	v_and_b32_e32 v3, 7, v8
	v_and_b32_e32 v4, 0x7f, v8
	v_cmp_eq_u32_e64 s[40:41], s97, v4
	v_cmp_gt_u32_e32 vcc, 8, v4
	v_ffbh_u32_e32 v4, v3
	v_min_u32_e32 v4, 32, v4
	v_mov_b32_e32 v9, v35
	v_subrev_u32_e32 v25, 28, v4
	v_lshlrev_b64 v[57:58], v25, v[8:9]
	v_bfe_u32 v13, v8, 3, 4
	v_sub_u32_e32 v4, 29, v4
	v_and_b32_e32 v9, 7, v57
	v_cndmask_b32_e32 v4, v13, v4, vcc
	v_cndmask_b32_e32 v3, v3, v9, vcc
	v_lshlrev_b32_e32 v9, 24, v8
	v_lshrrev_b16_e32 v12, 8, v34
	v_lshlrev_b32_e32 v3, 20, v3
	v_and_b32_e32 v9, 0x80000000, v9
	v_lshl_add_u32 v4, v4, 23, v48
	v_or3_b32 v9, v9, v4, v3
	v_cmp_ne_u16_e64 s[42:43], 0, v12
	s_mov_b64 s[44:45], -1
	s_and_b64 vcc, exec, s[50:51]
                                        ; implicit-def: $vgpr13
	s_cbranch_vccz .LBB2_4833
; %bb.4820:                             ;   in Loop: Header=BB2_4283 Depth=3
	v_mov_b32_e32 v13, 0
	s_and_saveexec_b64 s[44:45], s[42:43]
	s_cbranch_execz .LBB2_4826
; %bb.4821:                             ;   in Loop: Header=BB2_4283 Depth=3
	v_cmp_ne_u16_e32 vcc, s59, v12
	v_bfrev_b32_e32 v13, 1
	s_and_saveexec_b64 s[46:47], vcc
	s_cbranch_execz .LBB2_4825
; %bb.4822:                             ;   in Loop: Header=BB2_4283 Depth=3
	v_and_b32_e32 v25, 0x7f, v12
	v_cmp_ne_u32_e32 vcc, s97, v25
	v_mov_b32_e32 v13, 0x7f800001
	s_and_saveexec_b64 s[52:53], vcc
	s_cbranch_execz .LBB2_4824
; %bb.4823:                             ;   in Loop: Header=BB2_4283 Depth=3
	v_and_b32_e32 v3, 7, v12
	v_ffbh_u32_e32 v13, v3
	v_min_u32_e32 v13, 32, v13
	v_lshrrev_b32_e32 v4, 3, v25
	v_cmp_gt_u32_e32 vcc, 8, v25
	v_subrev_u32_e32 v25, 28, v13
	v_lshlrev_b64 v[57:58], v25, v[12:13]
	v_sub_u32_e32 v13, 29, v13
	v_and_b32_e32 v25, 7, v57
	v_cndmask_b32_e32 v4, v4, v13, vcc
	v_cndmask_b32_e32 v3, v3, v25, vcc
	v_lshlrev_b32_e32 v13, 16, v34
	v_lshlrev_b32_e32 v3, 20, v3
	v_and_b32_e32 v13, 0x80000000, v13
	v_lshl_add_u32 v4, v4, 23, v48
	v_or3_b32 v13, v13, v4, v3
.LBB2_4824:                             ;   in Loop: Header=BB2_4283 Depth=3
	s_or_b64 exec, exec, s[52:53]
.LBB2_4825:                             ;   in Loop: Header=BB2_4283 Depth=3
	s_or_b64 exec, exec, s[46:47]
.LBB2_4826:                             ;   in Loop: Header=BB2_4283 Depth=3
	s_or_b64 exec, exec, s[44:45]
	v_cmp_lt_i16_e32 vcc, s97, v8
	s_mov_b64 s[44:45], 0
	s_and_saveexec_b64 s[46:47], vcc
	s_xor_b64 s[46:47], exec, s[46:47]
	s_cbranch_execz .LBB2_4979
; %bb.4827:                             ;   in Loop: Header=BB2_4283 Depth=3
	v_cmp_eq_u16_e32 vcc, s59, v8
	s_mov_b64 s[44:45], -1
	s_and_saveexec_b64 s[52:53], vcc
; %bb.4828:                             ;   in Loop: Header=BB2_4283 Depth=3
	s_xor_b64 s[44:45], exec, -1
; %bb.4829:                             ;   in Loop: Header=BB2_4283 Depth=3
	s_or_b64 exec, exec, s[52:53]
	s_and_b64 s[44:45], s[44:45], exec
	s_or_saveexec_b64 s[46:47], s[46:47]
	v_bfrev_b32_e32 v25, 1
	s_xor_b64 exec, exec, s[46:47]
	s_cbranch_execnz .LBB2_4980
.LBB2_4830:                             ;   in Loop: Header=BB2_4283 Depth=3
	s_or_b64 exec, exec, s[46:47]
	s_and_saveexec_b64 s[46:47], s[44:45]
.LBB2_4831:                             ;   in Loop: Header=BB2_4283 Depth=3
	v_cndmask_b32_e64 v25, v9, v49, s[40:41]
.LBB2_4832:                             ;   in Loop: Header=BB2_4283 Depth=3
	s_or_b64 exec, exec, s[46:47]
	v_max_f32_e32 v3, v25, v25
	v_max_f32_e32 v4, v13, v13
	;; [unrolled: 1-line block ×3, first 2 shown]
	s_mov_b64 s[44:45], 0
.LBB2_4833:                             ;   in Loop: Header=BB2_4283 Depth=3
	s_and_b64 vcc, exec, s[44:45]
	s_cbranch_vccz .LBB2_4847
; %bb.4834:                             ;   in Loop: Header=BB2_4283 Depth=3
	v_mov_b32_e32 v13, 0
	s_and_saveexec_b64 s[44:45], s[42:43]
	s_cbranch_execz .LBB2_4840
; %bb.4835:                             ;   in Loop: Header=BB2_4283 Depth=3
	v_cmp_ne_u16_e32 vcc, s59, v12
	v_bfrev_b32_e32 v13, 1
	s_and_saveexec_b64 s[42:43], vcc
	s_cbranch_execz .LBB2_4839
; %bb.4836:                             ;   in Loop: Header=BB2_4283 Depth=3
	v_and_b32_e32 v25, 0x7f, v12
	v_cmp_ne_u32_e32 vcc, s97, v25
	v_mov_b32_e32 v13, 0x7f800001
	s_and_saveexec_b64 s[46:47], vcc
	s_cbranch_execz .LBB2_4838
; %bb.4837:                             ;   in Loop: Header=BB2_4283 Depth=3
	v_and_b32_e32 v3, 7, v12
	v_ffbh_u32_e32 v13, v3
	v_lshrrev_b32_e32 v4, 3, v25
	v_cmp_gt_u32_e32 vcc, 8, v25
	v_min_u32_e32 v25, 32, v13
	v_subrev_u32_e32 v13, 28, v25
	v_lshlrev_b64 v[12:13], v13, v[12:13]
	v_sub_u32_e32 v13, 29, v25
	v_and_b32_e32 v12, 7, v12
	v_cndmask_b32_e32 v4, v4, v13, vcc
	v_cndmask_b32_e32 v3, v3, v12, vcc
	v_lshlrev_b32_e32 v12, 16, v34
	v_lshlrev_b32_e32 v3, 20, v3
	v_and_b32_e32 v12, 0x80000000, v12
	v_lshl_add_u32 v4, v4, 23, v48
	v_or3_b32 v13, v12, v4, v3
.LBB2_4838:                             ;   in Loop: Header=BB2_4283 Depth=3
	s_or_b64 exec, exec, s[46:47]
.LBB2_4839:                             ;   in Loop: Header=BB2_4283 Depth=3
	s_or_b64 exec, exec, s[42:43]
.LBB2_4840:                             ;   in Loop: Header=BB2_4283 Depth=3
	s_or_b64 exec, exec, s[44:45]
	v_cmp_lt_i16_e32 vcc, s97, v8
	s_mov_b64 s[42:43], 0
	s_and_saveexec_b64 s[44:45], vcc
	s_xor_b64 s[44:45], exec, s[44:45]
	s_cbranch_execz .LBB2_4981
; %bb.4841:                             ;   in Loop: Header=BB2_4283 Depth=3
	v_cmp_eq_u16_e32 vcc, s59, v8
	s_mov_b64 s[42:43], -1
	s_and_saveexec_b64 s[46:47], vcc
; %bb.4842:                             ;   in Loop: Header=BB2_4283 Depth=3
	s_xor_b64 s[42:43], exec, -1
; %bb.4843:                             ;   in Loop: Header=BB2_4283 Depth=3
	s_or_b64 exec, exec, s[46:47]
	s_and_b64 s[42:43], s[42:43], exec
                                        ; implicit-def: $vgpr8
	s_or_saveexec_b64 s[44:45], s[44:45]
	v_bfrev_b32_e32 v12, 1
	s_xor_b64 exec, exec, s[44:45]
	s_cbranch_execnz .LBB2_4982
.LBB2_4844:                             ;   in Loop: Header=BB2_4283 Depth=3
	s_or_b64 exec, exec, s[44:45]
	s_and_saveexec_b64 s[44:45], s[42:43]
.LBB2_4845:                             ;   in Loop: Header=BB2_4283 Depth=3
	v_cndmask_b32_e64 v12, v9, v49, s[40:41]
.LBB2_4846:                             ;   in Loop: Header=BB2_4283 Depth=3
	s_or_b64 exec, exec, s[44:45]
	v_max_f32_e32 v3, v12, v12
	v_max_f32_e32 v4, v13, v13
	v_min_f32_e32 v13, v4, v3
.LBB2_4847:                             ;   in Loop: Header=BB2_4283 Depth=3
	v_and_b32_e32 v34, 0x7f800000, v13
	v_cmp_ne_u64_e32 vcc, s[90:91], v[34:35]
                                        ; implicit-def: $vgpr25
	s_and_saveexec_b64 s[40:41], vcc
	s_xor_b64 s[42:43], exec, s[40:41]
	s_cbranch_execz .LBB2_4861
; %bb.4848:                             ;   in Loop: Header=BB2_4283 Depth=3
	v_and_b32_e32 v34, 0x7fffffff, v13
	v_cmp_gt_u64_e32 vcc, s[92:93], v[34:35]
	v_and_b32_sdwa v57, v13, s59 dst_sel:DWORD dst_unused:UNUSED_PAD src0_sel:BYTE_3 src1_sel:DWORD
                                        ; implicit-def: $vgpr25
	s_and_saveexec_b64 s[40:41], vcc
	s_xor_b64 s[44:45], exec, s[40:41]
	s_cbranch_execz .LBB2_4858
; %bb.4849:                             ;   in Loop: Header=BB2_4283 Depth=3
	v_mov_b32_e32 v25, 0
	v_cmp_ne_u32_e32 vcc, 0, v13
	s_and_saveexec_b64 s[46:47], vcc
	s_cbranch_execz .LBB2_4857
; %bb.4850:                             ;   in Loop: Header=BB2_4283 Depth=3
	v_bfe_u32 v25, v13, 23, 8
	v_cmp_gt_u32_e64 s[40:41], s56, v25
	v_sub_u32_e32 v4, 0x79, v25
	v_and_b32_e32 v3, 0x7fffff, v13
	v_cmp_eq_u32_e32 vcc, 0, v25
	v_cndmask_b32_e64 v4, 0, v4, s[40:41]
	v_mov_b32_e32 v9, 0x78
	v_or_b32_e32 v8, 0x800000, v3
	v_cndmask_b32_e32 v58, v4, v9, vcc
	v_cndmask_b32_e32 v34, v8, v3, vcc
	v_add_u32_e32 v3, 20, v58
	v_lshlrev_b64 v[8:9], v3, -1
	v_add_u32_e32 v3, 19, v58
	v_lshlrev_b64 v[12:13], v3, 1
	v_bfi_b32 v9, v9, 0, 0
	v_bfi_b32 v8, v8, 0, v34
	v_cmp_eq_u64_e64 s[40:41], v[8:9], v[12:13]
	v_lshrrev_b64 v[8:9], v58, v[34:35]
	v_mov_b32_e32 v13, v9
	v_mov_b32_e32 v12, v8
	s_and_saveexec_b64 s[52:53], s[40:41]
; %bb.4851:                             ;   in Loop: Header=BB2_4283 Depth=3
	v_bfe_u32 v3, v8, 20, 1
	v_add_co_u32_e64 v3, s[40:41], v8, v3
	v_add_co_u32_e64 v12, s[40:41], -1, v3
; %bb.4852:                             ;   in Loop: Header=BB2_4283 Depth=3
	s_or_b64 exec, exec, s[52:53]
	v_add_u32_e32 v3, 0xffffff81, v25
	v_cndmask_b32_e32 v3, v3, v52, vcc
	v_lshrrev_b32_e32 v4, 23, v8
	v_add3_u32 v25, v58, v3, v4
	v_add_u32_e32 v13, 6, v25
	v_and_b32_e32 v3, 0xfffff, v12
	v_add_u32_e32 v34, v3, v8
	v_cmp_ne_u32_e32 vcc, 0, v13
                                        ; implicit-def: $vgpr8_vgpr9
                                        ; implicit-def: $vgpr12
	s_and_saveexec_b64 s[40:41], vcc
	s_xor_b64 s[40:41], exec, s[40:41]
; %bb.4853:                             ;   in Loop: Header=BB2_4283 Depth=3
	v_cmp_lt_u64_e32 vcc, s[94:95], v[34:35]
	v_add_u32_e32 v3, 7, v25
	v_cndmask_b32_e32 v12, v13, v3, vcc
	v_cndmask_b32_e64 v3, 0, 1, vcc
	v_lshrrev_b64 v[8:9], v3, v[34:35]
; %bb.4854:                             ;   in Loop: Header=BB2_4283 Depth=3
	s_andn2_saveexec_b64 s[40:41], s[40:41]
; %bb.4855:                             ;   in Loop: Header=BB2_4283 Depth=3
	v_mov_b32_e32 v8, v34
	v_bfe_u32 v12, v34, 23, 1
	v_mov_b32_e32 v9, v35
; %bb.4856:                             ;   in Loop: Header=BB2_4283 Depth=3
	s_or_b64 exec, exec, s[40:41]
	v_lshrrev_b64 v[8:9], 20, v[8:9]
	v_cmp_gt_i32_e32 vcc, 16, v12
	v_cndmask_b32_e32 v9, 0, v9, vcc
	v_cndmask_b32_e32 v8, 7, v8, vcc
	v_min_i32_e32 v3, 15, v12
	v_cmp_eq_u64_e64 s[40:41], 0, v[8:9]
	v_lshlrev_b32_e32 v3, 3, v3
	v_cmp_eq_u32_e32 vcc, 0, v12
	v_and_b32_e32 v3, 0xf8, v3
	v_and_or_b32 v3, v8, 7, v3
	s_and_b64 s[40:41], vcc, s[40:41]
	v_cndmask_b32_e64 v3, v3, 0, s[40:41]
	v_or_b32_e32 v25, v3, v57
.LBB2_4857:                             ;   in Loop: Header=BB2_4283 Depth=3
	s_or_b64 exec, exec, s[46:47]
                                        ; implicit-def: $vgpr57
.LBB2_4858:                             ;   in Loop: Header=BB2_4283 Depth=3
	s_andn2_saveexec_b64 s[40:41], s[44:45]
; %bb.4859:                             ;   in Loop: Header=BB2_4283 Depth=3
	v_or_b32_e32 v25, 0x7e, v57
; %bb.4860:                             ;   in Loop: Header=BB2_4283 Depth=3
	s_or_b64 exec, exec, s[40:41]
                                        ; implicit-def: $vgpr13
.LBB2_4861:                             ;   in Loop: Header=BB2_4283 Depth=3
	s_andn2_saveexec_b64 s[40:41], s[42:43]
; %bb.4862:                             ;   in Loop: Header=BB2_4283 Depth=3
	v_or_b32_sdwa v25, v13, s97 dst_sel:DWORD dst_unused:UNUSED_PAD src0_sel:BYTE_3 src1_sel:DWORD
; %bb.4863:                             ;   in Loop: Header=BB2_4283 Depth=3
	s_or_b64 exec, exec, s[40:41]
	v_bfe_u32 v3, v15, 16, 3
	v_bfe_u32 v4, v15, 16, 7
	v_cmp_eq_u32_e64 s[40:41], s97, v4
	v_cmp_gt_u32_e32 vcc, 8, v4
	v_ffbh_u32_e32 v4, v3
	v_lshrrev_b32_e32 v8, 16, v15
	v_min_u32_e32 v4, 32, v4
	v_bfe_u32 v9, v8, 3, 4
	v_subrev_u32_e32 v12, 28, v4
	v_lshlrev_b64 v[12:13], v12, v[8:9]
	v_sub_u32_e32 v4, 29, v4
	v_and_b32_e32 v12, 7, v12
	v_cndmask_b32_e32 v4, v9, v4, vcc
	v_cndmask_b32_e32 v3, v3, v12, vcc
	v_lshlrev_b32_e32 v9, 8, v15
	v_lshlrev_b32_e32 v3, 20, v3
	v_and_b32_e32 v9, 0x80000000, v9
	v_lshl_add_u32 v4, v4, 23, v48
	v_or3_b32 v12, v9, v4, v3
	v_lshrrev_b32_e32 v9, 16, v11
	v_cmp_ne_u16_sdwa s[42:43], v9, v35 src0_sel:BYTE_0 src1_sel:DWORD
	s_mov_b64 s[44:45], -1
	s_and_b64 vcc, exec, s[50:51]
                                        ; implicit-def: $vgpr13
	s_cbranch_vccz .LBB2_4877
; %bb.4864:                             ;   in Loop: Header=BB2_4283 Depth=3
	v_mov_b32_e32 v13, 0
	s_and_saveexec_b64 s[44:45], s[42:43]
	s_cbranch_execz .LBB2_4870
; %bb.4865:                             ;   in Loop: Header=BB2_4283 Depth=3
	v_cmp_ne_u16_sdwa vcc, v9, s59 src0_sel:BYTE_0 src1_sel:DWORD
	v_bfrev_b32_e32 v13, 1
	s_and_saveexec_b64 s[46:47], vcc
	s_cbranch_execz .LBB2_4869
; %bb.4866:                             ;   in Loop: Header=BB2_4283 Depth=3
	v_bfe_u32 v34, v11, 16, 7
	v_cmp_ne_u32_e32 vcc, s97, v34
	v_mov_b32_e32 v13, 0x7f800001
	s_and_saveexec_b64 s[52:53], vcc
	s_cbranch_execz .LBB2_4868
; %bb.4867:                             ;   in Loop: Header=BB2_4283 Depth=3
	v_and_b32_e32 v3, 7, v9
	v_ffbh_u32_e32 v13, v3
	v_min_u32_e32 v13, 32, v13
	v_lshrrev_b32_e32 v4, 3, v34
	v_cmp_gt_u32_e32 vcc, 8, v34
	v_subrev_u32_e32 v34, 28, v13
	v_lshlrev_b64 v[57:58], v34, v[9:10]
	v_sub_u32_e32 v13, 29, v13
	v_and_b32_e32 v34, 7, v57
	v_cndmask_b32_e32 v4, v4, v13, vcc
	v_cndmask_b32_e32 v3, v3, v34, vcc
	v_lshlrev_b32_e32 v13, 24, v9
	v_lshlrev_b32_e32 v3, 20, v3
	v_and_b32_e32 v13, 0x80000000, v13
	v_lshl_add_u32 v4, v4, 23, v48
	v_or3_b32 v13, v13, v4, v3
.LBB2_4868:                             ;   in Loop: Header=BB2_4283 Depth=3
	s_or_b64 exec, exec, s[52:53]
.LBB2_4869:                             ;   in Loop: Header=BB2_4283 Depth=3
	s_or_b64 exec, exec, s[46:47]
.LBB2_4870:                             ;   in Loop: Header=BB2_4283 Depth=3
	s_or_b64 exec, exec, s[44:45]
	v_cmp_gt_i16_sdwa s[46:47], v8, s97 src0_sel:BYTE_0 src1_sel:DWORD
	s_mov_b64 s[44:45], 0
	s_and_saveexec_b64 vcc, s[46:47]
	s_xor_b64 s[46:47], exec, vcc
	s_cbranch_execz .LBB2_4983
; %bb.4871:                             ;   in Loop: Header=BB2_4283 Depth=3
	v_cmp_eq_u16_sdwa s[52:53], v8, s59 src0_sel:BYTE_0 src1_sel:DWORD
	s_mov_b64 s[44:45], -1
	s_and_saveexec_b64 vcc, s[52:53]
; %bb.4872:                             ;   in Loop: Header=BB2_4283 Depth=3
	s_xor_b64 s[44:45], exec, -1
; %bb.4873:                             ;   in Loop: Header=BB2_4283 Depth=3
	s_or_b64 exec, exec, vcc
	s_and_b64 s[44:45], s[44:45], exec
	s_or_saveexec_b64 s[46:47], s[46:47]
	v_bfrev_b32_e32 v34, 1
	s_xor_b64 exec, exec, s[46:47]
	s_cbranch_execnz .LBB2_4984
.LBB2_4874:                             ;   in Loop: Header=BB2_4283 Depth=3
	s_or_b64 exec, exec, s[46:47]
	s_and_saveexec_b64 s[46:47], s[44:45]
.LBB2_4875:                             ;   in Loop: Header=BB2_4283 Depth=3
	v_cndmask_b32_e64 v34, v12, v49, s[40:41]
.LBB2_4876:                             ;   in Loop: Header=BB2_4283 Depth=3
	s_or_b64 exec, exec, s[46:47]
	v_max_f32_e32 v3, v34, v34
	v_max_f32_e32 v4, v13, v13
	;; [unrolled: 1-line block ×3, first 2 shown]
	s_mov_b64 s[44:45], 0
.LBB2_4877:                             ;   in Loop: Header=BB2_4283 Depth=3
	s_and_b64 vcc, exec, s[44:45]
	s_cbranch_vccz .LBB2_4891
; %bb.4878:                             ;   in Loop: Header=BB2_4283 Depth=3
	v_mov_b32_e32 v13, 0
	s_and_saveexec_b64 s[44:45], s[42:43]
	s_cbranch_execz .LBB2_4884
; %bb.4879:                             ;   in Loop: Header=BB2_4283 Depth=3
	v_cmp_ne_u16_sdwa s[46:47], v9, s59 src0_sel:BYTE_0 src1_sel:DWORD
	v_bfrev_b32_e32 v13, 1
	s_and_saveexec_b64 s[42:43], s[46:47]
	s_cbranch_execz .LBB2_4883
; %bb.4880:                             ;   in Loop: Header=BB2_4283 Depth=3
	v_bfe_u32 v34, v11, 16, 7
	v_cmp_ne_u32_e32 vcc, s97, v34
	v_mov_b32_e32 v13, 0x7f800001
	s_and_saveexec_b64 s[46:47], vcc
	s_cbranch_execz .LBB2_4882
; %bb.4881:                             ;   in Loop: Header=BB2_4283 Depth=3
	v_and_b32_e32 v3, 7, v9
	v_ffbh_u32_e32 v13, v3
	v_min_u32_e32 v13, 32, v13
	v_lshrrev_b32_e32 v4, 3, v34
	v_cmp_gt_u32_e32 vcc, 8, v34
	v_subrev_u32_e32 v34, 28, v13
	v_lshlrev_b64 v[57:58], v34, v[9:10]
	v_sub_u32_e32 v13, 29, v13
	v_and_b32_e32 v34, 7, v57
	v_cndmask_b32_e32 v4, v4, v13, vcc
	v_cndmask_b32_e32 v3, v3, v34, vcc
	v_lshlrev_b32_e32 v9, 24, v9
	v_lshlrev_b32_e32 v3, 20, v3
	v_and_b32_e32 v9, 0x80000000, v9
	v_lshl_add_u32 v4, v4, 23, v48
	v_or3_b32 v13, v9, v4, v3
.LBB2_4882:                             ;   in Loop: Header=BB2_4283 Depth=3
	s_or_b64 exec, exec, s[46:47]
.LBB2_4883:                             ;   in Loop: Header=BB2_4283 Depth=3
	s_or_b64 exec, exec, s[42:43]
.LBB2_4884:                             ;   in Loop: Header=BB2_4283 Depth=3
	s_or_b64 exec, exec, s[44:45]
	v_cmp_gt_i16_sdwa s[44:45], v8, s97 src0_sel:BYTE_0 src1_sel:DWORD
	s_mov_b64 s[42:43], 0
	s_and_saveexec_b64 s[46:47], s[44:45]
	s_xor_b64 s[44:45], exec, s[46:47]
	s_cbranch_execz .LBB2_4985
; %bb.4885:                             ;   in Loop: Header=BB2_4283 Depth=3
	v_cmp_eq_u16_sdwa vcc, v8, s59 src0_sel:BYTE_0 src1_sel:DWORD
	s_mov_b64 s[42:43], -1
	s_and_saveexec_b64 s[46:47], vcc
; %bb.4886:                             ;   in Loop: Header=BB2_4283 Depth=3
	s_xor_b64 s[42:43], exec, -1
; %bb.4887:                             ;   in Loop: Header=BB2_4283 Depth=3
	s_or_b64 exec, exec, s[46:47]
	s_and_b64 s[42:43], s[42:43], exec
                                        ; implicit-def: $vgpr8
	s_or_saveexec_b64 s[44:45], s[44:45]
	v_bfrev_b32_e32 v9, 1
	s_xor_b64 exec, exec, s[44:45]
	s_cbranch_execnz .LBB2_4986
.LBB2_4888:                             ;   in Loop: Header=BB2_4283 Depth=3
	s_or_b64 exec, exec, s[44:45]
	s_and_saveexec_b64 s[44:45], s[42:43]
.LBB2_4889:                             ;   in Loop: Header=BB2_4283 Depth=3
	v_cndmask_b32_e64 v9, v12, v49, s[40:41]
.LBB2_4890:                             ;   in Loop: Header=BB2_4283 Depth=3
	s_or_b64 exec, exec, s[44:45]
	v_max_f32_e32 v3, v9, v9
	v_max_f32_e32 v4, v13, v13
	v_min_f32_e32 v13, v4, v3
.LBB2_4891:                             ;   in Loop: Header=BB2_4283 Depth=3
	v_and_b32_e32 v34, 0x7f800000, v13
	v_cmp_ne_u64_e32 vcc, s[90:91], v[34:35]
                                        ; implicit-def: $vgpr12
	s_and_saveexec_b64 s[40:41], vcc
	s_xor_b64 s[42:43], exec, s[40:41]
	s_cbranch_execz .LBB2_4905
; %bb.4892:                             ;   in Loop: Header=BB2_4283 Depth=3
	v_and_b32_e32 v34, 0x7fffffff, v13
	v_cmp_gt_u64_e32 vcc, s[92:93], v[34:35]
	v_and_b32_sdwa v57, v13, s59 dst_sel:DWORD dst_unused:UNUSED_PAD src0_sel:BYTE_3 src1_sel:DWORD
                                        ; implicit-def: $vgpr12
	s_and_saveexec_b64 s[40:41], vcc
	s_xor_b64 s[44:45], exec, s[40:41]
	s_cbranch_execz .LBB2_4902
; %bb.4893:                             ;   in Loop: Header=BB2_4283 Depth=3
	v_mov_b32_e32 v12, 0
	v_cmp_ne_u32_e32 vcc, 0, v13
	s_and_saveexec_b64 s[46:47], vcc
	s_cbranch_execz .LBB2_4901
; %bb.4894:                             ;   in Loop: Header=BB2_4283 Depth=3
	v_bfe_u32 v58, v13, 23, 8
	v_cmp_gt_u32_e64 s[40:41], s56, v58
	v_sub_u32_e32 v4, 0x79, v58
	v_and_b32_e32 v3, 0x7fffff, v13
	v_cmp_eq_u32_e32 vcc, 0, v58
	v_cndmask_b32_e64 v4, 0, v4, s[40:41]
	v_mov_b32_e32 v9, 0x78
	v_or_b32_e32 v8, 0x800000, v3
	v_cndmask_b32_e32 v59, v4, v9, vcc
	v_cndmask_b32_e32 v34, v8, v3, vcc
	v_add_u32_e32 v3, 20, v59
	v_lshlrev_b64 v[8:9], v3, -1
	v_add_u32_e32 v3, 19, v59
	v_lshlrev_b64 v[12:13], v3, 1
	v_bfi_b32 v9, v9, 0, 0
	v_bfi_b32 v8, v8, 0, v34
	v_cmp_eq_u64_e64 s[40:41], v[8:9], v[12:13]
	v_lshrrev_b64 v[8:9], v59, v[34:35]
	v_mov_b32_e32 v13, v9
	v_mov_b32_e32 v12, v8
	s_and_saveexec_b64 s[52:53], s[40:41]
; %bb.4895:                             ;   in Loop: Header=BB2_4283 Depth=3
	v_bfe_u32 v3, v8, 20, 1
	v_add_co_u32_e64 v3, s[40:41], v8, v3
	v_add_co_u32_e64 v12, s[40:41], -1, v3
; %bb.4896:                             ;   in Loop: Header=BB2_4283 Depth=3
	s_or_b64 exec, exec, s[52:53]
	v_add_u32_e32 v3, 0xffffff81, v58
	v_cndmask_b32_e32 v3, v3, v52, vcc
	v_lshrrev_b32_e32 v4, 23, v8
	v_add3_u32 v58, v59, v3, v4
	v_add_u32_e32 v13, 6, v58
	v_and_b32_e32 v3, 0xfffff, v12
	v_add_u32_e32 v34, v3, v8
	v_cmp_ne_u32_e32 vcc, 0, v13
                                        ; implicit-def: $vgpr8_vgpr9
                                        ; implicit-def: $vgpr12
	s_and_saveexec_b64 s[40:41], vcc
	s_xor_b64 s[40:41], exec, s[40:41]
; %bb.4897:                             ;   in Loop: Header=BB2_4283 Depth=3
	v_cmp_lt_u64_e32 vcc, s[94:95], v[34:35]
	v_add_u32_e32 v3, 7, v58
	v_cndmask_b32_e32 v12, v13, v3, vcc
	v_cndmask_b32_e64 v3, 0, 1, vcc
	v_lshrrev_b64 v[8:9], v3, v[34:35]
; %bb.4898:                             ;   in Loop: Header=BB2_4283 Depth=3
	s_andn2_saveexec_b64 s[40:41], s[40:41]
; %bb.4899:                             ;   in Loop: Header=BB2_4283 Depth=3
	v_mov_b32_e32 v8, v34
	v_bfe_u32 v12, v34, 23, 1
	v_mov_b32_e32 v9, v35
; %bb.4900:                             ;   in Loop: Header=BB2_4283 Depth=3
	s_or_b64 exec, exec, s[40:41]
	v_lshrrev_b64 v[8:9], 20, v[8:9]
	v_cmp_gt_i32_e32 vcc, 16, v12
	v_cndmask_b32_e32 v9, 0, v9, vcc
	v_cndmask_b32_e32 v8, 7, v8, vcc
	v_min_i32_e32 v3, 15, v12
	v_cmp_eq_u64_e64 s[40:41], 0, v[8:9]
	v_lshlrev_b32_e32 v3, 3, v3
	v_cmp_eq_u32_e32 vcc, 0, v12
	v_and_b32_e32 v3, 0xf8, v3
	v_and_or_b32 v3, v8, 7, v3
	s_and_b64 s[40:41], vcc, s[40:41]
	v_cndmask_b32_e64 v3, v3, 0, s[40:41]
	v_or_b32_e32 v12, v3, v57
.LBB2_4901:                             ;   in Loop: Header=BB2_4283 Depth=3
	s_or_b64 exec, exec, s[46:47]
                                        ; implicit-def: $vgpr57
.LBB2_4902:                             ;   in Loop: Header=BB2_4283 Depth=3
	s_andn2_saveexec_b64 s[40:41], s[44:45]
; %bb.4903:                             ;   in Loop: Header=BB2_4283 Depth=3
	v_or_b32_e32 v12, 0x7e, v57
; %bb.4904:                             ;   in Loop: Header=BB2_4283 Depth=3
	s_or_b64 exec, exec, s[40:41]
                                        ; implicit-def: $vgpr13
.LBB2_4905:                             ;   in Loop: Header=BB2_4283 Depth=3
	s_andn2_saveexec_b64 s[40:41], s[42:43]
; %bb.4906:                             ;   in Loop: Header=BB2_4283 Depth=3
	v_or_b32_sdwa v12, v13, s97 dst_sel:DWORD dst_unused:UNUSED_PAD src0_sel:BYTE_3 src1_sel:DWORD
; %bb.4907:                             ;   in Loop: Header=BB2_4283 Depth=3
	s_or_b64 exec, exec, s[40:41]
	v_bfe_u32 v3, v15, 24, 3
	v_bfe_u32 v4, v15, 24, 7
	v_cmp_eq_u32_e64 s[44:45], s97, v4
	v_cmp_gt_u32_e32 vcc, 8, v4
	v_ffbh_u32_e32 v4, v3
	v_min_u32_e32 v4, 32, v4
	v_lshrrev_b32_e32 v9, 24, v15
	v_subrev_u32_e32 v13, 28, v4
	v_cmp_gt_u64_e64 s[40:41], s[60:61], v[14:15]
	v_lshlrev_b64 v[13:14], v13, v[9:10]
	v_bfe_u32 v34, v9, 3, 4
	v_cmp_eq_u32_e64 s[42:43], s59, v9
	v_sub_u32_e32 v4, 29, v4
	v_and_b32_e32 v9, 7, v13
	v_cndmask_b32_e32 v4, v34, v4, vcc
	v_cndmask_b32_e32 v3, v3, v9, vcc
	v_lshlrev_b32_e32 v3, 20, v3
	v_and_b32_e32 v9, 0x80000000, v15
	v_lshl_add_u32 v4, v4, 23, v48
	v_cmp_lt_u64_e64 s[46:47], s[62:63], v[10:11]
	v_lshrrev_b32_e32 v8, 24, v11
	v_or3_b32 v9, v9, v4, v3
	s_mov_b64 s[52:53], -1
	s_and_b64 vcc, exec, s[50:51]
                                        ; implicit-def: $vgpr10
	s_cbranch_vccz .LBB2_4915
; %bb.4908:                             ;   in Loop: Header=BB2_4283 Depth=3
	v_mov_b32_e32 v10, 0
	s_and_saveexec_b64 s[52:53], s[46:47]
	s_cbranch_execz .LBB2_4914
; %bb.4909:                             ;   in Loop: Header=BB2_4283 Depth=3
	v_cmp_ne_u32_e32 vcc, s59, v8
	v_bfrev_b32_e32 v10, 1
	s_and_saveexec_b64 s[54:55], vcc
	s_cbranch_execz .LBB2_4913
; %bb.4910:                             ;   in Loop: Header=BB2_4283 Depth=3
	v_bfe_u32 v13, v11, 24, 7
	v_cmp_ne_u32_e32 vcc, s97, v13
	v_mov_b32_e32 v10, 0x7f800001
	s_and_saveexec_b64 s[64:65], vcc
	s_cbranch_execz .LBB2_4912
; %bb.4911:                             ;   in Loop: Header=BB2_4283 Depth=3
	v_and_b32_e32 v3, 7, v8
	v_ffbh_u32_e32 v10, v3
	v_min_u32_e32 v10, 32, v10
	v_lshrrev_b32_e32 v4, 3, v13
	v_cmp_gt_u32_e32 vcc, 8, v13
	v_subrev_u32_e32 v13, 28, v10
	v_lshlrev_b64 v[13:14], v13, v[8:9]
	v_sub_u32_e32 v10, 29, v10
	v_and_b32_e32 v13, 7, v13
	v_cndmask_b32_e32 v4, v4, v10, vcc
	v_cndmask_b32_e32 v3, v3, v13, vcc
	v_lshlrev_b32_e32 v10, 24, v8
	v_lshlrev_b32_e32 v3, 20, v3
	v_and_b32_e32 v10, 0x80000000, v10
	v_lshl_add_u32 v4, v4, 23, v48
	v_or3_b32 v10, v10, v4, v3
.LBB2_4912:                             ;   in Loop: Header=BB2_4283 Depth=3
	s_or_b64 exec, exec, s[64:65]
.LBB2_4913:                             ;   in Loop: Header=BB2_4283 Depth=3
	s_or_b64 exec, exec, s[54:55]
.LBB2_4914:                             ;   in Loop: Header=BB2_4283 Depth=3
	s_or_b64 exec, exec, s[52:53]
	v_cndmask_b32_e64 v3, v9, v49, s[44:45]
	v_cndmask_b32_e64 v3, v3, v0, s[42:43]
	;; [unrolled: 1-line block ×3, first 2 shown]
	v_max_f32_e32 v3, v3, v3
	v_max_f32_e32 v4, v10, v10
	;; [unrolled: 1-line block ×3, first 2 shown]
	s_mov_b64 s[52:53], 0
.LBB2_4915:                             ;   in Loop: Header=BB2_4283 Depth=3
	s_and_b64 vcc, exec, s[52:53]
	s_cbranch_vccz .LBB2_4923
; %bb.4916:                             ;   in Loop: Header=BB2_4283 Depth=3
	v_mov_b32_e32 v10, 0
	s_and_saveexec_b64 s[52:53], s[46:47]
	s_cbranch_execz .LBB2_4922
; %bb.4917:                             ;   in Loop: Header=BB2_4283 Depth=3
	v_cmp_ne_u32_e32 vcc, s59, v8
	v_bfrev_b32_e32 v10, 1
	s_and_saveexec_b64 s[46:47], vcc
	s_cbranch_execz .LBB2_4921
; %bb.4918:                             ;   in Loop: Header=BB2_4283 Depth=3
	v_bfe_u32 v11, v11, 24, 7
	v_cmp_ne_u32_e32 vcc, s97, v11
	v_mov_b32_e32 v10, 0x7f800001
	s_and_saveexec_b64 s[54:55], vcc
	s_cbranch_execz .LBB2_4920
; %bb.4919:                             ;   in Loop: Header=BB2_4283 Depth=3
	v_and_b32_e32 v3, 7, v8
	v_ffbh_u32_e32 v10, v3
	v_min_u32_e32 v13, 32, v10
	v_subrev_u32_e32 v10, 28, v13
	v_lshrrev_b32_e32 v4, 3, v11
	v_cmp_gt_u32_e32 vcc, 8, v11
	v_lshlrev_b64 v[10:11], v10, v[8:9]
	v_sub_u32_e32 v11, 29, v13
	v_and_b32_e32 v10, 7, v10
	v_cndmask_b32_e32 v4, v4, v11, vcc
	v_cndmask_b32_e32 v3, v3, v10, vcc
	v_lshlrev_b32_e32 v8, 24, v8
	v_lshlrev_b32_e32 v3, 20, v3
	v_and_b32_e32 v8, 0x80000000, v8
	v_lshl_add_u32 v4, v4, 23, v48
	v_or3_b32 v10, v8, v4, v3
.LBB2_4920:                             ;   in Loop: Header=BB2_4283 Depth=3
	s_or_b64 exec, exec, s[54:55]
.LBB2_4921:                             ;   in Loop: Header=BB2_4283 Depth=3
	s_or_b64 exec, exec, s[46:47]
.LBB2_4922:                             ;   in Loop: Header=BB2_4283 Depth=3
	s_or_b64 exec, exec, s[52:53]
	v_cndmask_b32_e64 v3, v9, v49, s[44:45]
	v_cndmask_b32_e64 v3, v3, v0, s[42:43]
	;; [unrolled: 1-line block ×3, first 2 shown]
	v_max_f32_e32 v3, v3, v3
	v_max_f32_e32 v4, v10, v10
	v_min_f32_e32 v10, v4, v3
.LBB2_4923:                             ;   in Loop: Header=BB2_4283 Depth=3
	v_and_b32_e32 v34, 0x7f800000, v10
	v_cmp_ne_u64_e32 vcc, s[90:91], v[34:35]
                                        ; implicit-def: $vgpr8
	s_and_saveexec_b64 s[40:41], vcc
	s_xor_b64 s[42:43], exec, s[40:41]
	s_cbranch_execz .LBB2_4937
; %bb.4924:                             ;   in Loop: Header=BB2_4283 Depth=3
	v_and_b32_e32 v34, 0x7fffffff, v10
	v_cmp_gt_u64_e32 vcc, s[92:93], v[34:35]
	v_and_b32_sdwa v11, v10, s59 dst_sel:DWORD dst_unused:UNUSED_PAD src0_sel:BYTE_3 src1_sel:DWORD
                                        ; implicit-def: $vgpr8
	s_and_saveexec_b64 s[40:41], vcc
	s_xor_b64 s[44:45], exec, s[40:41]
	s_cbranch_execz .LBB2_4934
; %bb.4925:                             ;   in Loop: Header=BB2_4283 Depth=3
	v_mov_b32_e32 v8, 0
	v_cmp_ne_u32_e32 vcc, 0, v10
	s_and_saveexec_b64 s[46:47], vcc
	s_cbranch_execz .LBB2_4933
; %bb.4926:                             ;   in Loop: Header=BB2_4283 Depth=3
	v_bfe_u32 v13, v10, 23, 8
	v_cmp_gt_u32_e64 s[40:41], s56, v13
	v_sub_u32_e32 v4, 0x79, v13
	v_and_b32_e32 v3, 0x7fffff, v10
	v_cmp_eq_u32_e32 vcc, 0, v13
	v_cndmask_b32_e64 v4, 0, v4, s[40:41]
	v_mov_b32_e32 v9, 0x78
	v_or_b32_e32 v8, 0x800000, v3
	v_cndmask_b32_e32 v14, v4, v9, vcc
	v_cndmask_b32_e32 v34, v8, v3, vcc
	v_add_u32_e32 v3, 20, v14
	v_lshlrev_b64 v[8:9], v3, -1
	v_add_u32_e32 v3, 19, v14
	v_lshlrev_b64 v[57:58], v3, 1
	v_bfi_b32 v9, v9, 0, 0
	v_bfi_b32 v8, v8, 0, v34
	v_cmp_eq_u64_e64 s[40:41], v[8:9], v[57:58]
	v_lshrrev_b64 v[8:9], v14, v[34:35]
	v_mov_b32_e32 v10, v9
	v_mov_b32_e32 v9, v8
	s_and_saveexec_b64 s[52:53], s[40:41]
; %bb.4927:                             ;   in Loop: Header=BB2_4283 Depth=3
	v_bfe_u32 v3, v8, 20, 1
	v_add_co_u32_e64 v3, s[40:41], v8, v3
	v_add_co_u32_e64 v9, s[40:41], -1, v3
; %bb.4928:                             ;   in Loop: Header=BB2_4283 Depth=3
	s_or_b64 exec, exec, s[52:53]
	v_add_u32_e32 v3, 0xffffff81, v13
	v_cndmask_b32_e32 v3, v3, v52, vcc
	v_lshrrev_b32_e32 v4, 23, v8
	v_add3_u32 v14, v14, v3, v4
	v_add_u32_e32 v13, 6, v14
	v_and_b32_e32 v3, 0xfffff, v9
	v_add_u32_e32 v34, v3, v8
	v_cmp_ne_u32_e32 vcc, 0, v13
                                        ; implicit-def: $vgpr8_vgpr9
                                        ; implicit-def: $vgpr10
	s_and_saveexec_b64 s[40:41], vcc
	s_xor_b64 s[40:41], exec, s[40:41]
; %bb.4929:                             ;   in Loop: Header=BB2_4283 Depth=3
	v_cmp_lt_u64_e32 vcc, s[94:95], v[34:35]
	v_add_u32_e32 v3, 7, v14
	v_cndmask_b32_e32 v10, v13, v3, vcc
	v_cndmask_b32_e64 v3, 0, 1, vcc
	v_lshrrev_b64 v[8:9], v3, v[34:35]
; %bb.4930:                             ;   in Loop: Header=BB2_4283 Depth=3
	s_andn2_saveexec_b64 s[40:41], s[40:41]
; %bb.4931:                             ;   in Loop: Header=BB2_4283 Depth=3
	v_mov_b32_e32 v8, v34
	v_bfe_u32 v10, v34, 23, 1
	v_mov_b32_e32 v9, v35
; %bb.4932:                             ;   in Loop: Header=BB2_4283 Depth=3
	s_or_b64 exec, exec, s[40:41]
	v_lshrrev_b64 v[8:9], 20, v[8:9]
	v_cmp_gt_i32_e32 vcc, 16, v10
	v_cndmask_b32_e32 v9, 0, v9, vcc
	v_cndmask_b32_e32 v8, 7, v8, vcc
	v_min_i32_e32 v3, 15, v10
	v_cmp_eq_u64_e64 s[40:41], 0, v[8:9]
	v_lshlrev_b32_e32 v3, 3, v3
	v_cmp_eq_u32_e32 vcc, 0, v10
	v_and_b32_e32 v3, 0xf8, v3
	v_and_or_b32 v3, v8, 7, v3
	s_and_b64 s[40:41], vcc, s[40:41]
	v_cndmask_b32_e64 v3, v3, 0, s[40:41]
	v_or_b32_e32 v8, v3, v11
.LBB2_4933:                             ;   in Loop: Header=BB2_4283 Depth=3
	s_or_b64 exec, exec, s[46:47]
                                        ; implicit-def: $vgpr11
.LBB2_4934:                             ;   in Loop: Header=BB2_4283 Depth=3
	s_andn2_saveexec_b64 s[40:41], s[44:45]
; %bb.4935:                             ;   in Loop: Header=BB2_4283 Depth=3
	v_or_b32_e32 v8, 0x7e, v11
; %bb.4936:                             ;   in Loop: Header=BB2_4283 Depth=3
	s_or_b64 exec, exec, s[40:41]
                                        ; implicit-def: $vgpr10
.LBB2_4937:                             ;   in Loop: Header=BB2_4283 Depth=3
	s_andn2_saveexec_b64 s[40:41], s[42:43]
	s_cbranch_execz .LBB2_4282
; %bb.4938:                             ;   in Loop: Header=BB2_4283 Depth=3
	v_or_b32_sdwa v8, v10, s97 dst_sel:DWORD dst_unused:UNUSED_PAD src0_sel:BYTE_3 src1_sel:DWORD
	s_branch .LBB2_4282
.LBB2_4939:                             ;   in Loop: Header=BB2_4283 Depth=3
	s_or_saveexec_b64 s[46:47], s[46:47]
	v_bfrev_b32_e32 v21, 1
	s_xor_b64 exec, exec, s[46:47]
	s_cbranch_execz .LBB2_4294
.LBB2_4940:                             ;   in Loop: Header=BB2_4283 Depth=3
	v_cmp_ne_u16_sdwa vcc, v12, v35 src0_sel:BYTE_0 src1_sel:DWORD
	s_andn2_b64 s[44:45], s[44:45], exec
	s_and_b64 vcc, vcc, exec
	v_mov_b32_e32 v21, 0
	s_or_b64 s[44:45], s[44:45], vcc
	s_or_b64 exec, exec, s[46:47]
	s_and_saveexec_b64 s[46:47], s[44:45]
	s_cbranch_execnz .LBB2_4295
	s_branch .LBB2_4296
.LBB2_4941:                             ;   in Loop: Header=BB2_4283 Depth=3
	s_or_saveexec_b64 s[44:45], s[44:45]
	v_bfrev_b32_e32 v21, 1
	s_xor_b64 exec, exec, s[44:45]
	s_cbranch_execz .LBB2_4308
.LBB2_4942:                             ;   in Loop: Header=BB2_4283 Depth=3
	v_cmp_ne_u16_sdwa s[46:47], v12, v35 src0_sel:BYTE_0 src1_sel:DWORD
	s_andn2_b64 s[42:43], s[42:43], exec
	s_and_b64 s[46:47], s[46:47], exec
	v_mov_b32_e32 v21, 0
	s_or_b64 s[42:43], s[42:43], s[46:47]
	s_or_b64 exec, exec, s[44:45]
	s_and_saveexec_b64 s[44:45], s[42:43]
	s_cbranch_execnz .LBB2_4309
	s_branch .LBB2_4310
.LBB2_4943:                             ;   in Loop: Header=BB2_4283 Depth=3
	s_or_saveexec_b64 s[46:47], s[46:47]
	v_bfrev_b32_e32 v24, 1
	s_xor_b64 exec, exec, s[46:47]
	s_cbranch_execz .LBB2_4338
.LBB2_4944:                             ;   in Loop: Header=BB2_4283 Depth=3
	v_cmp_ne_u16_e32 vcc, 0, v34
	s_andn2_b64 s[44:45], s[44:45], exec
	s_and_b64 vcc, vcc, exec
	v_mov_b32_e32 v24, 0
	s_or_b64 s[44:45], s[44:45], vcc
	s_or_b64 exec, exec, s[46:47]
	s_and_saveexec_b64 s[46:47], s[44:45]
	s_cbranch_execnz .LBB2_4339
	s_branch .LBB2_4340
.LBB2_4945:                             ;   in Loop: Header=BB2_4283 Depth=3
	s_or_saveexec_b64 s[44:45], s[44:45]
	v_bfrev_b32_e32 v24, 1
	s_xor_b64 exec, exec, s[44:45]
	s_cbranch_execz .LBB2_4352
.LBB2_4946:                             ;   in Loop: Header=BB2_4283 Depth=3
	v_cmp_ne_u16_e32 vcc, 0, v34
	s_andn2_b64 s[42:43], s[42:43], exec
	s_and_b64 s[46:47], vcc, exec
	v_mov_b32_e32 v24, 0
	s_or_b64 s[42:43], s[42:43], s[46:47]
	s_or_b64 exec, exec, s[44:45]
	s_and_saveexec_b64 s[44:45], s[42:43]
	s_cbranch_execnz .LBB2_4353
	s_branch .LBB2_4354
.LBB2_4947:                             ;   in Loop: Header=BB2_4283 Depth=3
	s_or_saveexec_b64 s[46:47], s[46:47]
	v_bfrev_b32_e32 v24, 1
	s_xor_b64 exec, exec, s[46:47]
	s_cbranch_execz .LBB2_4382
.LBB2_4948:                             ;   in Loop: Header=BB2_4283 Depth=3
	v_cmp_ne_u16_sdwa vcc, v30, v35 src0_sel:BYTE_0 src1_sel:DWORD
	s_andn2_b64 s[44:45], s[44:45], exec
	s_and_b64 vcc, vcc, exec
	v_mov_b32_e32 v24, 0
	s_or_b64 s[44:45], s[44:45], vcc
	s_or_b64 exec, exec, s[46:47]
	s_and_saveexec_b64 s[46:47], s[44:45]
	s_cbranch_execnz .LBB2_4383
	s_branch .LBB2_4384
.LBB2_4949:                             ;   in Loop: Header=BB2_4283 Depth=3
	s_or_saveexec_b64 s[44:45], s[44:45]
	v_bfrev_b32_e32 v24, 1
	s_xor_b64 exec, exec, s[44:45]
	s_cbranch_execz .LBB2_4396
.LBB2_4950:                             ;   in Loop: Header=BB2_4283 Depth=3
	v_cmp_ne_u16_sdwa s[46:47], v30, v35 src0_sel:BYTE_0 src1_sel:DWORD
	s_andn2_b64 s[42:43], s[42:43], exec
	s_and_b64 s[46:47], s[46:47], exec
	v_mov_b32_e32 v24, 0
	s_or_b64 s[42:43], s[42:43], s[46:47]
	s_or_b64 exec, exec, s[44:45]
	s_and_saveexec_b64 s[44:45], s[42:43]
	s_cbranch_execnz .LBB2_4397
	s_branch .LBB2_4398
.LBB2_4951:                             ;   in Loop: Header=BB2_4283 Depth=3
	s_or_saveexec_b64 s[46:47], s[46:47]
	v_bfrev_b32_e32 v25, 1
	s_xor_b64 exec, exec, s[46:47]
	s_cbranch_execz .LBB2_4458
.LBB2_4952:                             ;   in Loop: Header=BB2_4283 Depth=3
	v_cmp_ne_u16_sdwa vcc, v13, v35 src0_sel:BYTE_0 src1_sel:DWORD
	s_andn2_b64 s[44:45], s[44:45], exec
	s_and_b64 vcc, vcc, exec
	v_mov_b32_e32 v25, 0
	s_or_b64 s[44:45], s[44:45], vcc
	s_or_b64 exec, exec, s[46:47]
	s_and_saveexec_b64 s[46:47], s[44:45]
	s_cbranch_execnz .LBB2_4459
	s_branch .LBB2_4460
.LBB2_4953:                             ;   in Loop: Header=BB2_4283 Depth=3
	s_or_saveexec_b64 s[44:45], s[44:45]
	v_bfrev_b32_e32 v25, 1
	s_xor_b64 exec, exec, s[44:45]
	s_cbranch_execz .LBB2_4472
.LBB2_4954:                             ;   in Loop: Header=BB2_4283 Depth=3
	v_cmp_ne_u16_sdwa s[46:47], v13, v35 src0_sel:BYTE_0 src1_sel:DWORD
	s_andn2_b64 s[42:43], s[42:43], exec
	s_and_b64 s[46:47], s[46:47], exec
	v_mov_b32_e32 v25, 0
	s_or_b64 s[42:43], s[42:43], s[46:47]
	s_or_b64 exec, exec, s[44:45]
	s_and_saveexec_b64 s[44:45], s[42:43]
	s_cbranch_execnz .LBB2_4473
	s_branch .LBB2_4474
.LBB2_4955:                             ;   in Loop: Header=BB2_4283 Depth=3
	s_or_saveexec_b64 s[46:47], s[46:47]
	v_bfrev_b32_e32 v25, 1
	s_xor_b64 exec, exec, s[46:47]
	s_cbranch_execz .LBB2_4502
.LBB2_4956:                             ;   in Loop: Header=BB2_4283 Depth=3
	v_cmp_ne_u16_e32 vcc, 0, v34
	s_andn2_b64 s[44:45], s[44:45], exec
	s_and_b64 vcc, vcc, exec
	v_mov_b32_e32 v25, 0
	s_or_b64 s[44:45], s[44:45], vcc
	s_or_b64 exec, exec, s[46:47]
	s_and_saveexec_b64 s[46:47], s[44:45]
	s_cbranch_execnz .LBB2_4503
	s_branch .LBB2_4504
.LBB2_4957:                             ;   in Loop: Header=BB2_4283 Depth=3
	s_or_saveexec_b64 s[44:45], s[44:45]
	v_bfrev_b32_e32 v25, 1
	s_xor_b64 exec, exec, s[44:45]
	s_cbranch_execz .LBB2_4516
.LBB2_4958:                             ;   in Loop: Header=BB2_4283 Depth=3
	v_cmp_ne_u16_e32 vcc, 0, v34
	s_andn2_b64 s[42:43], s[42:43], exec
	s_and_b64 s[46:47], vcc, exec
	v_mov_b32_e32 v25, 0
	s_or_b64 s[42:43], s[42:43], s[46:47]
	s_or_b64 exec, exec, s[44:45]
	s_and_saveexec_b64 s[44:45], s[42:43]
	s_cbranch_execnz .LBB2_4517
	s_branch .LBB2_4518
.LBB2_4959:                             ;   in Loop: Header=BB2_4283 Depth=3
	s_or_saveexec_b64 s[46:47], s[46:47]
	v_bfrev_b32_e32 v25, 1
	s_xor_b64 exec, exec, s[46:47]
	s_cbranch_execz .LBB2_4546
.LBB2_4960:                             ;   in Loop: Header=BB2_4283 Depth=3
	v_cmp_ne_u16_sdwa vcc, v30, v35 src0_sel:BYTE_0 src1_sel:DWORD
	s_andn2_b64 s[44:45], s[44:45], exec
	s_and_b64 vcc, vcc, exec
	v_mov_b32_e32 v25, 0
	s_or_b64 s[44:45], s[44:45], vcc
	s_or_b64 exec, exec, s[46:47]
	s_and_saveexec_b64 s[46:47], s[44:45]
	s_cbranch_execnz .LBB2_4547
	s_branch .LBB2_4548
.LBB2_4961:                             ;   in Loop: Header=BB2_4283 Depth=3
	s_or_saveexec_b64 s[44:45], s[44:45]
	v_bfrev_b32_e32 v25, 1
	s_xor_b64 exec, exec, s[44:45]
	s_cbranch_execz .LBB2_4560
.LBB2_4962:                             ;   in Loop: Header=BB2_4283 Depth=3
	v_cmp_ne_u16_sdwa s[46:47], v30, v35 src0_sel:BYTE_0 src1_sel:DWORD
	s_andn2_b64 s[42:43], s[42:43], exec
	s_and_b64 s[46:47], s[46:47], exec
	v_mov_b32_e32 v25, 0
	s_or_b64 s[42:43], s[42:43], s[46:47]
	s_or_b64 exec, exec, s[44:45]
	s_and_saveexec_b64 s[44:45], s[42:43]
	s_cbranch_execnz .LBB2_4561
	s_branch .LBB2_4562
.LBB2_4963:                             ;   in Loop: Header=BB2_4283 Depth=3
	s_or_saveexec_b64 s[46:47], s[46:47]
	v_bfrev_b32_e32 v9, 1
	s_xor_b64 exec, exec, s[46:47]
	s_cbranch_execz .LBB2_4622
.LBB2_4964:                             ;   in Loop: Header=BB2_4283 Depth=3
	v_cmp_ne_u16_sdwa vcc, v14, v35 src0_sel:BYTE_0 src1_sel:DWORD
	s_andn2_b64 s[44:45], s[44:45], exec
	s_and_b64 vcc, vcc, exec
	v_mov_b32_e32 v9, 0
	s_or_b64 s[44:45], s[44:45], vcc
	s_or_b64 exec, exec, s[46:47]
	s_and_saveexec_b64 s[46:47], s[44:45]
	s_cbranch_execnz .LBB2_4623
	s_branch .LBB2_4624
.LBB2_4965:                             ;   in Loop: Header=BB2_4283 Depth=3
	s_or_saveexec_b64 s[44:45], s[44:45]
	v_bfrev_b32_e32 v9, 1
	s_xor_b64 exec, exec, s[44:45]
	s_cbranch_execz .LBB2_4636
.LBB2_4966:                             ;   in Loop: Header=BB2_4283 Depth=3
	v_cmp_ne_u16_sdwa s[46:47], v14, v35 src0_sel:BYTE_0 src1_sel:DWORD
	s_andn2_b64 s[42:43], s[42:43], exec
	s_and_b64 s[46:47], s[46:47], exec
	v_mov_b32_e32 v9, 0
	s_or_b64 s[42:43], s[42:43], s[46:47]
	s_or_b64 exec, exec, s[44:45]
	s_and_saveexec_b64 s[44:45], s[42:43]
	s_cbranch_execnz .LBB2_4637
	s_branch .LBB2_4638
.LBB2_4967:                             ;   in Loop: Header=BB2_4283 Depth=3
	s_or_saveexec_b64 s[46:47], s[46:47]
	v_bfrev_b32_e32 v12, 1
	s_xor_b64 exec, exec, s[46:47]
	s_cbranch_execz .LBB2_4666
.LBB2_4968:                             ;   in Loop: Header=BB2_4283 Depth=3
	v_cmp_ne_u16_e32 vcc, 0, v34
	s_andn2_b64 s[44:45], s[44:45], exec
	s_and_b64 vcc, vcc, exec
	v_mov_b32_e32 v12, 0
	s_or_b64 s[44:45], s[44:45], vcc
	s_or_b64 exec, exec, s[46:47]
	s_and_saveexec_b64 s[46:47], s[44:45]
	s_cbranch_execnz .LBB2_4667
	s_branch .LBB2_4668
.LBB2_4969:                             ;   in Loop: Header=BB2_4283 Depth=3
	s_or_saveexec_b64 s[44:45], s[44:45]
	v_bfrev_b32_e32 v8, 1
	s_xor_b64 exec, exec, s[44:45]
	s_cbranch_execz .LBB2_4680
.LBB2_4970:                             ;   in Loop: Header=BB2_4283 Depth=3
	v_cmp_ne_u16_e32 vcc, 0, v34
	s_andn2_b64 s[42:43], s[42:43], exec
	s_and_b64 s[46:47], vcc, exec
	v_mov_b32_e32 v8, 0
	s_or_b64 s[42:43], s[42:43], s[46:47]
	s_or_b64 exec, exec, s[44:45]
	s_and_saveexec_b64 s[44:45], s[42:43]
	s_cbranch_execnz .LBB2_4681
	s_branch .LBB2_4682
.LBB2_4971:                             ;   in Loop: Header=BB2_4283 Depth=3
	s_or_saveexec_b64 s[46:47], s[46:47]
	v_bfrev_b32_e32 v13, 1
	s_xor_b64 exec, exec, s[46:47]
	s_cbranch_execz .LBB2_4710
.LBB2_4972:                             ;   in Loop: Header=BB2_4283 Depth=3
	v_cmp_ne_u16_sdwa vcc, v8, v35 src0_sel:BYTE_0 src1_sel:DWORD
	s_andn2_b64 s[44:45], s[44:45], exec
	s_and_b64 vcc, vcc, exec
	v_mov_b32_e32 v13, 0
	s_or_b64 s[44:45], s[44:45], vcc
	s_or_b64 exec, exec, s[46:47]
	s_and_saveexec_b64 s[46:47], s[44:45]
	s_cbranch_execnz .LBB2_4711
	s_branch .LBB2_4712
.LBB2_4973:                             ;   in Loop: Header=BB2_4283 Depth=3
	s_or_saveexec_b64 s[44:45], s[44:45]
	v_bfrev_b32_e32 v9, 1
	s_xor_b64 exec, exec, s[44:45]
	s_cbranch_execz .LBB2_4724
.LBB2_4974:                             ;   in Loop: Header=BB2_4283 Depth=3
	v_cmp_ne_u16_sdwa s[46:47], v8, v35 src0_sel:BYTE_0 src1_sel:DWORD
	s_andn2_b64 s[42:43], s[42:43], exec
	s_and_b64 s[46:47], s[46:47], exec
	v_mov_b32_e32 v9, 0
	s_or_b64 s[42:43], s[42:43], s[46:47]
	s_or_b64 exec, exec, s[44:45]
	s_and_saveexec_b64 s[44:45], s[42:43]
	s_cbranch_execnz .LBB2_4725
	s_branch .LBB2_4726
.LBB2_4975:                             ;   in Loop: Header=BB2_4283 Depth=3
	s_or_saveexec_b64 s[46:47], s[46:47]
	v_bfrev_b32_e32 v13, 1
	s_xor_b64 exec, exec, s[46:47]
	s_cbranch_execz .LBB2_4786
.LBB2_4976:                             ;   in Loop: Header=BB2_4283 Depth=3
	v_cmp_ne_u16_sdwa vcc, v15, v35 src0_sel:BYTE_0 src1_sel:DWORD
	s_andn2_b64 s[44:45], s[44:45], exec
	s_and_b64 vcc, vcc, exec
	v_mov_b32_e32 v13, 0
	s_or_b64 s[44:45], s[44:45], vcc
	s_or_b64 exec, exec, s[46:47]
	s_and_saveexec_b64 s[46:47], s[44:45]
	s_cbranch_execnz .LBB2_4787
	s_branch .LBB2_4788
.LBB2_4977:                             ;   in Loop: Header=BB2_4283 Depth=3
	s_or_saveexec_b64 s[44:45], s[44:45]
	v_bfrev_b32_e32 v13, 1
	s_xor_b64 exec, exec, s[44:45]
	s_cbranch_execz .LBB2_4800
.LBB2_4978:                             ;   in Loop: Header=BB2_4283 Depth=3
	v_cmp_ne_u16_sdwa s[46:47], v15, v35 src0_sel:BYTE_0 src1_sel:DWORD
	s_andn2_b64 s[42:43], s[42:43], exec
	s_and_b64 s[46:47], s[46:47], exec
	v_mov_b32_e32 v13, 0
	s_or_b64 s[42:43], s[42:43], s[46:47]
	s_or_b64 exec, exec, s[44:45]
	s_and_saveexec_b64 s[44:45], s[42:43]
	s_cbranch_execnz .LBB2_4801
	s_branch .LBB2_4802
.LBB2_4979:                             ;   in Loop: Header=BB2_4283 Depth=3
	s_or_saveexec_b64 s[46:47], s[46:47]
	v_bfrev_b32_e32 v25, 1
	s_xor_b64 exec, exec, s[46:47]
	s_cbranch_execz .LBB2_4830
.LBB2_4980:                             ;   in Loop: Header=BB2_4283 Depth=3
	v_cmp_ne_u16_e32 vcc, 0, v8
	s_andn2_b64 s[44:45], s[44:45], exec
	s_and_b64 vcc, vcc, exec
	v_mov_b32_e32 v25, 0
	s_or_b64 s[44:45], s[44:45], vcc
	s_or_b64 exec, exec, s[46:47]
	s_and_saveexec_b64 s[46:47], s[44:45]
	s_cbranch_execnz .LBB2_4831
	s_branch .LBB2_4832
.LBB2_4981:                             ;   in Loop: Header=BB2_4283 Depth=3
	s_or_saveexec_b64 s[44:45], s[44:45]
	v_bfrev_b32_e32 v12, 1
	s_xor_b64 exec, exec, s[44:45]
	s_cbranch_execz .LBB2_4844
.LBB2_4982:                             ;   in Loop: Header=BB2_4283 Depth=3
	v_cmp_ne_u16_e32 vcc, 0, v8
	s_andn2_b64 s[42:43], s[42:43], exec
	s_and_b64 s[46:47], vcc, exec
	v_mov_b32_e32 v12, 0
	s_or_b64 s[42:43], s[42:43], s[46:47]
	s_or_b64 exec, exec, s[44:45]
	s_and_saveexec_b64 s[44:45], s[42:43]
	s_cbranch_execnz .LBB2_4845
	s_branch .LBB2_4846
.LBB2_4983:                             ;   in Loop: Header=BB2_4283 Depth=3
	s_or_saveexec_b64 s[46:47], s[46:47]
	v_bfrev_b32_e32 v34, 1
	s_xor_b64 exec, exec, s[46:47]
	s_cbranch_execz .LBB2_4874
.LBB2_4984:                             ;   in Loop: Header=BB2_4283 Depth=3
	v_cmp_ne_u16_sdwa vcc, v8, v35 src0_sel:BYTE_0 src1_sel:DWORD
	s_andn2_b64 s[44:45], s[44:45], exec
	s_and_b64 vcc, vcc, exec
	v_mov_b32_e32 v34, 0
	s_or_b64 s[44:45], s[44:45], vcc
	s_or_b64 exec, exec, s[46:47]
	s_and_saveexec_b64 s[46:47], s[44:45]
	s_cbranch_execnz .LBB2_4875
	s_branch .LBB2_4876
.LBB2_4985:                             ;   in Loop: Header=BB2_4283 Depth=3
	s_or_saveexec_b64 s[44:45], s[44:45]
	v_bfrev_b32_e32 v9, 1
	s_xor_b64 exec, exec, s[44:45]
	s_cbranch_execz .LBB2_4888
.LBB2_4986:                             ;   in Loop: Header=BB2_4283 Depth=3
	v_cmp_ne_u16_sdwa s[46:47], v8, v35 src0_sel:BYTE_0 src1_sel:DWORD
	s_andn2_b64 s[42:43], s[42:43], exec
	s_and_b64 s[46:47], s[46:47], exec
	v_mov_b32_e32 v9, 0
	s_or_b64 s[42:43], s[42:43], s[46:47]
	s_or_b64 exec, exec, s[44:45]
	s_and_saveexec_b64 s[44:45], s[42:43]
	s_cbranch_execnz .LBB2_4889
	s_branch .LBB2_4890
.LBB2_4987:                             ;   in Loop: Header=BB2_2331 Depth=2
	s_or_b64 exec, exec, s[48:49]
.LBB2_4988:                             ;   in Loop: Header=BB2_2331 Depth=2
	s_or_b64 exec, exec, s[38:39]
	buffer_load_dword v1, off, s[0:3], s33 offset:152 ; 4-byte Folded Reload
	v_mov_b32_e32 v6, 0
	s_mov_b64 s[40:41], 0
                                        ; implicit-def: $vgpr7
                                        ; implicit-def: $vgpr21
	s_waitcnt vmcnt(0)
	v_and_b32_e32 v1, 15, v1
	v_cndmask_b32_e64 v37, v27, v1, s[28:29]
	v_cmp_ne_u32_e32 vcc, 0, v37
	s_and_saveexec_b64 s[38:39], vcc
	s_cbranch_execz .LBB2_5698
; %bb.4989:                             ;   in Loop: Header=BB2_2331 Depth=2
	buffer_load_dword v3, off, s[0:3], s33 offset:148 ; 4-byte Folded Reload
	v_sub_u32_e32 v1, v27, v1
	v_cndmask_b32_e64 v1, 0, v1, s[28:29]
	v_cmp_lt_i32_e32 vcc, 0, v26
	v_add_u32_e32 v42, v1, v16
	v_cndmask_b32_e32 v1, 0, v17, vcc
	v_sub_u32_e32 v1, v1, v26
	s_waitcnt vmcnt(0)
	v_lshl_or_b32 v1, v1, 6, v3
	v_ashrrev_i32_e32 v3, 31, v1
	v_lshrrev_b32_e32 v3, 26, v3
	v_add_u32_e32 v3, v1, v3
	v_ashrrev_i32_e32 v4, 6, v3
	v_and_b32_e32 v3, 0xffffffc0, v3
	v_sub_u32_e32 v43, v1, v3
	v_ashrrev_i32_e32 v3, 31, v37
	v_lshrrev_b32_e32 v3, 22, v3
	v_add_u32_e32 v3, v37, v3
	v_and_b32_e32 v38, 0xfffffc00, v3
	v_lshlrev_b32_e32 v1, 4, v43
	v_sub_u32_e32 v7, v37, v38
	v_lshl_add_u32 v1, v4, 10, v1
	v_ashrrev_i32_e32 v6, 10, v3
	v_cmp_lt_i32_e64 s[28:29], 15, v7
	v_sub_u32_e32 v27, v37, v1
	v_addc_co_u32_e64 v3, vcc, 0, v6, s[28:29]
	v_sub_u32_e32 v26, v3, v4
	v_cmp_lt_i32_e32 vcc, 15, v27
	s_and_saveexec_b64 s[48:49], vcc
	s_cbranch_execz .LBB2_5697
; %bb.4990:                             ;   in Loop: Header=BB2_2331 Depth=2
	s_trap 2
	ds_read_b64 v[8:9], v0
	buffer_load_dword v6, off, s[0:3], s33 offset:156 ; 4-byte Folded Reload
	buffer_load_dword v7, off, s[0:3], s33 offset:160 ; 4-byte Folded Reload
	v_add_u32_e32 v1, v1, v42
	v_ashrrev_i32_e32 v3, 31, v1
	s_bitcmp1_b32 s70, 0
	s_mov_b64 s[50:51], 0
	s_cselect_b64 s[52:53], -1, 0
	s_waitcnt vmcnt(0)
	v_add_co_u32_e32 v44, vcc, v1, v6
	v_addc_co_u32_e32 v45, vcc, v3, v7, vcc
	s_waitcnt lgkmcnt(0)
	v_add_co_u32_e32 v46, vcc, v8, v1
	v_addc_co_u32_e32 v47, vcc, v9, v3, vcc
	buffer_load_dword v8, off, s[0:3], s33 offset:172 ; 4-byte Folded Reload
	buffer_load_dword v9, off, s[0:3], s33 offset:176 ; 4-byte Folded Reload
	s_waitcnt vmcnt(1)
	v_add_co_u32_e32 v55, vcc, v1, v8
	s_waitcnt vmcnt(0)
	v_addc_co_u32_e32 v56, vcc, v3, v9, vcc
	s_branch .LBB2_4992
.LBB2_4991:                             ;   in Loop: Header=BB2_4992 Depth=3
	s_or_b64 exec, exec, s[40:41]
	v_lshl_or_b32 v3, v41, 8, v39
	v_lshlrev_b32_e32 v4, 16, v31
	v_lshlrev_b32_e32 v6, 24, v30
	v_or3_b32 v10, v3, v4, v6
	v_lshl_or_b32 v3, v40, 8, v53
	v_lshlrev_b32_e32 v4, 16, v21
	v_lshlrev_b32_e32 v6, 24, v36
	v_add_co_u32_e32 v44, vcc, v44, v5
	v_or3_b32 v9, v3, v4, v6
	v_lshl_or_b32 v3, v60, 8, v59
	v_lshlrev_b32_e32 v1, 16, v1
	v_lshlrev_b32_e32 v4, 24, v61
	v_addc_co_u32_e32 v45, vcc, 0, v45, vcc
	v_or3_b32 v11, v3, v1, v4
	v_lshlrev_b32_e32 v1, 24, v8
	v_lshlrev_b32_e32 v3, 16, v12
	v_lshl_or_b32 v4, v25, 8, v24
	v_add_co_u32_e32 v46, vcc, v46, v5
	v_or3_b32 v12, v4, v3, v1
	v_addc_co_u32_e32 v47, vcc, 0, v47, vcc
	global_store_dwordx4 v[55:56], v[9:12], off glc slc
	v_add_co_u32_e32 v55, vcc, v55, v5
	v_addc_co_u32_e32 v56, vcc, 0, v56, vcc
	v_sub_u32_e32 v27, v27, v5
	v_cmp_gt_i32_e32 vcc, 16, v27
	s_or_b64 s[50:51], vcc, s[50:51]
	v_sub_u32_e32 v26, v26, v17
	s_andn2_b64 exec, exec, s[50:51]
	s_cbranch_execz .LBB2_5696
.LBB2_4992:                             ;   Parent Loop BB2_47 Depth=1
                                        ;     Parent Loop BB2_2331 Depth=2
                                        ; =>    This Inner Loop Header: Depth=3
	global_load_dwordx4 v[8:11], v[44:45], off glc slc
	global_load_dwordx4 v[12:15], v[46:47], off glc slc
	s_mov_b64 s[44:45], -1
                                        ; implicit-def: $vgpr21
	s_waitcnt vmcnt(1)
	v_cmp_ne_u16_sdwa s[42:43], v8, v35 src0_sel:BYTE_0 src1_sel:DWORD
	s_waitcnt vmcnt(0)
	v_and_b32_e32 v1, 7, v12
	v_ffbh_u32_e32 v1, v1
	v_and_b32_e32 v3, 0x7f, v12
	v_min_u32_e32 v1, 32, v1
	v_cmp_eq_u32_e64 s[40:41], s97, v3
	v_cmp_gt_u32_e32 vcc, 8, v3
	v_subrev_u32_e32 v3, 28, v1
	v_cndmask_b32_e32 v3, 0, v3, vcc
	v_lshlrev_b64 v[24:25], v3, v[12:13]
	v_bfe_u32 v4, v12, 3, 4
	v_sub_u32_e32 v1, 29, v1
	v_cndmask_b32_e32 v1, v4, v1, vcc
	v_lshlrev_b32_e32 v3, 20, v24
	v_lshlrev_b32_e32 v4, 24, v12
	v_and_b32_e32 v3, 0x700000, v3
	v_and_b32_e32 v4, 0x80000000, v4
	v_lshl_add_u32 v1, v1, 23, v48
	v_or3_b32 v1, v4, v1, v3
	s_and_b64 vcc, exec, s[52:53]
	s_cbranch_vccz .LBB2_5006
; %bb.4993:                             ;   in Loop: Header=BB2_4992 Depth=3
	v_mov_b32_e32 v21, 0
	s_and_saveexec_b64 s[44:45], s[42:43]
	s_cbranch_execz .LBB2_4999
; %bb.4994:                             ;   in Loop: Header=BB2_4992 Depth=3
	v_cmp_ne_u16_sdwa vcc, v8, s59 src0_sel:BYTE_0 src1_sel:DWORD
	v_bfrev_b32_e32 v21, 1
	s_and_saveexec_b64 s[46:47], vcc
	s_cbranch_execz .LBB2_4998
; %bb.4995:                             ;   in Loop: Header=BB2_4992 Depth=3
	v_and_b32_e32 v16, 0x7f, v8
	v_cmp_ne_u32_e32 vcc, s97, v16
	v_mov_b32_e32 v21, 0x7f800001
	s_and_saveexec_b64 s[54:55], vcc
	s_cbranch_execz .LBB2_4997
; %bb.4996:                             ;   in Loop: Header=BB2_4992 Depth=3
	v_and_b32_e32 v3, 7, v8
	v_ffbh_u32_e32 v3, v3
	v_min_u32_e32 v3, 32, v3
	v_lshrrev_b32_e32 v4, 3, v16
	v_cmp_gt_u32_e32 vcc, 8, v16
	v_subrev_u32_e32 v6, 28, v3
	v_sub_u32_e32 v3, 29, v3
	v_cndmask_b32_e32 v3, v4, v3, vcc
	v_cndmask_b32_e32 v4, 0, v6, vcc
	v_lshlrev_b64 v[24:25], v4, v[8:9]
	v_lshlrev_b32_e32 v6, 24, v8
	v_lshlrev_b32_e32 v4, 20, v24
	v_and_b32_e32 v4, 0x700000, v4
	v_and_b32_e32 v6, 0x80000000, v6
	v_lshl_add_u32 v3, v3, 23, v48
	v_or3_b32 v21, v6, v3, v4
.LBB2_4997:                             ;   in Loop: Header=BB2_4992 Depth=3
	s_or_b64 exec, exec, s[54:55]
.LBB2_4998:                             ;   in Loop: Header=BB2_4992 Depth=3
	s_or_b64 exec, exec, s[46:47]
.LBB2_4999:                             ;   in Loop: Header=BB2_4992 Depth=3
	s_or_b64 exec, exec, s[44:45]
	v_cmp_gt_i16_sdwa s[46:47], v12, s97 src0_sel:BYTE_0 src1_sel:DWORD
	s_mov_b64 s[44:45], 0
	s_and_saveexec_b64 vcc, s[46:47]
	s_xor_b64 s[46:47], exec, vcc
	s_cbranch_execz .LBB2_5648
; %bb.5000:                             ;   in Loop: Header=BB2_4992 Depth=3
	v_cmp_eq_u16_sdwa s[54:55], v12, s59 src0_sel:BYTE_0 src1_sel:DWORD
	s_mov_b64 s[44:45], -1
	s_and_saveexec_b64 vcc, s[54:55]
; %bb.5001:                             ;   in Loop: Header=BB2_4992 Depth=3
	s_xor_b64 s[44:45], exec, -1
; %bb.5002:                             ;   in Loop: Header=BB2_4992 Depth=3
	s_or_b64 exec, exec, vcc
	s_and_b64 s[44:45], s[44:45], exec
	s_or_saveexec_b64 s[46:47], s[46:47]
	v_bfrev_b32_e32 v16, 1
	s_xor_b64 exec, exec, s[46:47]
	s_cbranch_execnz .LBB2_5649
.LBB2_5003:                             ;   in Loop: Header=BB2_4992 Depth=3
	s_or_b64 exec, exec, s[46:47]
	s_and_saveexec_b64 s[46:47], s[44:45]
.LBB2_5004:                             ;   in Loop: Header=BB2_4992 Depth=3
	v_cndmask_b32_e64 v16, v1, v49, s[40:41]
.LBB2_5005:                             ;   in Loop: Header=BB2_4992 Depth=3
	s_or_b64 exec, exec, s[46:47]
	v_max_f32_e32 v3, v16, v16
	v_max_f32_e32 v4, v21, v21
	;; [unrolled: 1-line block ×3, first 2 shown]
	s_mov_b64 s[44:45], 0
.LBB2_5006:                             ;   in Loop: Header=BB2_4992 Depth=3
	s_and_b64 vcc, exec, s[44:45]
	s_cbranch_vccz .LBB2_5020
; %bb.5007:                             ;   in Loop: Header=BB2_4992 Depth=3
	v_mov_b32_e32 v21, 0
	s_and_saveexec_b64 s[44:45], s[42:43]
	s_cbranch_execz .LBB2_5013
; %bb.5008:                             ;   in Loop: Header=BB2_4992 Depth=3
	v_cmp_ne_u16_sdwa s[46:47], v8, s59 src0_sel:BYTE_0 src1_sel:DWORD
	v_bfrev_b32_e32 v21, 1
	s_and_saveexec_b64 s[42:43], s[46:47]
	s_cbranch_execz .LBB2_5012
; %bb.5009:                             ;   in Loop: Header=BB2_4992 Depth=3
	v_and_b32_e32 v16, 0x7f, v8
	v_cmp_ne_u32_e32 vcc, s97, v16
	v_mov_b32_e32 v21, 0x7f800001
	s_and_saveexec_b64 s[46:47], vcc
	s_cbranch_execz .LBB2_5011
; %bb.5010:                             ;   in Loop: Header=BB2_4992 Depth=3
	v_and_b32_e32 v3, 7, v8
	v_ffbh_u32_e32 v3, v3
	v_min_u32_e32 v3, 32, v3
	v_lshrrev_b32_e32 v4, 3, v16
	v_cmp_gt_u32_e32 vcc, 8, v16
	v_subrev_u32_e32 v6, 28, v3
	v_sub_u32_e32 v3, 29, v3
	v_cndmask_b32_e32 v3, v4, v3, vcc
	v_cndmask_b32_e32 v4, 0, v6, vcc
	v_lshlrev_b64 v[24:25], v4, v[8:9]
	v_lshlrev_b32_e32 v6, 24, v8
	v_lshlrev_b32_e32 v4, 20, v24
	v_and_b32_e32 v4, 0x700000, v4
	v_and_b32_e32 v6, 0x80000000, v6
	v_lshl_add_u32 v3, v3, 23, v48
	v_or3_b32 v21, v6, v3, v4
.LBB2_5011:                             ;   in Loop: Header=BB2_4992 Depth=3
	s_or_b64 exec, exec, s[46:47]
.LBB2_5012:                             ;   in Loop: Header=BB2_4992 Depth=3
	s_or_b64 exec, exec, s[42:43]
.LBB2_5013:                             ;   in Loop: Header=BB2_4992 Depth=3
	s_or_b64 exec, exec, s[44:45]
	v_cmp_gt_i16_sdwa s[44:45], v12, s97 src0_sel:BYTE_0 src1_sel:DWORD
	s_mov_b64 s[42:43], 0
	s_and_saveexec_b64 s[46:47], s[44:45]
	s_xor_b64 s[44:45], exec, s[46:47]
	s_cbranch_execz .LBB2_5650
; %bb.5014:                             ;   in Loop: Header=BB2_4992 Depth=3
	v_cmp_eq_u16_sdwa vcc, v12, s59 src0_sel:BYTE_0 src1_sel:DWORD
	s_mov_b64 s[42:43], -1
	s_and_saveexec_b64 s[46:47], vcc
; %bb.5015:                             ;   in Loop: Header=BB2_4992 Depth=3
	s_xor_b64 s[42:43], exec, -1
; %bb.5016:                             ;   in Loop: Header=BB2_4992 Depth=3
	s_or_b64 exec, exec, s[46:47]
	s_and_b64 s[42:43], s[42:43], exec
	s_or_saveexec_b64 s[44:45], s[44:45]
	v_bfrev_b32_e32 v16, 1
	s_xor_b64 exec, exec, s[44:45]
	s_cbranch_execnz .LBB2_5651
.LBB2_5017:                             ;   in Loop: Header=BB2_4992 Depth=3
	s_or_b64 exec, exec, s[44:45]
	s_and_saveexec_b64 s[44:45], s[42:43]
.LBB2_5018:                             ;   in Loop: Header=BB2_4992 Depth=3
	v_cndmask_b32_e64 v16, v1, v49, s[40:41]
.LBB2_5019:                             ;   in Loop: Header=BB2_4992 Depth=3
	s_or_b64 exec, exec, s[44:45]
	v_max_f32_e32 v1, v16, v16
	v_max_f32_e32 v3, v21, v21
	v_min_f32_e32 v21, v3, v1
.LBB2_5020:                             ;   in Loop: Header=BB2_4992 Depth=3
	v_and_b32_e32 v34, 0x7f800000, v21
	v_cmp_ne_u64_e32 vcc, s[90:91], v[34:35]
                                        ; implicit-def: $vgpr53
	s_and_saveexec_b64 s[40:41], vcc
	s_xor_b64 s[42:43], exec, s[40:41]
	s_cbranch_execz .LBB2_5034
; %bb.5021:                             ;   in Loop: Header=BB2_4992 Depth=3
	v_and_b32_e32 v34, 0x7fffffff, v21
	v_cmp_gt_u64_e32 vcc, s[92:93], v[34:35]
	v_and_b32_sdwa v1, v21, s59 dst_sel:DWORD dst_unused:UNUSED_PAD src0_sel:BYTE_3 src1_sel:DWORD
                                        ; implicit-def: $vgpr53
	s_and_saveexec_b64 s[40:41], vcc
	s_xor_b64 s[44:45], exec, s[40:41]
	s_cbranch_execz .LBB2_5031
; %bb.5022:                             ;   in Loop: Header=BB2_4992 Depth=3
	v_mov_b32_e32 v53, 0
	v_cmp_ne_u32_e32 vcc, 0, v21
	s_and_saveexec_b64 s[46:47], vcc
	s_cbranch_execz .LBB2_5030
; %bb.5023:                             ;   in Loop: Header=BB2_4992 Depth=3
	v_and_b32_e32 v3, 0x7fffff, v21
	v_bfe_u32 v21, v21, 23, 8
	v_cmp_gt_u32_e64 s[40:41], s56, v21
	v_sub_u32_e32 v4, 0x79, v21
	v_cmp_eq_u32_e32 vcc, 0, v21
	v_cndmask_b32_e64 v4, 0, v4, s[40:41]
	v_mov_b32_e32 v7, 0x78
	v_or_b32_e32 v6, 0x800000, v3
	v_cndmask_b32_e32 v24, v4, v7, vcc
	v_cndmask_b32_e32 v34, v6, v3, vcc
	v_add_u32_e32 v3, 20, v24
	v_lshlrev_b64 v[30:31], v3, -1
	v_add_u32_e32 v3, 19, v24
	v_lshlrev_b64 v[39:40], v3, 1
	v_lshrrev_b64 v[57:58], v24, v[34:35]
	v_bfi_b32 v31, v31, 0, 0
	v_bfi_b32 v30, v30, 0, v34
	v_cmp_eq_u64_e64 s[40:41], v[30:31], v[39:40]
	v_mov_b32_e32 v59, v58
	v_mov_b32_e32 v58, v57
	s_and_saveexec_b64 s[54:55], s[40:41]
; %bb.5024:                             ;   in Loop: Header=BB2_4992 Depth=3
	v_bfe_u32 v3, v57, 20, 1
	v_add_co_u32_e64 v3, s[40:41], v57, v3
	v_add_co_u32_e64 v58, s[40:41], -1, v3
; %bb.5025:                             ;   in Loop: Header=BB2_4992 Depth=3
	s_or_b64 exec, exec, s[54:55]
	v_add_u32_e32 v3, 0xffffff81, v21
	v_cndmask_b32_e32 v3, v3, v52, vcc
	v_lshrrev_b32_e32 v4, 23, v57
	v_add3_u32 v24, v24, v3, v4
	v_add_u32_e32 v16, 6, v24
	v_and_b32_e32 v3, 0xfffff, v58
	v_add_u32_e32 v34, v3, v57
	v_cmp_ne_u32_e32 vcc, 0, v16
                                        ; implicit-def: $vgpr57_vgpr58
                                        ; implicit-def: $vgpr21
	s_and_saveexec_b64 s[40:41], vcc
	s_xor_b64 s[40:41], exec, s[40:41]
; %bb.5026:                             ;   in Loop: Header=BB2_4992 Depth=3
	v_cmp_lt_u64_e32 vcc, s[94:95], v[34:35]
	v_add_u32_e32 v3, 7, v24
	v_cndmask_b32_e32 v21, v16, v3, vcc
	v_cndmask_b32_e64 v3, 0, 1, vcc
	v_lshrrev_b64 v[57:58], v3, v[34:35]
; %bb.5027:                             ;   in Loop: Header=BB2_4992 Depth=3
	s_andn2_saveexec_b64 s[40:41], s[40:41]
; %bb.5028:                             ;   in Loop: Header=BB2_4992 Depth=3
	v_mov_b32_e32 v58, v35
	v_bfe_u32 v21, v34, 23, 1
	v_mov_b32_e32 v57, v34
; %bb.5029:                             ;   in Loop: Header=BB2_4992 Depth=3
	s_or_b64 exec, exec, s[40:41]
	v_lshrrev_b64 v[24:25], 20, v[57:58]
	v_cmp_gt_i32_e32 vcc, 16, v21
	v_cndmask_b32_e32 v25, 0, v25, vcc
	v_cndmask_b32_e32 v24, 7, v24, vcc
	v_min_i32_e32 v3, 15, v21
	v_cmp_eq_u64_e64 s[40:41], 0, v[24:25]
	v_lshlrev_b32_e32 v3, 3, v3
	v_cmp_eq_u32_e32 vcc, 0, v21
	v_and_b32_e32 v3, 0xf8, v3
	v_and_or_b32 v3, v24, 7, v3
	s_and_b64 s[40:41], vcc, s[40:41]
	v_cndmask_b32_e64 v3, v3, 0, s[40:41]
	v_or_b32_e32 v53, v3, v1
.LBB2_5030:                             ;   in Loop: Header=BB2_4992 Depth=3
	s_or_b64 exec, exec, s[46:47]
                                        ; implicit-def: $vgpr1
.LBB2_5031:                             ;   in Loop: Header=BB2_4992 Depth=3
	s_andn2_saveexec_b64 s[40:41], s[44:45]
; %bb.5032:                             ;   in Loop: Header=BB2_4992 Depth=3
	v_or_b32_e32 v53, 0x7e, v1
; %bb.5033:                             ;   in Loop: Header=BB2_4992 Depth=3
	s_or_b64 exec, exec, s[40:41]
                                        ; implicit-def: $vgpr21
.LBB2_5034:                             ;   in Loop: Header=BB2_4992 Depth=3
	s_andn2_saveexec_b64 s[40:41], s[42:43]
; %bb.5035:                             ;   in Loop: Header=BB2_4992 Depth=3
	v_or_b32_sdwa v53, v21, s97 dst_sel:DWORD dst_unused:UNUSED_PAD src0_sel:BYTE_3 src1_sel:DWORD
; %bb.5036:                             ;   in Loop: Header=BB2_4992 Depth=3
	s_or_b64 exec, exec, s[40:41]
	v_lshrrev_b16_e32 v34, 8, v12
	v_and_b32_e32 v1, 7, v34
	v_and_b32_e32 v3, 0x7f, v34
	v_cmp_eq_u32_e64 s[40:41], s97, v3
	v_cmp_gt_u32_e32 vcc, 8, v3
	v_ffbh_u32_e32 v3, v1
	v_min_u32_e32 v3, 32, v3
	v_subrev_u32_e32 v6, 28, v3
	v_lshlrev_b64 v[24:25], v6, v[34:35]
	v_bfe_u32 v4, v34, 3, 4
	v_sub_u32_e32 v3, 29, v3
	v_and_b32_e32 v6, 7, v24
	v_cndmask_b32_e32 v3, v4, v3, vcc
	v_cndmask_b32_e32 v1, v1, v6, vcc
	v_lshlrev_b32_e32 v4, 24, v34
	v_lshlrev_b32_e32 v1, 20, v1
	v_and_b32_e32 v4, 0x80000000, v4
	v_lshl_add_u32 v3, v3, 23, v48
	v_lshrrev_b16_e32 v30, 8, v8
	v_or3_b32 v1, v4, v3, v1
	v_cmp_ne_u16_e64 s[42:43], 0, v30
	s_mov_b64 s[44:45], -1
	s_and_b64 vcc, exec, s[52:53]
                                        ; implicit-def: $vgpr21
	s_cbranch_vccz .LBB2_5050
; %bb.5037:                             ;   in Loop: Header=BB2_4992 Depth=3
	v_mov_b32_e32 v21, 0
	s_and_saveexec_b64 s[44:45], s[42:43]
	s_cbranch_execz .LBB2_5043
; %bb.5038:                             ;   in Loop: Header=BB2_4992 Depth=3
	v_cmp_ne_u16_e32 vcc, s59, v30
	v_bfrev_b32_e32 v21, 1
	s_and_saveexec_b64 s[46:47], vcc
	s_cbranch_execz .LBB2_5042
; %bb.5039:                             ;   in Loop: Header=BB2_4992 Depth=3
	v_and_b32_e32 v16, 0x7f, v30
	v_cmp_ne_u32_e32 vcc, s97, v16
	v_mov_b32_e32 v21, 0x7f800001
	s_and_saveexec_b64 s[54:55], vcc
	s_cbranch_execz .LBB2_5041
; %bb.5040:                             ;   in Loop: Header=BB2_4992 Depth=3
	v_and_b32_e32 v3, 7, v30
	v_ffbh_u32_e32 v6, v3
	v_min_u32_e32 v6, 32, v6
	v_subrev_u32_e32 v7, 28, v6
	v_lshlrev_b64 v[24:25], v7, v[30:31]
	v_lshrrev_b32_e32 v4, 3, v16
	v_cmp_gt_u32_e32 vcc, 8, v16
	v_sub_u32_e32 v6, 29, v6
	v_and_b32_e32 v7, 7, v24
	v_cndmask_b32_e32 v4, v4, v6, vcc
	v_cndmask_b32_e32 v3, v3, v7, vcc
	v_lshlrev_b32_e32 v6, 16, v8
	v_lshlrev_b32_e32 v3, 20, v3
	v_and_b32_e32 v6, 0x80000000, v6
	v_lshl_add_u32 v4, v4, 23, v48
	v_or3_b32 v21, v6, v4, v3
.LBB2_5041:                             ;   in Loop: Header=BB2_4992 Depth=3
	s_or_b64 exec, exec, s[54:55]
.LBB2_5042:                             ;   in Loop: Header=BB2_4992 Depth=3
	s_or_b64 exec, exec, s[46:47]
.LBB2_5043:                             ;   in Loop: Header=BB2_4992 Depth=3
	s_or_b64 exec, exec, s[44:45]
	v_cmp_lt_i16_e32 vcc, s97, v34
	s_mov_b64 s[44:45], 0
	s_and_saveexec_b64 s[46:47], vcc
	s_xor_b64 s[46:47], exec, s[46:47]
	s_cbranch_execz .LBB2_5652
; %bb.5044:                             ;   in Loop: Header=BB2_4992 Depth=3
	v_cmp_eq_u16_e32 vcc, s59, v34
	s_mov_b64 s[44:45], -1
	s_and_saveexec_b64 s[54:55], vcc
; %bb.5045:                             ;   in Loop: Header=BB2_4992 Depth=3
	s_xor_b64 s[44:45], exec, -1
; %bb.5046:                             ;   in Loop: Header=BB2_4992 Depth=3
	s_or_b64 exec, exec, s[54:55]
	s_and_b64 s[44:45], s[44:45], exec
	s_or_saveexec_b64 s[46:47], s[46:47]
	v_bfrev_b32_e32 v16, 1
	s_xor_b64 exec, exec, s[46:47]
	s_cbranch_execnz .LBB2_5653
.LBB2_5047:                             ;   in Loop: Header=BB2_4992 Depth=3
	s_or_b64 exec, exec, s[46:47]
	s_and_saveexec_b64 s[46:47], s[44:45]
.LBB2_5048:                             ;   in Loop: Header=BB2_4992 Depth=3
	v_cndmask_b32_e64 v16, v1, v49, s[40:41]
.LBB2_5049:                             ;   in Loop: Header=BB2_4992 Depth=3
	s_or_b64 exec, exec, s[46:47]
	v_max_f32_e32 v3, v16, v16
	v_max_f32_e32 v4, v21, v21
	;; [unrolled: 1-line block ×3, first 2 shown]
	s_mov_b64 s[44:45], 0
.LBB2_5050:                             ;   in Loop: Header=BB2_4992 Depth=3
	s_and_b64 vcc, exec, s[44:45]
	s_cbranch_vccz .LBB2_5064
; %bb.5051:                             ;   in Loop: Header=BB2_4992 Depth=3
	v_mov_b32_e32 v21, 0
	s_and_saveexec_b64 s[44:45], s[42:43]
	s_cbranch_execz .LBB2_5057
; %bb.5052:                             ;   in Loop: Header=BB2_4992 Depth=3
	v_cmp_ne_u16_e32 vcc, s59, v30
	v_bfrev_b32_e32 v21, 1
	s_and_saveexec_b64 s[42:43], vcc
	s_cbranch_execz .LBB2_5056
; %bb.5053:                             ;   in Loop: Header=BB2_4992 Depth=3
	v_and_b32_e32 v16, 0x7f, v30
	v_cmp_ne_u32_e32 vcc, s97, v16
	v_mov_b32_e32 v21, 0x7f800001
	s_and_saveexec_b64 s[46:47], vcc
	s_cbranch_execz .LBB2_5055
; %bb.5054:                             ;   in Loop: Header=BB2_4992 Depth=3
	v_and_b32_e32 v3, 7, v30
	v_ffbh_u32_e32 v6, v3
	v_min_u32_e32 v6, 32, v6
	v_subrev_u32_e32 v7, 28, v6
	v_lshlrev_b64 v[24:25], v7, v[30:31]
	v_lshrrev_b32_e32 v4, 3, v16
	v_cmp_gt_u32_e32 vcc, 8, v16
	v_sub_u32_e32 v6, 29, v6
	v_and_b32_e32 v7, 7, v24
	v_cndmask_b32_e32 v4, v4, v6, vcc
	v_cndmask_b32_e32 v3, v3, v7, vcc
	v_lshlrev_b32_e32 v6, 16, v8
	v_lshlrev_b32_e32 v3, 20, v3
	v_and_b32_e32 v6, 0x80000000, v6
	v_lshl_add_u32 v4, v4, 23, v48
	v_or3_b32 v21, v6, v4, v3
.LBB2_5055:                             ;   in Loop: Header=BB2_4992 Depth=3
	s_or_b64 exec, exec, s[46:47]
.LBB2_5056:                             ;   in Loop: Header=BB2_4992 Depth=3
	s_or_b64 exec, exec, s[42:43]
.LBB2_5057:                             ;   in Loop: Header=BB2_4992 Depth=3
	s_or_b64 exec, exec, s[44:45]
	v_cmp_lt_i16_e32 vcc, s97, v34
	s_mov_b64 s[42:43], 0
	s_and_saveexec_b64 s[44:45], vcc
	s_xor_b64 s[44:45], exec, s[44:45]
	s_cbranch_execz .LBB2_5654
; %bb.5058:                             ;   in Loop: Header=BB2_4992 Depth=3
	v_cmp_eq_u16_e32 vcc, s59, v34
	s_mov_b64 s[42:43], -1
	s_and_saveexec_b64 s[46:47], vcc
; %bb.5059:                             ;   in Loop: Header=BB2_4992 Depth=3
	s_xor_b64 s[42:43], exec, -1
; %bb.5060:                             ;   in Loop: Header=BB2_4992 Depth=3
	s_or_b64 exec, exec, s[46:47]
	s_and_b64 s[42:43], s[42:43], exec
	s_or_saveexec_b64 s[44:45], s[44:45]
	v_bfrev_b32_e32 v16, 1
	s_xor_b64 exec, exec, s[44:45]
	s_cbranch_execnz .LBB2_5655
.LBB2_5061:                             ;   in Loop: Header=BB2_4992 Depth=3
	s_or_b64 exec, exec, s[44:45]
	s_and_saveexec_b64 s[44:45], s[42:43]
.LBB2_5062:                             ;   in Loop: Header=BB2_4992 Depth=3
	v_cndmask_b32_e64 v16, v1, v49, s[40:41]
.LBB2_5063:                             ;   in Loop: Header=BB2_4992 Depth=3
	s_or_b64 exec, exec, s[44:45]
	v_max_f32_e32 v1, v16, v16
	v_max_f32_e32 v3, v21, v21
	v_min_f32_e32 v21, v3, v1
.LBB2_5064:                             ;   in Loop: Header=BB2_4992 Depth=3
	v_and_b32_e32 v34, 0x7f800000, v21
	v_cmp_ne_u64_e32 vcc, s[90:91], v[34:35]
                                        ; implicit-def: $vgpr40
	s_and_saveexec_b64 s[40:41], vcc
	s_xor_b64 s[42:43], exec, s[40:41]
	s_cbranch_execz .LBB2_5078
; %bb.5065:                             ;   in Loop: Header=BB2_4992 Depth=3
	v_and_b32_e32 v34, 0x7fffffff, v21
	v_cmp_gt_u64_e32 vcc, s[92:93], v[34:35]
	v_and_b32_sdwa v1, v21, s59 dst_sel:DWORD dst_unused:UNUSED_PAD src0_sel:BYTE_3 src1_sel:DWORD
                                        ; implicit-def: $vgpr40
	s_and_saveexec_b64 s[40:41], vcc
	s_xor_b64 s[44:45], exec, s[40:41]
	s_cbranch_execz .LBB2_5075
; %bb.5066:                             ;   in Loop: Header=BB2_4992 Depth=3
	v_mov_b32_e32 v40, 0
	v_cmp_ne_u32_e32 vcc, 0, v21
	s_and_saveexec_b64 s[46:47], vcc
	s_cbranch_execz .LBB2_5074
; %bb.5067:                             ;   in Loop: Header=BB2_4992 Depth=3
	v_and_b32_e32 v3, 0x7fffff, v21
	v_bfe_u32 v21, v21, 23, 8
	v_cmp_gt_u32_e64 s[40:41], s56, v21
	v_sub_u32_e32 v4, 0x79, v21
	v_cmp_eq_u32_e32 vcc, 0, v21
	v_cndmask_b32_e64 v4, 0, v4, s[40:41]
	v_mov_b32_e32 v7, 0x78
	v_or_b32_e32 v6, 0x800000, v3
	v_cndmask_b32_e32 v24, v4, v7, vcc
	v_cndmask_b32_e32 v34, v6, v3, vcc
	v_add_u32_e32 v3, 20, v24
	v_lshlrev_b64 v[30:31], v3, -1
	v_add_u32_e32 v3, 19, v24
	v_lshlrev_b64 v[39:40], v3, 1
	v_lshrrev_b64 v[57:58], v24, v[34:35]
	v_bfi_b32 v31, v31, 0, 0
	v_bfi_b32 v30, v30, 0, v34
	v_cmp_eq_u64_e64 s[40:41], v[30:31], v[39:40]
	v_mov_b32_e32 v59, v58
	v_mov_b32_e32 v58, v57
	s_and_saveexec_b64 s[54:55], s[40:41]
; %bb.5068:                             ;   in Loop: Header=BB2_4992 Depth=3
	v_bfe_u32 v3, v57, 20, 1
	v_add_co_u32_e64 v3, s[40:41], v57, v3
	v_add_co_u32_e64 v58, s[40:41], -1, v3
; %bb.5069:                             ;   in Loop: Header=BB2_4992 Depth=3
	s_or_b64 exec, exec, s[54:55]
	v_add_u32_e32 v3, 0xffffff81, v21
	v_cndmask_b32_e32 v3, v3, v52, vcc
	v_lshrrev_b32_e32 v4, 23, v57
	v_add3_u32 v24, v24, v3, v4
	v_add_u32_e32 v16, 6, v24
	v_and_b32_e32 v3, 0xfffff, v58
	v_add_u32_e32 v34, v3, v57
	v_cmp_ne_u32_e32 vcc, 0, v16
                                        ; implicit-def: $vgpr57_vgpr58
                                        ; implicit-def: $vgpr21
	s_and_saveexec_b64 s[40:41], vcc
	s_xor_b64 s[40:41], exec, s[40:41]
; %bb.5070:                             ;   in Loop: Header=BB2_4992 Depth=3
	v_cmp_lt_u64_e32 vcc, s[94:95], v[34:35]
	v_add_u32_e32 v3, 7, v24
	v_cndmask_b32_e32 v21, v16, v3, vcc
	v_cndmask_b32_e64 v3, 0, 1, vcc
	v_lshrrev_b64 v[57:58], v3, v[34:35]
; %bb.5071:                             ;   in Loop: Header=BB2_4992 Depth=3
	s_andn2_saveexec_b64 s[40:41], s[40:41]
; %bb.5072:                             ;   in Loop: Header=BB2_4992 Depth=3
	v_mov_b32_e32 v58, v35
	v_bfe_u32 v21, v34, 23, 1
	v_mov_b32_e32 v57, v34
; %bb.5073:                             ;   in Loop: Header=BB2_4992 Depth=3
	s_or_b64 exec, exec, s[40:41]
	v_lshrrev_b64 v[24:25], 20, v[57:58]
	v_cmp_gt_i32_e32 vcc, 16, v21
	v_cndmask_b32_e32 v25, 0, v25, vcc
	v_cndmask_b32_e32 v24, 7, v24, vcc
	v_min_i32_e32 v3, 15, v21
	v_cmp_eq_u64_e64 s[40:41], 0, v[24:25]
	v_lshlrev_b32_e32 v3, 3, v3
	v_cmp_eq_u32_e32 vcc, 0, v21
	v_and_b32_e32 v3, 0xf8, v3
	v_and_or_b32 v3, v24, 7, v3
	s_and_b64 s[40:41], vcc, s[40:41]
	v_cndmask_b32_e64 v3, v3, 0, s[40:41]
	v_or_b32_e32 v40, v3, v1
.LBB2_5074:                             ;   in Loop: Header=BB2_4992 Depth=3
	s_or_b64 exec, exec, s[46:47]
                                        ; implicit-def: $vgpr1
.LBB2_5075:                             ;   in Loop: Header=BB2_4992 Depth=3
	s_andn2_saveexec_b64 s[40:41], s[44:45]
; %bb.5076:                             ;   in Loop: Header=BB2_4992 Depth=3
	v_or_b32_e32 v40, 0x7e, v1
; %bb.5077:                             ;   in Loop: Header=BB2_4992 Depth=3
	s_or_b64 exec, exec, s[40:41]
                                        ; implicit-def: $vgpr21
.LBB2_5078:                             ;   in Loop: Header=BB2_4992 Depth=3
	s_andn2_saveexec_b64 s[40:41], s[42:43]
; %bb.5079:                             ;   in Loop: Header=BB2_4992 Depth=3
	v_or_b32_sdwa v40, v21, s97 dst_sel:DWORD dst_unused:UNUSED_PAD src0_sel:BYTE_3 src1_sel:DWORD
; %bb.5080:                             ;   in Loop: Header=BB2_4992 Depth=3
	s_or_b64 exec, exec, s[40:41]
	v_bfe_u32 v1, v12, 16, 3
	v_bfe_u32 v3, v12, 16, 7
	v_cmp_eq_u32_e64 s[40:41], s97, v3
	v_cmp_gt_u32_e32 vcc, 8, v3
	v_ffbh_u32_e32 v3, v1
	v_min_u32_e32 v3, 32, v3
	v_lshrrev_b32_e32 v30, 16, v12
	v_subrev_u32_e32 v6, 28, v3
	v_lshlrev_b64 v[24:25], v6, v[30:31]
	v_bfe_u32 v4, v30, 3, 4
	v_sub_u32_e32 v3, 29, v3
	v_and_b32_e32 v6, 7, v24
	v_cndmask_b32_e32 v3, v4, v3, vcc
	v_cndmask_b32_e32 v1, v1, v6, vcc
	v_lshlrev_b32_e32 v4, 8, v12
	v_lshlrev_b32_e32 v1, 20, v1
	v_and_b32_e32 v4, 0x80000000, v4
	v_lshl_add_u32 v3, v3, 23, v48
	v_lshrrev_b32_e32 v34, 16, v8
	v_or3_b32 v1, v4, v3, v1
	v_cmp_ne_u16_sdwa s[42:43], v34, v35 src0_sel:BYTE_0 src1_sel:DWORD
	s_mov_b64 s[44:45], -1
	s_and_b64 vcc, exec, s[52:53]
                                        ; implicit-def: $vgpr24
	s_cbranch_vccz .LBB2_5094
; %bb.5081:                             ;   in Loop: Header=BB2_4992 Depth=3
	v_mov_b32_e32 v21, 0
	s_and_saveexec_b64 s[44:45], s[42:43]
	s_cbranch_execz .LBB2_5087
; %bb.5082:                             ;   in Loop: Header=BB2_4992 Depth=3
	v_cmp_ne_u16_sdwa vcc, v34, s59 src0_sel:BYTE_0 src1_sel:DWORD
	v_bfrev_b32_e32 v21, 1
	s_and_saveexec_b64 s[46:47], vcc
	s_cbranch_execz .LBB2_5086
; %bb.5083:                             ;   in Loop: Header=BB2_4992 Depth=3
	v_bfe_u32 v16, v8, 16, 7
	v_cmp_ne_u32_e32 vcc, s97, v16
	v_mov_b32_e32 v21, 0x7f800001
	s_and_saveexec_b64 s[54:55], vcc
	s_cbranch_execz .LBB2_5085
; %bb.5084:                             ;   in Loop: Header=BB2_4992 Depth=3
	v_and_b32_e32 v3, 7, v34
	v_ffbh_u32_e32 v6, v3
	v_min_u32_e32 v6, 32, v6
	v_subrev_u32_e32 v7, 28, v6
	v_lshlrev_b64 v[24:25], v7, v[34:35]
	v_lshrrev_b32_e32 v4, 3, v16
	v_cmp_gt_u32_e32 vcc, 8, v16
	v_sub_u32_e32 v6, 29, v6
	v_and_b32_e32 v7, 7, v24
	v_cndmask_b32_e32 v4, v4, v6, vcc
	v_cndmask_b32_e32 v3, v3, v7, vcc
	v_lshlrev_b32_e32 v6, 24, v34
	v_lshlrev_b32_e32 v3, 20, v3
	v_and_b32_e32 v6, 0x80000000, v6
	v_lshl_add_u32 v4, v4, 23, v48
	v_or3_b32 v21, v6, v4, v3
.LBB2_5085:                             ;   in Loop: Header=BB2_4992 Depth=3
	s_or_b64 exec, exec, s[54:55]
.LBB2_5086:                             ;   in Loop: Header=BB2_4992 Depth=3
	s_or_b64 exec, exec, s[46:47]
.LBB2_5087:                             ;   in Loop: Header=BB2_4992 Depth=3
	s_or_b64 exec, exec, s[44:45]
	v_cmp_gt_i16_sdwa s[46:47], v30, s97 src0_sel:BYTE_0 src1_sel:DWORD
	s_mov_b64 s[44:45], 0
	s_and_saveexec_b64 vcc, s[46:47]
	s_xor_b64 s[46:47], exec, vcc
	s_cbranch_execz .LBB2_5656
; %bb.5088:                             ;   in Loop: Header=BB2_4992 Depth=3
	v_cmp_eq_u16_sdwa s[54:55], v30, s59 src0_sel:BYTE_0 src1_sel:DWORD
	s_mov_b64 s[44:45], -1
	s_and_saveexec_b64 vcc, s[54:55]
; %bb.5089:                             ;   in Loop: Header=BB2_4992 Depth=3
	s_xor_b64 s[44:45], exec, -1
; %bb.5090:                             ;   in Loop: Header=BB2_4992 Depth=3
	s_or_b64 exec, exec, vcc
	s_and_b64 s[44:45], s[44:45], exec
	s_or_saveexec_b64 s[46:47], s[46:47]
	v_bfrev_b32_e32 v16, 1
	s_xor_b64 exec, exec, s[46:47]
	s_cbranch_execnz .LBB2_5657
.LBB2_5091:                             ;   in Loop: Header=BB2_4992 Depth=3
	s_or_b64 exec, exec, s[46:47]
	s_and_saveexec_b64 s[46:47], s[44:45]
.LBB2_5092:                             ;   in Loop: Header=BB2_4992 Depth=3
	v_cndmask_b32_e64 v16, v1, v49, s[40:41]
.LBB2_5093:                             ;   in Loop: Header=BB2_4992 Depth=3
	s_or_b64 exec, exec, s[46:47]
	v_max_f32_e32 v3, v16, v16
	v_max_f32_e32 v4, v21, v21
	;; [unrolled: 1-line block ×3, first 2 shown]
	s_mov_b64 s[44:45], 0
.LBB2_5094:                             ;   in Loop: Header=BB2_4992 Depth=3
	s_and_b64 vcc, exec, s[44:45]
	s_cbranch_vccz .LBB2_5108
; %bb.5095:                             ;   in Loop: Header=BB2_4992 Depth=3
	v_mov_b32_e32 v21, 0
	s_and_saveexec_b64 s[44:45], s[42:43]
	s_cbranch_execz .LBB2_5101
; %bb.5096:                             ;   in Loop: Header=BB2_4992 Depth=3
	v_cmp_ne_u16_sdwa s[46:47], v34, s59 src0_sel:BYTE_0 src1_sel:DWORD
	v_bfrev_b32_e32 v21, 1
	s_and_saveexec_b64 s[42:43], s[46:47]
	s_cbranch_execz .LBB2_5100
; %bb.5097:                             ;   in Loop: Header=BB2_4992 Depth=3
	v_bfe_u32 v16, v8, 16, 7
	v_cmp_ne_u32_e32 vcc, s97, v16
	v_mov_b32_e32 v21, 0x7f800001
	s_and_saveexec_b64 s[46:47], vcc
	s_cbranch_execz .LBB2_5099
; %bb.5098:                             ;   in Loop: Header=BB2_4992 Depth=3
	v_and_b32_e32 v3, 7, v34
	v_ffbh_u32_e32 v6, v3
	v_min_u32_e32 v6, 32, v6
	v_subrev_u32_e32 v7, 28, v6
	v_lshlrev_b64 v[24:25], v7, v[34:35]
	v_lshrrev_b32_e32 v4, 3, v16
	v_cmp_gt_u32_e32 vcc, 8, v16
	v_sub_u32_e32 v6, 29, v6
	v_and_b32_e32 v7, 7, v24
	v_cndmask_b32_e32 v4, v4, v6, vcc
	v_cndmask_b32_e32 v3, v3, v7, vcc
	v_lshlrev_b32_e32 v6, 24, v34
	v_lshlrev_b32_e32 v3, 20, v3
	v_and_b32_e32 v6, 0x80000000, v6
	v_lshl_add_u32 v4, v4, 23, v48
	v_or3_b32 v21, v6, v4, v3
.LBB2_5099:                             ;   in Loop: Header=BB2_4992 Depth=3
	s_or_b64 exec, exec, s[46:47]
.LBB2_5100:                             ;   in Loop: Header=BB2_4992 Depth=3
	s_or_b64 exec, exec, s[42:43]
.LBB2_5101:                             ;   in Loop: Header=BB2_4992 Depth=3
	s_or_b64 exec, exec, s[44:45]
	v_cmp_gt_i16_sdwa s[44:45], v30, s97 src0_sel:BYTE_0 src1_sel:DWORD
	s_mov_b64 s[42:43], 0
	s_and_saveexec_b64 s[46:47], s[44:45]
	s_xor_b64 s[44:45], exec, s[46:47]
	s_cbranch_execz .LBB2_5658
; %bb.5102:                             ;   in Loop: Header=BB2_4992 Depth=3
	v_cmp_eq_u16_sdwa vcc, v30, s59 src0_sel:BYTE_0 src1_sel:DWORD
	s_mov_b64 s[42:43], -1
	s_and_saveexec_b64 s[46:47], vcc
; %bb.5103:                             ;   in Loop: Header=BB2_4992 Depth=3
	s_xor_b64 s[42:43], exec, -1
; %bb.5104:                             ;   in Loop: Header=BB2_4992 Depth=3
	s_or_b64 exec, exec, s[46:47]
	s_and_b64 s[42:43], s[42:43], exec
                                        ; implicit-def: $vgpr30
	s_or_saveexec_b64 s[44:45], s[44:45]
	v_bfrev_b32_e32 v16, 1
	s_xor_b64 exec, exec, s[44:45]
	s_cbranch_execnz .LBB2_5659
.LBB2_5105:                             ;   in Loop: Header=BB2_4992 Depth=3
	s_or_b64 exec, exec, s[44:45]
	s_and_saveexec_b64 s[44:45], s[42:43]
.LBB2_5106:                             ;   in Loop: Header=BB2_4992 Depth=3
	v_cndmask_b32_e64 v16, v1, v49, s[40:41]
.LBB2_5107:                             ;   in Loop: Header=BB2_4992 Depth=3
	s_or_b64 exec, exec, s[44:45]
	v_max_f32_e32 v1, v16, v16
	v_max_f32_e32 v3, v21, v21
	v_min_f32_e32 v24, v3, v1
.LBB2_5108:                             ;   in Loop: Header=BB2_4992 Depth=3
	v_and_b32_e32 v34, 0x7f800000, v24
	v_cmp_ne_u64_e32 vcc, s[90:91], v[34:35]
                                        ; implicit-def: $vgpr21
	s_and_saveexec_b64 s[40:41], vcc
	s_xor_b64 s[42:43], exec, s[40:41]
	s_cbranch_execz .LBB2_5122
; %bb.5109:                             ;   in Loop: Header=BB2_4992 Depth=3
	v_and_b32_e32 v34, 0x7fffffff, v24
	v_cmp_gt_u64_e32 vcc, s[92:93], v[34:35]
	v_and_b32_sdwa v1, v24, s59 dst_sel:DWORD dst_unused:UNUSED_PAD src0_sel:BYTE_3 src1_sel:DWORD
                                        ; implicit-def: $vgpr21
	s_and_saveexec_b64 s[40:41], vcc
	s_xor_b64 s[44:45], exec, s[40:41]
	s_cbranch_execz .LBB2_5119
; %bb.5110:                             ;   in Loop: Header=BB2_4992 Depth=3
	v_mov_b32_e32 v21, 0
	v_cmp_ne_u32_e32 vcc, 0, v24
	s_and_saveexec_b64 s[46:47], vcc
	s_cbranch_execz .LBB2_5118
; %bb.5111:                             ;   in Loop: Header=BB2_4992 Depth=3
	v_bfe_u32 v21, v24, 23, 8
	v_cmp_gt_u32_e64 s[40:41], s56, v21
	v_sub_u32_e32 v4, 0x79, v21
	v_and_b32_e32 v3, 0x7fffff, v24
	v_cmp_eq_u32_e32 vcc, 0, v21
	v_cndmask_b32_e64 v4, 0, v4, s[40:41]
	v_mov_b32_e32 v7, 0x78
	v_or_b32_e32 v6, 0x800000, v3
	v_cndmask_b32_e32 v24, v4, v7, vcc
	v_cndmask_b32_e32 v34, v6, v3, vcc
	v_add_u32_e32 v3, 20, v24
	v_lshlrev_b64 v[30:31], v3, -1
	v_add_u32_e32 v3, 19, v24
	v_lshlrev_b64 v[57:58], v3, 1
	v_bfi_b32 v31, v31, 0, 0
	v_bfi_b32 v30, v30, 0, v34
	v_cmp_eq_u64_e64 s[40:41], v[30:31], v[57:58]
	v_lshrrev_b64 v[57:58], v24, v[34:35]
	v_mov_b32_e32 v59, v58
	v_mov_b32_e32 v58, v57
	s_and_saveexec_b64 s[54:55], s[40:41]
; %bb.5112:                             ;   in Loop: Header=BB2_4992 Depth=3
	v_bfe_u32 v3, v57, 20, 1
	v_add_co_u32_e64 v3, s[40:41], v57, v3
	v_add_co_u32_e64 v58, s[40:41], -1, v3
; %bb.5113:                             ;   in Loop: Header=BB2_4992 Depth=3
	s_or_b64 exec, exec, s[54:55]
	v_add_u32_e32 v3, 0xffffff81, v21
	v_cndmask_b32_e32 v3, v3, v52, vcc
	v_lshrrev_b32_e32 v4, 23, v57
	v_add3_u32 v24, v24, v3, v4
	v_add_u32_e32 v16, 6, v24
	v_and_b32_e32 v3, 0xfffff, v58
	v_add_u32_e32 v34, v3, v57
	v_cmp_ne_u32_e32 vcc, 0, v16
                                        ; implicit-def: $vgpr57_vgpr58
                                        ; implicit-def: $vgpr21
	s_and_saveexec_b64 s[40:41], vcc
	s_xor_b64 s[40:41], exec, s[40:41]
; %bb.5114:                             ;   in Loop: Header=BB2_4992 Depth=3
	v_cmp_lt_u64_e32 vcc, s[94:95], v[34:35]
	v_add_u32_e32 v3, 7, v24
	v_cndmask_b32_e32 v21, v16, v3, vcc
	v_cndmask_b32_e64 v3, 0, 1, vcc
	v_lshrrev_b64 v[57:58], v3, v[34:35]
; %bb.5115:                             ;   in Loop: Header=BB2_4992 Depth=3
	s_andn2_saveexec_b64 s[40:41], s[40:41]
; %bb.5116:                             ;   in Loop: Header=BB2_4992 Depth=3
	v_mov_b32_e32 v58, v35
	v_bfe_u32 v21, v34, 23, 1
	v_mov_b32_e32 v57, v34
; %bb.5117:                             ;   in Loop: Header=BB2_4992 Depth=3
	s_or_b64 exec, exec, s[40:41]
	v_lshrrev_b64 v[24:25], 20, v[57:58]
	v_cmp_gt_i32_e32 vcc, 16, v21
	v_cndmask_b32_e32 v25, 0, v25, vcc
	v_cndmask_b32_e32 v24, 7, v24, vcc
	v_min_i32_e32 v3, 15, v21
	v_cmp_eq_u64_e64 s[40:41], 0, v[24:25]
	v_lshlrev_b32_e32 v3, 3, v3
	v_cmp_eq_u32_e32 vcc, 0, v21
	v_and_b32_e32 v3, 0xf8, v3
	v_and_or_b32 v3, v24, 7, v3
	s_and_b64 s[40:41], vcc, s[40:41]
	v_cndmask_b32_e64 v3, v3, 0, s[40:41]
	v_or_b32_e32 v21, v3, v1
.LBB2_5118:                             ;   in Loop: Header=BB2_4992 Depth=3
	s_or_b64 exec, exec, s[46:47]
                                        ; implicit-def: $vgpr1
.LBB2_5119:                             ;   in Loop: Header=BB2_4992 Depth=3
	s_andn2_saveexec_b64 s[40:41], s[44:45]
; %bb.5120:                             ;   in Loop: Header=BB2_4992 Depth=3
	v_or_b32_e32 v21, 0x7e, v1
; %bb.5121:                             ;   in Loop: Header=BB2_4992 Depth=3
	s_or_b64 exec, exec, s[40:41]
                                        ; implicit-def: $vgpr24
.LBB2_5122:                             ;   in Loop: Header=BB2_4992 Depth=3
	s_andn2_saveexec_b64 s[40:41], s[42:43]
; %bb.5123:                             ;   in Loop: Header=BB2_4992 Depth=3
	v_or_b32_sdwa v21, v24, s97 dst_sel:DWORD dst_unused:UNUSED_PAD src0_sel:BYTE_3 src1_sel:DWORD
; %bb.5124:                             ;   in Loop: Header=BB2_4992 Depth=3
	s_or_b64 exec, exec, s[40:41]
	v_bfe_u32 v3, v12, 24, 3
	v_bfe_u32 v4, v12, 24, 7
	v_cmp_eq_u32_e64 s[44:45], s97, v4
	v_cmp_gt_u32_e32 vcc, 8, v4
	v_ffbh_u32_e32 v4, v3
	v_min_u32_e32 v4, 32, v4
	v_lshrrev_b32_e32 v1, 24, v12
	v_subrev_u32_e32 v7, 28, v4
	v_lshlrev_b64 v[24:25], v7, v[1:2]
	v_bfe_u32 v6, v1, 3, 4
	v_cmp_eq_u32_e64 s[42:43], s59, v1
	v_sub_u32_e32 v1, 29, v4
	v_and_b32_e32 v4, 7, v24
	v_cndmask_b32_e32 v1, v6, v1, vcc
	v_cndmask_b32_e32 v3, v3, v4, vcc
	v_lshlrev_b32_e32 v3, 20, v3
	v_and_b32_e32 v4, 0x80000000, v12
	v_lshl_add_u32 v1, v1, 23, v48
	v_lshrrev_b32_e32 v30, 24, v8
	v_cmp_gt_u32_e64 s[40:41], s61, v12
	v_or3_b32 v1, v4, v1, v3
	v_cmp_lt_u32_e64 s[46:47], s63, v8
	s_mov_b64 s[54:55], -1
	s_and_b64 vcc, exec, s[52:53]
                                        ; implicit-def: $vgpr24
	s_cbranch_vccz .LBB2_5132
; %bb.5125:                             ;   in Loop: Header=BB2_4992 Depth=3
	v_mov_b32_e32 v16, 0
	s_and_saveexec_b64 s[54:55], s[46:47]
	s_cbranch_execz .LBB2_5131
; %bb.5126:                             ;   in Loop: Header=BB2_4992 Depth=3
	v_cmp_ne_u32_e32 vcc, s59, v30
	v_bfrev_b32_e32 v16, 1
	s_and_saveexec_b64 s[64:65], vcc
	s_cbranch_execz .LBB2_5130
; %bb.5127:                             ;   in Loop: Header=BB2_4992 Depth=3
	v_bfe_u32 v24, v8, 24, 7
	v_cmp_ne_u32_e32 vcc, s97, v24
	v_mov_b32_e32 v16, 0x7f800001
	s_and_saveexec_b64 s[66:67], vcc
	s_cbranch_execz .LBB2_5129
; %bb.5128:                             ;   in Loop: Header=BB2_4992 Depth=3
	v_and_b32_e32 v3, 7, v30
	v_ffbh_u32_e32 v6, v3
	v_min_u32_e32 v6, 32, v6
	v_subrev_u32_e32 v7, 28, v6
	v_lshrrev_b32_e32 v4, 3, v24
	v_cmp_gt_u32_e32 vcc, 8, v24
	v_lshlrev_b64 v[24:25], v7, v[30:31]
	v_sub_u32_e32 v6, 29, v6
	v_and_b32_e32 v7, 7, v24
	v_cndmask_b32_e32 v4, v4, v6, vcc
	v_cndmask_b32_e32 v3, v3, v7, vcc
	v_lshlrev_b32_e32 v6, 24, v30
	v_lshlrev_b32_e32 v3, 20, v3
	v_and_b32_e32 v6, 0x80000000, v6
	v_lshl_add_u32 v4, v4, 23, v48
	v_or3_b32 v16, v6, v4, v3
.LBB2_5129:                             ;   in Loop: Header=BB2_4992 Depth=3
	s_or_b64 exec, exec, s[66:67]
.LBB2_5130:                             ;   in Loop: Header=BB2_4992 Depth=3
	s_or_b64 exec, exec, s[64:65]
.LBB2_5131:                             ;   in Loop: Header=BB2_4992 Depth=3
	s_or_b64 exec, exec, s[54:55]
	v_cndmask_b32_e64 v3, v1, v49, s[44:45]
	v_cndmask_b32_e64 v3, v3, v0, s[42:43]
	;; [unrolled: 1-line block ×3, first 2 shown]
	v_max_f32_e32 v3, v3, v3
	v_max_f32_e32 v4, v16, v16
	;; [unrolled: 1-line block ×3, first 2 shown]
	s_mov_b64 s[54:55], 0
.LBB2_5132:                             ;   in Loop: Header=BB2_4992 Depth=3
	s_and_b64 vcc, exec, s[54:55]
	s_cbranch_vccz .LBB2_5140
; %bb.5133:                             ;   in Loop: Header=BB2_4992 Depth=3
	v_mov_b32_e32 v16, 0
	s_and_saveexec_b64 s[54:55], s[46:47]
	s_cbranch_execz .LBB2_5139
; %bb.5134:                             ;   in Loop: Header=BB2_4992 Depth=3
	v_cmp_ne_u32_e32 vcc, s59, v30
	v_bfrev_b32_e32 v16, 1
	s_and_saveexec_b64 s[46:47], vcc
	s_cbranch_execz .LBB2_5138
; %bb.5135:                             ;   in Loop: Header=BB2_4992 Depth=3
	v_bfe_u32 v24, v8, 24, 7
	v_cmp_ne_u32_e32 vcc, s97, v24
	v_mov_b32_e32 v16, 0x7f800001
	s_and_saveexec_b64 s[64:65], vcc
	s_cbranch_execz .LBB2_5137
; %bb.5136:                             ;   in Loop: Header=BB2_4992 Depth=3
	v_and_b32_e32 v3, 7, v30
	v_ffbh_u32_e32 v6, v3
	v_min_u32_e32 v6, 32, v6
	v_subrev_u32_e32 v7, 28, v6
	v_lshrrev_b32_e32 v4, 3, v24
	v_cmp_gt_u32_e32 vcc, 8, v24
	v_lshlrev_b64 v[24:25], v7, v[30:31]
	v_sub_u32_e32 v6, 29, v6
	v_and_b32_e32 v7, 7, v24
	v_cndmask_b32_e32 v4, v4, v6, vcc
	v_cndmask_b32_e32 v3, v3, v7, vcc
	v_lshlrev_b32_e32 v6, 24, v30
	v_lshlrev_b32_e32 v3, 20, v3
	v_and_b32_e32 v6, 0x80000000, v6
	v_lshl_add_u32 v4, v4, 23, v48
	v_or3_b32 v16, v6, v4, v3
.LBB2_5137:                             ;   in Loop: Header=BB2_4992 Depth=3
	s_or_b64 exec, exec, s[64:65]
.LBB2_5138:                             ;   in Loop: Header=BB2_4992 Depth=3
	s_or_b64 exec, exec, s[46:47]
.LBB2_5139:                             ;   in Loop: Header=BB2_4992 Depth=3
	s_or_b64 exec, exec, s[54:55]
	v_cndmask_b32_e64 v1, v1, v49, s[44:45]
	v_cndmask_b32_e64 v1, v1, v0, s[42:43]
	;; [unrolled: 1-line block ×3, first 2 shown]
	v_max_f32_e32 v1, v1, v1
	v_max_f32_e32 v3, v16, v16
	v_min_f32_e32 v24, v3, v1
.LBB2_5140:                             ;   in Loop: Header=BB2_4992 Depth=3
	v_and_b32_e32 v34, 0x7f800000, v24
	v_cmp_ne_u64_e32 vcc, s[90:91], v[34:35]
                                        ; implicit-def: $vgpr36
	s_and_saveexec_b64 s[40:41], vcc
	s_xor_b64 s[42:43], exec, s[40:41]
	s_cbranch_execz .LBB2_5154
; %bb.5141:                             ;   in Loop: Header=BB2_4992 Depth=3
	v_and_b32_e32 v34, 0x7fffffff, v24
	v_cmp_gt_u64_e32 vcc, s[92:93], v[34:35]
	v_and_b32_sdwa v1, v24, s59 dst_sel:DWORD dst_unused:UNUSED_PAD src0_sel:BYTE_3 src1_sel:DWORD
                                        ; implicit-def: $vgpr36
	s_and_saveexec_b64 s[40:41], vcc
	s_xor_b64 s[44:45], exec, s[40:41]
	s_cbranch_execz .LBB2_5151
; %bb.5142:                             ;   in Loop: Header=BB2_4992 Depth=3
	v_mov_b32_e32 v36, 0
	v_cmp_ne_u32_e32 vcc, 0, v24
	s_and_saveexec_b64 s[46:47], vcc
	s_cbranch_execz .LBB2_5150
; %bb.5143:                             ;   in Loop: Header=BB2_4992 Depth=3
	v_and_b32_e32 v3, 0x7fffff, v24
	v_bfe_u32 v24, v24, 23, 8
	v_cmp_gt_u32_e64 s[40:41], s56, v24
	v_sub_u32_e32 v4, 0x79, v24
	v_cmp_eq_u32_e32 vcc, 0, v24
	v_cndmask_b32_e64 v4, 0, v4, s[40:41]
	v_mov_b32_e32 v7, 0x78
	v_or_b32_e32 v6, 0x800000, v3
	v_cndmask_b32_e32 v25, v4, v7, vcc
	v_cndmask_b32_e32 v34, v6, v3, vcc
	v_add_u32_e32 v3, 20, v25
	v_lshlrev_b64 v[30:31], v3, -1
	v_add_u32_e32 v3, 19, v25
	v_lshlrev_b64 v[57:58], v3, 1
	v_bfi_b32 v31, v31, 0, 0
	v_bfi_b32 v30, v30, 0, v34
	v_cmp_eq_u64_e64 s[40:41], v[30:31], v[57:58]
	v_lshrrev_b64 v[57:58], v25, v[34:35]
	v_mov_b32_e32 v59, v58
	v_mov_b32_e32 v58, v57
	s_and_saveexec_b64 s[54:55], s[40:41]
; %bb.5144:                             ;   in Loop: Header=BB2_4992 Depth=3
	v_bfe_u32 v3, v57, 20, 1
	v_add_co_u32_e64 v3, s[40:41], v57, v3
	v_add_co_u32_e64 v58, s[40:41], -1, v3
; %bb.5145:                             ;   in Loop: Header=BB2_4992 Depth=3
	s_or_b64 exec, exec, s[54:55]
	v_add_u32_e32 v3, 0xffffff81, v24
	v_cndmask_b32_e32 v3, v3, v52, vcc
	v_lshrrev_b32_e32 v4, 23, v57
	v_add3_u32 v25, v25, v3, v4
	v_add_u32_e32 v16, 6, v25
	v_and_b32_e32 v3, 0xfffff, v58
	v_add_u32_e32 v34, v3, v57
	v_cmp_ne_u32_e32 vcc, 0, v16
                                        ; implicit-def: $vgpr57_vgpr58
                                        ; implicit-def: $vgpr24
	s_and_saveexec_b64 s[40:41], vcc
	s_xor_b64 s[40:41], exec, s[40:41]
; %bb.5146:                             ;   in Loop: Header=BB2_4992 Depth=3
	v_cmp_lt_u64_e32 vcc, s[94:95], v[34:35]
	v_add_u32_e32 v3, 7, v25
	v_cndmask_b32_e32 v24, v16, v3, vcc
	v_cndmask_b32_e64 v3, 0, 1, vcc
	v_lshrrev_b64 v[57:58], v3, v[34:35]
; %bb.5147:                             ;   in Loop: Header=BB2_4992 Depth=3
	s_andn2_saveexec_b64 s[40:41], s[40:41]
; %bb.5148:                             ;   in Loop: Header=BB2_4992 Depth=3
	v_mov_b32_e32 v58, v35
	v_bfe_u32 v24, v34, 23, 1
	v_mov_b32_e32 v57, v34
; %bb.5149:                             ;   in Loop: Header=BB2_4992 Depth=3
	s_or_b64 exec, exec, s[40:41]
	v_lshrrev_b64 v[30:31], 20, v[57:58]
	v_cmp_gt_i32_e32 vcc, 16, v24
	v_cndmask_b32_e32 v31, 0, v31, vcc
	v_cndmask_b32_e32 v30, 7, v30, vcc
	v_min_i32_e32 v3, 15, v24
	v_cmp_eq_u64_e64 s[40:41], 0, v[30:31]
	v_lshlrev_b32_e32 v3, 3, v3
	v_cmp_eq_u32_e32 vcc, 0, v24
	v_and_b32_e32 v3, 0xf8, v3
	v_and_or_b32 v3, v30, 7, v3
	s_and_b64 s[40:41], vcc, s[40:41]
	v_cndmask_b32_e64 v3, v3, 0, s[40:41]
	v_or_b32_e32 v36, v3, v1
.LBB2_5150:                             ;   in Loop: Header=BB2_4992 Depth=3
	s_or_b64 exec, exec, s[46:47]
                                        ; implicit-def: $vgpr1
.LBB2_5151:                             ;   in Loop: Header=BB2_4992 Depth=3
	s_andn2_saveexec_b64 s[40:41], s[44:45]
; %bb.5152:                             ;   in Loop: Header=BB2_4992 Depth=3
	v_or_b32_e32 v36, 0x7e, v1
; %bb.5153:                             ;   in Loop: Header=BB2_4992 Depth=3
	s_or_b64 exec, exec, s[40:41]
                                        ; implicit-def: $vgpr24
.LBB2_5154:                             ;   in Loop: Header=BB2_4992 Depth=3
	s_andn2_saveexec_b64 s[40:41], s[42:43]
; %bb.5155:                             ;   in Loop: Header=BB2_4992 Depth=3
	v_or_b32_sdwa v36, v24, s97 dst_sel:DWORD dst_unused:UNUSED_PAD src0_sel:BYTE_3 src1_sel:DWORD
; %bb.5156:                             ;   in Loop: Header=BB2_4992 Depth=3
	s_or_b64 exec, exec, s[40:41]
	v_and_b32_e32 v1, 7, v13
	v_ffbh_u32_e32 v1, v1
	v_and_b32_e32 v3, 0x7f, v13
	v_min_u32_e32 v1, 32, v1
	v_cmp_eq_u32_e64 s[40:41], s97, v3
	v_cmp_gt_u32_e32 vcc, 8, v3
	v_subrev_u32_e32 v3, 28, v1
	v_mov_b32_e32 v34, v13
	v_cndmask_b32_e32 v3, 0, v3, vcc
	v_lshlrev_b64 v[24:25], v3, v[34:35]
	v_bfe_u32 v4, v13, 3, 4
	v_sub_u32_e32 v1, 29, v1
	v_cndmask_b32_e32 v1, v4, v1, vcc
	v_lshlrev_b32_e32 v3, 20, v24
	v_lshlrev_b32_e32 v4, 24, v13
	v_and_b32_e32 v3, 0x700000, v3
	v_and_b32_e32 v4, 0x80000000, v4
	v_lshl_add_u32 v1, v1, 23, v48
	v_or3_b32 v1, v4, v1, v3
	v_mov_b32_e32 v57, v9
	v_mov_b32_e32 v58, v35
	v_cmp_ne_u16_sdwa s[42:43], v9, v35 src0_sel:BYTE_0 src1_sel:DWORD
	s_mov_b64 s[44:45], -1
	s_and_b64 vcc, exec, s[52:53]
                                        ; implicit-def: $vgpr24
	s_cbranch_vccz .LBB2_5170
; %bb.5157:                             ;   in Loop: Header=BB2_4992 Depth=3
	v_mov_b32_e32 v24, 0
	s_and_saveexec_b64 s[44:45], s[42:43]
	s_cbranch_execz .LBB2_5163
; %bb.5158:                             ;   in Loop: Header=BB2_4992 Depth=3
	v_cmp_ne_u16_sdwa vcc, v9, s59 src0_sel:BYTE_0 src1_sel:DWORD
	v_bfrev_b32_e32 v24, 1
	s_and_saveexec_b64 s[46:47], vcc
	s_cbranch_execz .LBB2_5162
; %bb.5159:                             ;   in Loop: Header=BB2_4992 Depth=3
	v_and_b32_e32 v16, 0x7f, v9
	v_cmp_ne_u32_e32 vcc, s97, v16
	v_mov_b32_e32 v24, 0x7f800001
	s_and_saveexec_b64 s[54:55], vcc
	s_cbranch_execz .LBB2_5161
; %bb.5160:                             ;   in Loop: Header=BB2_4992 Depth=3
	v_and_b32_e32 v3, 7, v9
	v_ffbh_u32_e32 v3, v3
	v_min_u32_e32 v3, 32, v3
	v_lshrrev_b32_e32 v4, 3, v16
	v_cmp_gt_u32_e32 vcc, 8, v16
	v_subrev_u32_e32 v6, 28, v3
	v_sub_u32_e32 v3, 29, v3
	v_cndmask_b32_e32 v3, v4, v3, vcc
	v_cndmask_b32_e32 v4, 0, v6, vcc
	v_lshlrev_b64 v[24:25], v4, v[57:58]
	v_lshlrev_b32_e32 v6, 24, v57
	v_lshlrev_b32_e32 v4, 20, v24
	v_and_b32_e32 v4, 0x700000, v4
	v_and_b32_e32 v6, 0x80000000, v6
	v_lshl_add_u32 v3, v3, 23, v48
	v_or3_b32 v24, v6, v3, v4
.LBB2_5161:                             ;   in Loop: Header=BB2_4992 Depth=3
	s_or_b64 exec, exec, s[54:55]
.LBB2_5162:                             ;   in Loop: Header=BB2_4992 Depth=3
	s_or_b64 exec, exec, s[46:47]
.LBB2_5163:                             ;   in Loop: Header=BB2_4992 Depth=3
	s_or_b64 exec, exec, s[44:45]
	v_cmp_gt_i16_sdwa s[46:47], v13, s97 src0_sel:BYTE_0 src1_sel:DWORD
	s_mov_b64 s[44:45], 0
	s_and_saveexec_b64 vcc, s[46:47]
	s_xor_b64 s[46:47], exec, vcc
	s_cbranch_execz .LBB2_5660
; %bb.5164:                             ;   in Loop: Header=BB2_4992 Depth=3
	v_cmp_eq_u16_sdwa s[54:55], v13, s59 src0_sel:BYTE_0 src1_sel:DWORD
	s_mov_b64 s[44:45], -1
	s_and_saveexec_b64 vcc, s[54:55]
; %bb.5165:                             ;   in Loop: Header=BB2_4992 Depth=3
	s_xor_b64 s[44:45], exec, -1
; %bb.5166:                             ;   in Loop: Header=BB2_4992 Depth=3
	s_or_b64 exec, exec, vcc
	s_and_b64 s[44:45], s[44:45], exec
	s_or_saveexec_b64 s[46:47], s[46:47]
	v_bfrev_b32_e32 v16, 1
	s_xor_b64 exec, exec, s[46:47]
	s_cbranch_execnz .LBB2_5661
.LBB2_5167:                             ;   in Loop: Header=BB2_4992 Depth=3
	s_or_b64 exec, exec, s[46:47]
	s_and_saveexec_b64 s[46:47], s[44:45]
.LBB2_5168:                             ;   in Loop: Header=BB2_4992 Depth=3
	v_cndmask_b32_e64 v16, v1, v49, s[40:41]
.LBB2_5169:                             ;   in Loop: Header=BB2_4992 Depth=3
	s_or_b64 exec, exec, s[46:47]
	v_max_f32_e32 v3, v16, v16
	v_max_f32_e32 v4, v24, v24
	;; [unrolled: 1-line block ×3, first 2 shown]
	s_mov_b64 s[44:45], 0
.LBB2_5170:                             ;   in Loop: Header=BB2_4992 Depth=3
	s_and_b64 vcc, exec, s[44:45]
	s_cbranch_vccz .LBB2_5184
; %bb.5171:                             ;   in Loop: Header=BB2_4992 Depth=3
	v_mov_b32_e32 v24, 0
	s_and_saveexec_b64 s[44:45], s[42:43]
	s_cbranch_execz .LBB2_5177
; %bb.5172:                             ;   in Loop: Header=BB2_4992 Depth=3
	v_cmp_ne_u16_sdwa s[46:47], v9, s59 src0_sel:BYTE_0 src1_sel:DWORD
	v_bfrev_b32_e32 v24, 1
	s_and_saveexec_b64 s[42:43], s[46:47]
	s_cbranch_execz .LBB2_5176
; %bb.5173:                             ;   in Loop: Header=BB2_4992 Depth=3
	v_and_b32_e32 v16, 0x7f, v9
	v_cmp_ne_u32_e32 vcc, s97, v16
	v_mov_b32_e32 v24, 0x7f800001
	s_and_saveexec_b64 s[46:47], vcc
	s_cbranch_execz .LBB2_5175
; %bb.5174:                             ;   in Loop: Header=BB2_4992 Depth=3
	v_and_b32_e32 v3, 7, v9
	v_ffbh_u32_e32 v3, v3
	v_min_u32_e32 v3, 32, v3
	v_lshrrev_b32_e32 v4, 3, v16
	v_cmp_gt_u32_e32 vcc, 8, v16
	v_subrev_u32_e32 v6, 28, v3
	v_sub_u32_e32 v3, 29, v3
	v_cndmask_b32_e32 v3, v4, v3, vcc
	v_cndmask_b32_e32 v4, 0, v6, vcc
	v_lshlrev_b64 v[24:25], v4, v[57:58]
	v_lshlrev_b32_e32 v6, 24, v57
	v_lshlrev_b32_e32 v4, 20, v24
	v_and_b32_e32 v4, 0x700000, v4
	v_and_b32_e32 v6, 0x80000000, v6
	v_lshl_add_u32 v3, v3, 23, v48
	v_or3_b32 v24, v6, v3, v4
.LBB2_5175:                             ;   in Loop: Header=BB2_4992 Depth=3
	s_or_b64 exec, exec, s[46:47]
.LBB2_5176:                             ;   in Loop: Header=BB2_4992 Depth=3
	s_or_b64 exec, exec, s[42:43]
.LBB2_5177:                             ;   in Loop: Header=BB2_4992 Depth=3
	s_or_b64 exec, exec, s[44:45]
	v_cmp_gt_i16_sdwa s[44:45], v13, s97 src0_sel:BYTE_0 src1_sel:DWORD
	s_mov_b64 s[42:43], 0
	s_and_saveexec_b64 s[46:47], s[44:45]
	s_xor_b64 s[44:45], exec, s[46:47]
	s_cbranch_execz .LBB2_5662
; %bb.5178:                             ;   in Loop: Header=BB2_4992 Depth=3
	v_cmp_eq_u16_sdwa vcc, v13, s59 src0_sel:BYTE_0 src1_sel:DWORD
	s_mov_b64 s[42:43], -1
	s_and_saveexec_b64 s[46:47], vcc
; %bb.5179:                             ;   in Loop: Header=BB2_4992 Depth=3
	s_xor_b64 s[42:43], exec, -1
; %bb.5180:                             ;   in Loop: Header=BB2_4992 Depth=3
	s_or_b64 exec, exec, s[46:47]
	s_and_b64 s[42:43], s[42:43], exec
	s_or_saveexec_b64 s[44:45], s[44:45]
	v_bfrev_b32_e32 v16, 1
	s_xor_b64 exec, exec, s[44:45]
	s_cbranch_execnz .LBB2_5663
.LBB2_5181:                             ;   in Loop: Header=BB2_4992 Depth=3
	s_or_b64 exec, exec, s[44:45]
	s_and_saveexec_b64 s[44:45], s[42:43]
.LBB2_5182:                             ;   in Loop: Header=BB2_4992 Depth=3
	v_cndmask_b32_e64 v16, v1, v49, s[40:41]
.LBB2_5183:                             ;   in Loop: Header=BB2_4992 Depth=3
	s_or_b64 exec, exec, s[44:45]
	v_max_f32_e32 v1, v16, v16
	v_max_f32_e32 v3, v24, v24
	v_min_f32_e32 v24, v3, v1
.LBB2_5184:                             ;   in Loop: Header=BB2_4992 Depth=3
	v_and_b32_e32 v30, 0x7f800000, v24
	v_mov_b32_e32 v31, v35
	v_cmp_ne_u64_e32 vcc, s[90:91], v[30:31]
                                        ; implicit-def: $vgpr39
	s_and_saveexec_b64 s[40:41], vcc
	s_xor_b64 s[42:43], exec, s[40:41]
	s_cbranch_execz .LBB2_5198
; %bb.5185:                             ;   in Loop: Header=BB2_4992 Depth=3
	v_and_b32_e32 v30, 0x7fffffff, v24
	v_mov_b32_e32 v31, v35
	v_cmp_gt_u64_e32 vcc, s[92:93], v[30:31]
	v_and_b32_sdwa v1, v24, s59 dst_sel:DWORD dst_unused:UNUSED_PAD src0_sel:BYTE_3 src1_sel:DWORD
                                        ; implicit-def: $vgpr39
	s_and_saveexec_b64 s[40:41], vcc
	s_xor_b64 s[44:45], exec, s[40:41]
	s_cbranch_execz .LBB2_5195
; %bb.5186:                             ;   in Loop: Header=BB2_4992 Depth=3
	v_mov_b32_e32 v39, 0
	v_cmp_ne_u32_e32 vcc, 0, v24
	s_and_saveexec_b64 s[46:47], vcc
	s_cbranch_execz .LBB2_5194
; %bb.5187:                             ;   in Loop: Header=BB2_4992 Depth=3
	v_and_b32_e32 v3, 0x7fffff, v24
	v_bfe_u32 v24, v24, 23, 8
	v_cmp_gt_u32_e64 s[40:41], s56, v24
	v_sub_u32_e32 v4, 0x79, v24
	v_cmp_eq_u32_e32 vcc, 0, v24
	v_cndmask_b32_e64 v4, 0, v4, s[40:41]
	v_mov_b32_e32 v7, 0x78
	v_or_b32_e32 v6, 0x800000, v3
	v_cndmask_b32_e32 v25, v4, v7, vcc
	v_cndmask_b32_e32 v30, v6, v3, vcc
	v_add_u32_e32 v3, 20, v25
	v_lshlrev_b64 v[58:59], v3, -1
	v_add_u32_e32 v3, 19, v25
	v_lshlrev_b64 v[60:61], v3, 1
	v_mov_b32_e32 v31, v35
	v_bfi_b32 v59, v59, 0, 0
	v_bfi_b32 v58, v58, 0, v30
	v_cmp_eq_u64_e64 s[40:41], v[58:59], v[60:61]
	v_lshrrev_b64 v[58:59], v25, v[30:31]
	v_mov_b32_e32 v60, v59
	v_mov_b32_e32 v59, v58
	s_and_saveexec_b64 s[54:55], s[40:41]
; %bb.5188:                             ;   in Loop: Header=BB2_4992 Depth=3
	v_bfe_u32 v3, v58, 20, 1
	v_add_co_u32_e64 v3, s[40:41], v58, v3
	v_add_co_u32_e64 v59, s[40:41], -1, v3
; %bb.5189:                             ;   in Loop: Header=BB2_4992 Depth=3
	s_or_b64 exec, exec, s[54:55]
	v_add_u32_e32 v3, 0xffffff81, v24
	v_cndmask_b32_e32 v3, v3, v52, vcc
	v_lshrrev_b32_e32 v4, 23, v58
	v_add3_u32 v25, v25, v3, v4
	v_add_u32_e32 v16, 6, v25
	v_and_b32_e32 v3, 0xfffff, v59
	v_add_u32_e32 v58, v3, v58
	v_mov_b32_e32 v59, v35
	v_cmp_ne_u32_e32 vcc, 0, v16
                                        ; implicit-def: $vgpr24
	s_and_saveexec_b64 s[40:41], vcc
	s_xor_b64 s[40:41], exec, s[40:41]
; %bb.5190:                             ;   in Loop: Header=BB2_4992 Depth=3
	v_cmp_lt_u64_e32 vcc, s[94:95], v[58:59]
	v_add_u32_e32 v3, 7, v25
	v_cndmask_b32_e32 v24, v16, v3, vcc
	v_cndmask_b32_e64 v3, 0, 1, vcc
	v_lshrrev_b64 v[58:59], v3, v[58:59]
; %bb.5191:                             ;   in Loop: Header=BB2_4992 Depth=3
	s_andn2_saveexec_b64 s[40:41], s[40:41]
; %bb.5192:                             ;   in Loop: Header=BB2_4992 Depth=3
	v_bfe_u32 v24, v58, 23, 1
; %bb.5193:                             ;   in Loop: Header=BB2_4992 Depth=3
	s_or_b64 exec, exec, s[40:41]
	v_lshrrev_b64 v[30:31], 20, v[58:59]
	v_cmp_gt_i32_e32 vcc, 16, v24
	v_cndmask_b32_e32 v31, 0, v31, vcc
	v_cndmask_b32_e32 v30, 7, v30, vcc
	v_min_i32_e32 v3, 15, v24
	v_cmp_eq_u64_e64 s[40:41], 0, v[30:31]
	v_lshlrev_b32_e32 v3, 3, v3
	v_cmp_eq_u32_e32 vcc, 0, v24
	v_and_b32_e32 v3, 0xf8, v3
	v_and_or_b32 v3, v30, 7, v3
	s_and_b64 s[40:41], vcc, s[40:41]
	v_cndmask_b32_e64 v3, v3, 0, s[40:41]
	v_or_b32_e32 v39, v3, v1
.LBB2_5194:                             ;   in Loop: Header=BB2_4992 Depth=3
	s_or_b64 exec, exec, s[46:47]
                                        ; implicit-def: $vgpr1
.LBB2_5195:                             ;   in Loop: Header=BB2_4992 Depth=3
	s_andn2_saveexec_b64 s[40:41], s[44:45]
; %bb.5196:                             ;   in Loop: Header=BB2_4992 Depth=3
	v_or_b32_e32 v39, 0x7e, v1
; %bb.5197:                             ;   in Loop: Header=BB2_4992 Depth=3
	s_or_b64 exec, exec, s[40:41]
                                        ; implicit-def: $vgpr24
.LBB2_5198:                             ;   in Loop: Header=BB2_4992 Depth=3
	s_andn2_saveexec_b64 s[40:41], s[42:43]
; %bb.5199:                             ;   in Loop: Header=BB2_4992 Depth=3
	v_or_b32_sdwa v39, v24, s97 dst_sel:DWORD dst_unused:UNUSED_PAD src0_sel:BYTE_3 src1_sel:DWORD
; %bb.5200:                             ;   in Loop: Header=BB2_4992 Depth=3
	s_or_b64 exec, exec, s[40:41]
	v_lshrrev_b16_e32 v34, 8, v34
	v_and_b32_e32 v1, 7, v34
	v_and_b32_e32 v3, 0x7f, v34
	v_cmp_eq_u32_e64 s[40:41], s97, v3
	v_cmp_gt_u32_e32 vcc, 8, v3
	v_ffbh_u32_e32 v3, v1
	v_min_u32_e32 v3, 32, v3
	v_subrev_u32_e32 v6, 28, v3
	v_lshlrev_b64 v[24:25], v6, v[34:35]
	v_bfe_u32 v4, v34, 3, 4
	v_sub_u32_e32 v3, 29, v3
	v_and_b32_e32 v6, 7, v24
	v_cndmask_b32_e32 v3, v4, v3, vcc
	v_cndmask_b32_e32 v1, v1, v6, vcc
	v_lshlrev_b32_e32 v4, 24, v34
	v_lshrrev_b16_e32 v30, 8, v57
	v_lshlrev_b32_e32 v1, 20, v1
	v_and_b32_e32 v4, 0x80000000, v4
	v_lshl_add_u32 v3, v3, 23, v48
	v_or3_b32 v1, v4, v3, v1
	v_cmp_ne_u16_e64 s[42:43], 0, v30
	s_mov_b64 s[44:45], -1
	s_and_b64 vcc, exec, s[52:53]
                                        ; implicit-def: $vgpr24
	s_cbranch_vccz .LBB2_5214
; %bb.5201:                             ;   in Loop: Header=BB2_4992 Depth=3
	v_mov_b32_e32 v24, 0
	s_and_saveexec_b64 s[44:45], s[42:43]
	s_cbranch_execz .LBB2_5207
; %bb.5202:                             ;   in Loop: Header=BB2_4992 Depth=3
	v_cmp_ne_u16_e32 vcc, s59, v30
	v_bfrev_b32_e32 v24, 1
	s_and_saveexec_b64 s[46:47], vcc
	s_cbranch_execz .LBB2_5206
; %bb.5203:                             ;   in Loop: Header=BB2_4992 Depth=3
	v_and_b32_e32 v16, 0x7f, v30
	v_cmp_ne_u32_e32 vcc, s97, v16
	v_mov_b32_e32 v24, 0x7f800001
	s_and_saveexec_b64 s[54:55], vcc
	s_cbranch_execz .LBB2_5205
; %bb.5204:                             ;   in Loop: Header=BB2_4992 Depth=3
	v_and_b32_e32 v3, 7, v30
	v_ffbh_u32_e32 v6, v3
	v_min_u32_e32 v6, 32, v6
	v_subrev_u32_e32 v7, 28, v6
	v_lshlrev_b64 v[24:25], v7, v[30:31]
	v_lshrrev_b32_e32 v4, 3, v16
	v_cmp_gt_u32_e32 vcc, 8, v16
	v_sub_u32_e32 v6, 29, v6
	v_and_b32_e32 v7, 7, v24
	v_cndmask_b32_e32 v4, v4, v6, vcc
	v_cndmask_b32_e32 v3, v3, v7, vcc
	v_lshlrev_b32_e32 v6, 16, v57
	v_lshlrev_b32_e32 v3, 20, v3
	v_and_b32_e32 v6, 0x80000000, v6
	v_lshl_add_u32 v4, v4, 23, v48
	v_or3_b32 v24, v6, v4, v3
.LBB2_5205:                             ;   in Loop: Header=BB2_4992 Depth=3
	s_or_b64 exec, exec, s[54:55]
.LBB2_5206:                             ;   in Loop: Header=BB2_4992 Depth=3
	s_or_b64 exec, exec, s[46:47]
.LBB2_5207:                             ;   in Loop: Header=BB2_4992 Depth=3
	s_or_b64 exec, exec, s[44:45]
	v_cmp_lt_i16_e32 vcc, s97, v34
	s_mov_b64 s[44:45], 0
	s_and_saveexec_b64 s[46:47], vcc
	s_xor_b64 s[46:47], exec, s[46:47]
	s_cbranch_execz .LBB2_5664
; %bb.5208:                             ;   in Loop: Header=BB2_4992 Depth=3
	v_cmp_eq_u16_e32 vcc, s59, v34
	s_mov_b64 s[44:45], -1
	s_and_saveexec_b64 s[54:55], vcc
; %bb.5209:                             ;   in Loop: Header=BB2_4992 Depth=3
	s_xor_b64 s[44:45], exec, -1
; %bb.5210:                             ;   in Loop: Header=BB2_4992 Depth=3
	s_or_b64 exec, exec, s[54:55]
	s_and_b64 s[44:45], s[44:45], exec
	s_or_saveexec_b64 s[46:47], s[46:47]
	v_bfrev_b32_e32 v16, 1
	s_xor_b64 exec, exec, s[46:47]
	s_cbranch_execnz .LBB2_5665
.LBB2_5211:                             ;   in Loop: Header=BB2_4992 Depth=3
	s_or_b64 exec, exec, s[46:47]
	s_and_saveexec_b64 s[46:47], s[44:45]
.LBB2_5212:                             ;   in Loop: Header=BB2_4992 Depth=3
	v_cndmask_b32_e64 v16, v1, v49, s[40:41]
.LBB2_5213:                             ;   in Loop: Header=BB2_4992 Depth=3
	s_or_b64 exec, exec, s[46:47]
	v_max_f32_e32 v3, v16, v16
	v_max_f32_e32 v4, v24, v24
	;; [unrolled: 1-line block ×3, first 2 shown]
	s_mov_b64 s[44:45], 0
.LBB2_5214:                             ;   in Loop: Header=BB2_4992 Depth=3
	s_and_b64 vcc, exec, s[44:45]
	s_cbranch_vccz .LBB2_5228
; %bb.5215:                             ;   in Loop: Header=BB2_4992 Depth=3
	v_mov_b32_e32 v24, 0
	s_and_saveexec_b64 s[44:45], s[42:43]
	s_cbranch_execz .LBB2_5221
; %bb.5216:                             ;   in Loop: Header=BB2_4992 Depth=3
	v_cmp_ne_u16_e32 vcc, s59, v30
	v_bfrev_b32_e32 v24, 1
	s_and_saveexec_b64 s[42:43], vcc
	s_cbranch_execz .LBB2_5220
; %bb.5217:                             ;   in Loop: Header=BB2_4992 Depth=3
	v_and_b32_e32 v16, 0x7f, v30
	v_cmp_ne_u32_e32 vcc, s97, v16
	v_mov_b32_e32 v24, 0x7f800001
	s_and_saveexec_b64 s[46:47], vcc
	s_cbranch_execz .LBB2_5219
; %bb.5218:                             ;   in Loop: Header=BB2_4992 Depth=3
	v_and_b32_e32 v3, 7, v30
	v_ffbh_u32_e32 v6, v3
	v_min_u32_e32 v6, 32, v6
	v_subrev_u32_e32 v7, 28, v6
	v_lshlrev_b64 v[24:25], v7, v[30:31]
	v_lshrrev_b32_e32 v4, 3, v16
	v_cmp_gt_u32_e32 vcc, 8, v16
	v_sub_u32_e32 v6, 29, v6
	v_and_b32_e32 v7, 7, v24
	v_cndmask_b32_e32 v4, v4, v6, vcc
	v_cndmask_b32_e32 v3, v3, v7, vcc
	v_lshlrev_b32_e32 v6, 16, v57
	v_lshlrev_b32_e32 v3, 20, v3
	v_and_b32_e32 v6, 0x80000000, v6
	v_lshl_add_u32 v4, v4, 23, v48
	v_or3_b32 v24, v6, v4, v3
.LBB2_5219:                             ;   in Loop: Header=BB2_4992 Depth=3
	s_or_b64 exec, exec, s[46:47]
.LBB2_5220:                             ;   in Loop: Header=BB2_4992 Depth=3
	s_or_b64 exec, exec, s[42:43]
.LBB2_5221:                             ;   in Loop: Header=BB2_4992 Depth=3
	s_or_b64 exec, exec, s[44:45]
	v_cmp_lt_i16_e32 vcc, s97, v34
	s_mov_b64 s[42:43], 0
	s_and_saveexec_b64 s[44:45], vcc
	s_xor_b64 s[44:45], exec, s[44:45]
	s_cbranch_execz .LBB2_5666
; %bb.5222:                             ;   in Loop: Header=BB2_4992 Depth=3
	v_cmp_eq_u16_e32 vcc, s59, v34
	s_mov_b64 s[42:43], -1
	s_and_saveexec_b64 s[46:47], vcc
; %bb.5223:                             ;   in Loop: Header=BB2_4992 Depth=3
	s_xor_b64 s[42:43], exec, -1
; %bb.5224:                             ;   in Loop: Header=BB2_4992 Depth=3
	s_or_b64 exec, exec, s[46:47]
	s_and_b64 s[42:43], s[42:43], exec
	s_or_saveexec_b64 s[44:45], s[44:45]
	v_bfrev_b32_e32 v16, 1
	s_xor_b64 exec, exec, s[44:45]
	s_cbranch_execnz .LBB2_5667
.LBB2_5225:                             ;   in Loop: Header=BB2_4992 Depth=3
	s_or_b64 exec, exec, s[44:45]
	s_and_saveexec_b64 s[44:45], s[42:43]
.LBB2_5226:                             ;   in Loop: Header=BB2_4992 Depth=3
	v_cndmask_b32_e64 v16, v1, v49, s[40:41]
.LBB2_5227:                             ;   in Loop: Header=BB2_4992 Depth=3
	s_or_b64 exec, exec, s[44:45]
	v_max_f32_e32 v1, v16, v16
	v_max_f32_e32 v3, v24, v24
	v_min_f32_e32 v24, v3, v1
.LBB2_5228:                             ;   in Loop: Header=BB2_4992 Depth=3
	v_and_b32_e32 v34, 0x7f800000, v24
	v_cmp_ne_u64_e32 vcc, s[90:91], v[34:35]
                                        ; implicit-def: $vgpr41
	s_and_saveexec_b64 s[40:41], vcc
	s_xor_b64 s[42:43], exec, s[40:41]
	s_cbranch_execz .LBB2_5242
; %bb.5229:                             ;   in Loop: Header=BB2_4992 Depth=3
	v_and_b32_e32 v34, 0x7fffffff, v24
	v_cmp_gt_u64_e32 vcc, s[92:93], v[34:35]
	v_and_b32_sdwa v1, v24, s59 dst_sel:DWORD dst_unused:UNUSED_PAD src0_sel:BYTE_3 src1_sel:DWORD
                                        ; implicit-def: $vgpr41
	s_and_saveexec_b64 s[40:41], vcc
	s_xor_b64 s[44:45], exec, s[40:41]
	s_cbranch_execz .LBB2_5239
; %bb.5230:                             ;   in Loop: Header=BB2_4992 Depth=3
	v_mov_b32_e32 v41, 0
	v_cmp_ne_u32_e32 vcc, 0, v24
	s_and_saveexec_b64 s[46:47], vcc
	s_cbranch_execz .LBB2_5238
; %bb.5231:                             ;   in Loop: Header=BB2_4992 Depth=3
	v_and_b32_e32 v3, 0x7fffff, v24
	v_bfe_u32 v24, v24, 23, 8
	v_cmp_gt_u32_e64 s[40:41], s56, v24
	v_sub_u32_e32 v4, 0x79, v24
	v_cmp_eq_u32_e32 vcc, 0, v24
	v_cndmask_b32_e64 v4, 0, v4, s[40:41]
	v_mov_b32_e32 v7, 0x78
	v_or_b32_e32 v6, 0x800000, v3
	v_cndmask_b32_e32 v25, v4, v7, vcc
	v_cndmask_b32_e32 v34, v6, v3, vcc
	v_add_u32_e32 v3, 20, v25
	v_lshlrev_b64 v[30:31], v3, -1
	v_add_u32_e32 v3, 19, v25
	v_lshlrev_b64 v[57:58], v3, 1
	v_bfi_b32 v31, v31, 0, 0
	v_bfi_b32 v30, v30, 0, v34
	v_cmp_eq_u64_e64 s[40:41], v[30:31], v[57:58]
	v_lshrrev_b64 v[57:58], v25, v[34:35]
	v_mov_b32_e32 v59, v58
	v_mov_b32_e32 v58, v57
	s_and_saveexec_b64 s[54:55], s[40:41]
; %bb.5232:                             ;   in Loop: Header=BB2_4992 Depth=3
	v_bfe_u32 v3, v57, 20, 1
	v_add_co_u32_e64 v3, s[40:41], v57, v3
	v_add_co_u32_e64 v58, s[40:41], -1, v3
; %bb.5233:                             ;   in Loop: Header=BB2_4992 Depth=3
	s_or_b64 exec, exec, s[54:55]
	v_add_u32_e32 v3, 0xffffff81, v24
	v_cndmask_b32_e32 v3, v3, v52, vcc
	v_lshrrev_b32_e32 v4, 23, v57
	v_add3_u32 v25, v25, v3, v4
	v_add_u32_e32 v16, 6, v25
	v_and_b32_e32 v3, 0xfffff, v58
	v_add_u32_e32 v34, v3, v57
	v_cmp_ne_u32_e32 vcc, 0, v16
                                        ; implicit-def: $vgpr57_vgpr58
                                        ; implicit-def: $vgpr24
	s_and_saveexec_b64 s[40:41], vcc
	s_xor_b64 s[40:41], exec, s[40:41]
; %bb.5234:                             ;   in Loop: Header=BB2_4992 Depth=3
	v_cmp_lt_u64_e32 vcc, s[94:95], v[34:35]
	v_add_u32_e32 v3, 7, v25
	v_cndmask_b32_e32 v24, v16, v3, vcc
	v_cndmask_b32_e64 v3, 0, 1, vcc
	v_lshrrev_b64 v[57:58], v3, v[34:35]
; %bb.5235:                             ;   in Loop: Header=BB2_4992 Depth=3
	s_andn2_saveexec_b64 s[40:41], s[40:41]
; %bb.5236:                             ;   in Loop: Header=BB2_4992 Depth=3
	v_mov_b32_e32 v58, v35
	v_bfe_u32 v24, v34, 23, 1
	v_mov_b32_e32 v57, v34
; %bb.5237:                             ;   in Loop: Header=BB2_4992 Depth=3
	s_or_b64 exec, exec, s[40:41]
	v_lshrrev_b64 v[30:31], 20, v[57:58]
	v_cmp_gt_i32_e32 vcc, 16, v24
	v_cndmask_b32_e32 v31, 0, v31, vcc
	v_cndmask_b32_e32 v30, 7, v30, vcc
	v_min_i32_e32 v3, 15, v24
	v_cmp_eq_u64_e64 s[40:41], 0, v[30:31]
	v_lshlrev_b32_e32 v3, 3, v3
	v_cmp_eq_u32_e32 vcc, 0, v24
	v_and_b32_e32 v3, 0xf8, v3
	v_and_or_b32 v3, v30, 7, v3
	s_and_b64 s[40:41], vcc, s[40:41]
	v_cndmask_b32_e64 v3, v3, 0, s[40:41]
	v_or_b32_e32 v41, v3, v1
.LBB2_5238:                             ;   in Loop: Header=BB2_4992 Depth=3
	s_or_b64 exec, exec, s[46:47]
                                        ; implicit-def: $vgpr1
.LBB2_5239:                             ;   in Loop: Header=BB2_4992 Depth=3
	s_andn2_saveexec_b64 s[40:41], s[44:45]
; %bb.5240:                             ;   in Loop: Header=BB2_4992 Depth=3
	v_or_b32_e32 v41, 0x7e, v1
; %bb.5241:                             ;   in Loop: Header=BB2_4992 Depth=3
	s_or_b64 exec, exec, s[40:41]
                                        ; implicit-def: $vgpr24
.LBB2_5242:                             ;   in Loop: Header=BB2_4992 Depth=3
	s_andn2_saveexec_b64 s[40:41], s[42:43]
; %bb.5243:                             ;   in Loop: Header=BB2_4992 Depth=3
	v_or_b32_sdwa v41, v24, s97 dst_sel:DWORD dst_unused:UNUSED_PAD src0_sel:BYTE_3 src1_sel:DWORD
; %bb.5244:                             ;   in Loop: Header=BB2_4992 Depth=3
	s_or_b64 exec, exec, s[40:41]
	v_bfe_u32 v1, v13, 16, 3
	v_bfe_u32 v3, v13, 16, 7
	v_cmp_eq_u32_e64 s[40:41], s97, v3
	v_cmp_gt_u32_e32 vcc, 8, v3
	v_ffbh_u32_e32 v3, v1
	v_min_u32_e32 v3, 32, v3
	v_lshrrev_b32_e32 v30, 16, v13
	v_subrev_u32_e32 v6, 28, v3
	v_lshlrev_b64 v[24:25], v6, v[30:31]
	v_bfe_u32 v4, v30, 3, 4
	v_sub_u32_e32 v3, 29, v3
	v_and_b32_e32 v6, 7, v24
	v_cndmask_b32_e32 v3, v4, v3, vcc
	v_cndmask_b32_e32 v1, v1, v6, vcc
	v_lshlrev_b32_e32 v4, 8, v13
	v_lshlrev_b32_e32 v1, 20, v1
	v_and_b32_e32 v4, 0x80000000, v4
	v_lshl_add_u32 v3, v3, 23, v48
	v_lshrrev_b32_e32 v34, 16, v9
	v_or3_b32 v1, v4, v3, v1
	v_cmp_ne_u16_sdwa s[42:43], v34, v35 src0_sel:BYTE_0 src1_sel:DWORD
	s_mov_b64 s[44:45], -1
	s_and_b64 vcc, exec, s[52:53]
                                        ; implicit-def: $vgpr24
	s_cbranch_vccz .LBB2_5258
; %bb.5245:                             ;   in Loop: Header=BB2_4992 Depth=3
	v_mov_b32_e32 v24, 0
	s_and_saveexec_b64 s[44:45], s[42:43]
	s_cbranch_execz .LBB2_5251
; %bb.5246:                             ;   in Loop: Header=BB2_4992 Depth=3
	v_cmp_ne_u16_sdwa vcc, v34, s59 src0_sel:BYTE_0 src1_sel:DWORD
	v_bfrev_b32_e32 v24, 1
	s_and_saveexec_b64 s[46:47], vcc
	s_cbranch_execz .LBB2_5250
; %bb.5247:                             ;   in Loop: Header=BB2_4992 Depth=3
	v_bfe_u32 v16, v9, 16, 7
	v_cmp_ne_u32_e32 vcc, s97, v16
	v_mov_b32_e32 v24, 0x7f800001
	s_and_saveexec_b64 s[54:55], vcc
	s_cbranch_execz .LBB2_5249
; %bb.5248:                             ;   in Loop: Header=BB2_4992 Depth=3
	v_and_b32_e32 v3, 7, v34
	v_ffbh_u32_e32 v6, v3
	v_min_u32_e32 v6, 32, v6
	v_subrev_u32_e32 v7, 28, v6
	v_lshlrev_b64 v[24:25], v7, v[34:35]
	v_lshrrev_b32_e32 v4, 3, v16
	v_cmp_gt_u32_e32 vcc, 8, v16
	v_sub_u32_e32 v6, 29, v6
	v_and_b32_e32 v7, 7, v24
	v_cndmask_b32_e32 v4, v4, v6, vcc
	v_cndmask_b32_e32 v3, v3, v7, vcc
	v_lshlrev_b32_e32 v6, 24, v34
	v_lshlrev_b32_e32 v3, 20, v3
	v_and_b32_e32 v6, 0x80000000, v6
	v_lshl_add_u32 v4, v4, 23, v48
	v_or3_b32 v24, v6, v4, v3
.LBB2_5249:                             ;   in Loop: Header=BB2_4992 Depth=3
	s_or_b64 exec, exec, s[54:55]
.LBB2_5250:                             ;   in Loop: Header=BB2_4992 Depth=3
	s_or_b64 exec, exec, s[46:47]
.LBB2_5251:                             ;   in Loop: Header=BB2_4992 Depth=3
	s_or_b64 exec, exec, s[44:45]
	v_cmp_gt_i16_sdwa s[46:47], v30, s97 src0_sel:BYTE_0 src1_sel:DWORD
	s_mov_b64 s[44:45], 0
	s_and_saveexec_b64 vcc, s[46:47]
	s_xor_b64 s[46:47], exec, vcc
	s_cbranch_execz .LBB2_5668
; %bb.5252:                             ;   in Loop: Header=BB2_4992 Depth=3
	v_cmp_eq_u16_sdwa s[54:55], v30, s59 src0_sel:BYTE_0 src1_sel:DWORD
	s_mov_b64 s[44:45], -1
	s_and_saveexec_b64 vcc, s[54:55]
; %bb.5253:                             ;   in Loop: Header=BB2_4992 Depth=3
	s_xor_b64 s[44:45], exec, -1
; %bb.5254:                             ;   in Loop: Header=BB2_4992 Depth=3
	s_or_b64 exec, exec, vcc
	s_and_b64 s[44:45], s[44:45], exec
	s_or_saveexec_b64 s[46:47], s[46:47]
	v_bfrev_b32_e32 v16, 1
	s_xor_b64 exec, exec, s[46:47]
	s_cbranch_execnz .LBB2_5669
.LBB2_5255:                             ;   in Loop: Header=BB2_4992 Depth=3
	s_or_b64 exec, exec, s[46:47]
	s_and_saveexec_b64 s[46:47], s[44:45]
.LBB2_5256:                             ;   in Loop: Header=BB2_4992 Depth=3
	v_cndmask_b32_e64 v16, v1, v49, s[40:41]
.LBB2_5257:                             ;   in Loop: Header=BB2_4992 Depth=3
	s_or_b64 exec, exec, s[46:47]
	v_max_f32_e32 v3, v16, v16
	v_max_f32_e32 v4, v24, v24
	;; [unrolled: 1-line block ×3, first 2 shown]
	s_mov_b64 s[44:45], 0
.LBB2_5258:                             ;   in Loop: Header=BB2_4992 Depth=3
	s_and_b64 vcc, exec, s[44:45]
	s_cbranch_vccz .LBB2_5272
; %bb.5259:                             ;   in Loop: Header=BB2_4992 Depth=3
	v_mov_b32_e32 v24, 0
	s_and_saveexec_b64 s[44:45], s[42:43]
	s_cbranch_execz .LBB2_5265
; %bb.5260:                             ;   in Loop: Header=BB2_4992 Depth=3
	v_cmp_ne_u16_sdwa s[46:47], v34, s59 src0_sel:BYTE_0 src1_sel:DWORD
	v_bfrev_b32_e32 v24, 1
	s_and_saveexec_b64 s[42:43], s[46:47]
	s_cbranch_execz .LBB2_5264
; %bb.5261:                             ;   in Loop: Header=BB2_4992 Depth=3
	v_bfe_u32 v16, v9, 16, 7
	v_cmp_ne_u32_e32 vcc, s97, v16
	v_mov_b32_e32 v24, 0x7f800001
	s_and_saveexec_b64 s[46:47], vcc
	s_cbranch_execz .LBB2_5263
; %bb.5262:                             ;   in Loop: Header=BB2_4992 Depth=3
	v_and_b32_e32 v3, 7, v34
	v_ffbh_u32_e32 v6, v3
	v_min_u32_e32 v6, 32, v6
	v_subrev_u32_e32 v7, 28, v6
	v_lshlrev_b64 v[24:25], v7, v[34:35]
	v_lshrrev_b32_e32 v4, 3, v16
	v_cmp_gt_u32_e32 vcc, 8, v16
	v_sub_u32_e32 v6, 29, v6
	v_and_b32_e32 v7, 7, v24
	v_cndmask_b32_e32 v4, v4, v6, vcc
	v_cndmask_b32_e32 v3, v3, v7, vcc
	v_lshlrev_b32_e32 v6, 24, v34
	v_lshlrev_b32_e32 v3, 20, v3
	v_and_b32_e32 v6, 0x80000000, v6
	v_lshl_add_u32 v4, v4, 23, v48
	v_or3_b32 v24, v6, v4, v3
.LBB2_5263:                             ;   in Loop: Header=BB2_4992 Depth=3
	s_or_b64 exec, exec, s[46:47]
.LBB2_5264:                             ;   in Loop: Header=BB2_4992 Depth=3
	s_or_b64 exec, exec, s[42:43]
.LBB2_5265:                             ;   in Loop: Header=BB2_4992 Depth=3
	s_or_b64 exec, exec, s[44:45]
	v_cmp_gt_i16_sdwa s[44:45], v30, s97 src0_sel:BYTE_0 src1_sel:DWORD
	s_mov_b64 s[42:43], 0
	s_and_saveexec_b64 s[46:47], s[44:45]
	s_xor_b64 s[44:45], exec, s[46:47]
	s_cbranch_execz .LBB2_5670
; %bb.5266:                             ;   in Loop: Header=BB2_4992 Depth=3
	v_cmp_eq_u16_sdwa vcc, v30, s59 src0_sel:BYTE_0 src1_sel:DWORD
	s_mov_b64 s[42:43], -1
	s_and_saveexec_b64 s[46:47], vcc
; %bb.5267:                             ;   in Loop: Header=BB2_4992 Depth=3
	s_xor_b64 s[42:43], exec, -1
; %bb.5268:                             ;   in Loop: Header=BB2_4992 Depth=3
	s_or_b64 exec, exec, s[46:47]
	s_and_b64 s[42:43], s[42:43], exec
                                        ; implicit-def: $vgpr30
	s_or_saveexec_b64 s[44:45], s[44:45]
	v_bfrev_b32_e32 v16, 1
	s_xor_b64 exec, exec, s[44:45]
	s_cbranch_execnz .LBB2_5671
.LBB2_5269:                             ;   in Loop: Header=BB2_4992 Depth=3
	s_or_b64 exec, exec, s[44:45]
	s_and_saveexec_b64 s[44:45], s[42:43]
.LBB2_5270:                             ;   in Loop: Header=BB2_4992 Depth=3
	v_cndmask_b32_e64 v16, v1, v49, s[40:41]
.LBB2_5271:                             ;   in Loop: Header=BB2_4992 Depth=3
	s_or_b64 exec, exec, s[44:45]
	v_max_f32_e32 v1, v16, v16
	v_max_f32_e32 v3, v24, v24
	v_min_f32_e32 v24, v3, v1
.LBB2_5272:                             ;   in Loop: Header=BB2_4992 Depth=3
	v_and_b32_e32 v34, 0x7f800000, v24
	v_cmp_ne_u64_e32 vcc, s[90:91], v[34:35]
                                        ; implicit-def: $vgpr31
	s_and_saveexec_b64 s[40:41], vcc
	s_xor_b64 s[42:43], exec, s[40:41]
	s_cbranch_execz .LBB2_5286
; %bb.5273:                             ;   in Loop: Header=BB2_4992 Depth=3
	v_and_b32_e32 v34, 0x7fffffff, v24
	v_cmp_gt_u64_e32 vcc, s[92:93], v[34:35]
	v_and_b32_sdwa v1, v24, s59 dst_sel:DWORD dst_unused:UNUSED_PAD src0_sel:BYTE_3 src1_sel:DWORD
                                        ; implicit-def: $vgpr31
	s_and_saveexec_b64 s[40:41], vcc
	s_xor_b64 s[44:45], exec, s[40:41]
	s_cbranch_execz .LBB2_5283
; %bb.5274:                             ;   in Loop: Header=BB2_4992 Depth=3
	v_mov_b32_e32 v31, 0
	v_cmp_ne_u32_e32 vcc, 0, v24
	s_and_saveexec_b64 s[46:47], vcc
	s_cbranch_execz .LBB2_5282
; %bb.5275:                             ;   in Loop: Header=BB2_4992 Depth=3
	v_and_b32_e32 v3, 0x7fffff, v24
	v_bfe_u32 v24, v24, 23, 8
	v_cmp_gt_u32_e64 s[40:41], s56, v24
	v_sub_u32_e32 v4, 0x79, v24
	v_cmp_eq_u32_e32 vcc, 0, v24
	v_cndmask_b32_e64 v4, 0, v4, s[40:41]
	v_mov_b32_e32 v7, 0x78
	v_or_b32_e32 v6, 0x800000, v3
	v_cndmask_b32_e32 v25, v4, v7, vcc
	v_cndmask_b32_e32 v34, v6, v3, vcc
	v_add_u32_e32 v3, 20, v25
	v_lshlrev_b64 v[30:31], v3, -1
	v_add_u32_e32 v3, 19, v25
	v_lshlrev_b64 v[57:58], v3, 1
	v_bfi_b32 v31, v31, 0, 0
	v_bfi_b32 v30, v30, 0, v34
	v_cmp_eq_u64_e64 s[40:41], v[30:31], v[57:58]
	v_lshrrev_b64 v[57:58], v25, v[34:35]
	v_mov_b32_e32 v59, v58
	v_mov_b32_e32 v58, v57
	s_and_saveexec_b64 s[54:55], s[40:41]
; %bb.5276:                             ;   in Loop: Header=BB2_4992 Depth=3
	v_bfe_u32 v3, v57, 20, 1
	v_add_co_u32_e64 v3, s[40:41], v57, v3
	v_add_co_u32_e64 v58, s[40:41], -1, v3
; %bb.5277:                             ;   in Loop: Header=BB2_4992 Depth=3
	s_or_b64 exec, exec, s[54:55]
	v_add_u32_e32 v3, 0xffffff81, v24
	v_cndmask_b32_e32 v3, v3, v52, vcc
	v_lshrrev_b32_e32 v4, 23, v57
	v_add3_u32 v25, v25, v3, v4
	v_add_u32_e32 v16, 6, v25
	v_and_b32_e32 v3, 0xfffff, v58
	v_add_u32_e32 v34, v3, v57
	v_cmp_ne_u32_e32 vcc, 0, v16
                                        ; implicit-def: $vgpr57_vgpr58
                                        ; implicit-def: $vgpr24
	s_and_saveexec_b64 s[40:41], vcc
	s_xor_b64 s[40:41], exec, s[40:41]
; %bb.5278:                             ;   in Loop: Header=BB2_4992 Depth=3
	v_cmp_lt_u64_e32 vcc, s[94:95], v[34:35]
	v_add_u32_e32 v3, 7, v25
	v_cndmask_b32_e32 v24, v16, v3, vcc
	v_cndmask_b32_e64 v3, 0, 1, vcc
	v_lshrrev_b64 v[57:58], v3, v[34:35]
; %bb.5279:                             ;   in Loop: Header=BB2_4992 Depth=3
	s_andn2_saveexec_b64 s[40:41], s[40:41]
; %bb.5280:                             ;   in Loop: Header=BB2_4992 Depth=3
	v_mov_b32_e32 v58, v35
	v_bfe_u32 v24, v34, 23, 1
	v_mov_b32_e32 v57, v34
; %bb.5281:                             ;   in Loop: Header=BB2_4992 Depth=3
	s_or_b64 exec, exec, s[40:41]
	v_lshrrev_b64 v[30:31], 20, v[57:58]
	v_cmp_gt_i32_e32 vcc, 16, v24
	v_cndmask_b32_e32 v31, 0, v31, vcc
	v_cndmask_b32_e32 v30, 7, v30, vcc
	v_min_i32_e32 v3, 15, v24
	v_cmp_eq_u64_e64 s[40:41], 0, v[30:31]
	v_lshlrev_b32_e32 v3, 3, v3
	v_cmp_eq_u32_e32 vcc, 0, v24
	v_and_b32_e32 v3, 0xf8, v3
	v_and_or_b32 v3, v30, 7, v3
	s_and_b64 s[40:41], vcc, s[40:41]
	v_cndmask_b32_e64 v3, v3, 0, s[40:41]
	v_or_b32_e32 v31, v3, v1
.LBB2_5282:                             ;   in Loop: Header=BB2_4992 Depth=3
	s_or_b64 exec, exec, s[46:47]
                                        ; implicit-def: $vgpr1
.LBB2_5283:                             ;   in Loop: Header=BB2_4992 Depth=3
	s_andn2_saveexec_b64 s[40:41], s[44:45]
; %bb.5284:                             ;   in Loop: Header=BB2_4992 Depth=3
	v_or_b32_e32 v31, 0x7e, v1
; %bb.5285:                             ;   in Loop: Header=BB2_4992 Depth=3
	s_or_b64 exec, exec, s[40:41]
                                        ; implicit-def: $vgpr24
.LBB2_5286:                             ;   in Loop: Header=BB2_4992 Depth=3
	s_andn2_saveexec_b64 s[40:41], s[42:43]
; %bb.5287:                             ;   in Loop: Header=BB2_4992 Depth=3
	v_or_b32_sdwa v31, v24, s97 dst_sel:DWORD dst_unused:UNUSED_PAD src0_sel:BYTE_3 src1_sel:DWORD
; %bb.5288:                             ;   in Loop: Header=BB2_4992 Depth=3
	s_or_b64 exec, exec, s[40:41]
	v_bfe_u32 v3, v13, 24, 3
	v_bfe_u32 v4, v13, 24, 7
	v_cmp_eq_u32_e64 s[44:45], s97, v4
	v_cmp_gt_u32_e32 vcc, 8, v4
	v_ffbh_u32_e32 v4, v3
	v_min_u32_e32 v4, 32, v4
	v_lshrrev_b32_e32 v1, 24, v13
	v_subrev_u32_e32 v7, 28, v4
	v_lshlrev_b64 v[24:25], v7, v[1:2]
	v_bfe_u32 v6, v1, 3, 4
	v_cmp_eq_u32_e64 s[42:43], s59, v1
	v_sub_u32_e32 v1, 29, v4
	v_and_b32_e32 v4, 7, v24
	v_cndmask_b32_e32 v1, v6, v1, vcc
	v_cndmask_b32_e32 v3, v3, v4, vcc
	v_cmp_gt_u64_e64 s[40:41], s[60:61], v[12:13]
	v_lshlrev_b32_e32 v3, 20, v3
	v_and_b32_e32 v4, 0x80000000, v13
	v_lshl_add_u32 v1, v1, 23, v48
	v_cmp_lt_u64_e64 s[46:47], s[62:63], v[8:9]
	v_lshrrev_b32_e32 v30, 24, v9
	v_or3_b32 v1, v4, v1, v3
	s_mov_b64 s[54:55], -1
	s_and_b64 vcc, exec, s[52:53]
                                        ; implicit-def: $vgpr8
	s_cbranch_vccz .LBB2_5296
; %bb.5289:                             ;   in Loop: Header=BB2_4992 Depth=3
	v_mov_b32_e32 v8, 0
	s_and_saveexec_b64 s[54:55], s[46:47]
	s_cbranch_execz .LBB2_5295
; %bb.5290:                             ;   in Loop: Header=BB2_4992 Depth=3
	v_cmp_ne_u32_e32 vcc, s59, v30
	v_bfrev_b32_e32 v8, 1
	s_and_saveexec_b64 s[64:65], vcc
	s_cbranch_execz .LBB2_5294
; %bb.5291:                             ;   in Loop: Header=BB2_4992 Depth=3
	v_bfe_u32 v12, v9, 24, 7
	v_cmp_ne_u32_e32 vcc, s97, v12
	v_mov_b32_e32 v8, 0x7f800001
	s_and_saveexec_b64 s[66:67], vcc
	s_cbranch_execz .LBB2_5293
; %bb.5292:                             ;   in Loop: Header=BB2_4992 Depth=3
	v_and_b32_e32 v3, 7, v30
	v_ffbh_u32_e32 v6, v3
	v_min_u32_e32 v6, 32, v6
	v_subrev_u32_e32 v7, 28, v6
	v_lshrrev_b32_e32 v4, 3, v12
	v_cmp_gt_u32_e32 vcc, 8, v12
	v_lshlrev_b64 v[12:13], v7, v[30:31]
	v_sub_u32_e32 v6, 29, v6
	v_and_b32_e32 v7, 7, v12
	v_cndmask_b32_e32 v4, v4, v6, vcc
	v_cndmask_b32_e32 v3, v3, v7, vcc
	v_lshlrev_b32_e32 v6, 24, v30
	v_lshlrev_b32_e32 v3, 20, v3
	v_and_b32_e32 v6, 0x80000000, v6
	v_lshl_add_u32 v4, v4, 23, v48
	v_or3_b32 v8, v6, v4, v3
.LBB2_5293:                             ;   in Loop: Header=BB2_4992 Depth=3
	s_or_b64 exec, exec, s[66:67]
.LBB2_5294:                             ;   in Loop: Header=BB2_4992 Depth=3
	s_or_b64 exec, exec, s[64:65]
.LBB2_5295:                             ;   in Loop: Header=BB2_4992 Depth=3
	s_or_b64 exec, exec, s[54:55]
	v_cndmask_b32_e64 v3, v1, v49, s[44:45]
	v_cndmask_b32_e64 v3, v3, v0, s[42:43]
	;; [unrolled: 1-line block ×3, first 2 shown]
	v_max_f32_e32 v3, v3, v3
	v_max_f32_e32 v4, v8, v8
	v_max_f32_e32 v8, v4, v3
	s_mov_b64 s[54:55], 0
.LBB2_5296:                             ;   in Loop: Header=BB2_4992 Depth=3
	s_and_b64 vcc, exec, s[54:55]
	s_cbranch_vccz .LBB2_5304
; %bb.5297:                             ;   in Loop: Header=BB2_4992 Depth=3
	v_mov_b32_e32 v8, 0
	s_and_saveexec_b64 s[54:55], s[46:47]
	s_cbranch_execz .LBB2_5303
; %bb.5298:                             ;   in Loop: Header=BB2_4992 Depth=3
	v_cmp_ne_u32_e32 vcc, s59, v30
	v_bfrev_b32_e32 v8, 1
	s_and_saveexec_b64 s[46:47], vcc
	s_cbranch_execz .LBB2_5302
; %bb.5299:                             ;   in Loop: Header=BB2_4992 Depth=3
	v_bfe_u32 v9, v9, 24, 7
	v_cmp_ne_u32_e32 vcc, s97, v9
	v_mov_b32_e32 v8, 0x7f800001
	s_and_saveexec_b64 s[64:65], vcc
	s_cbranch_execz .LBB2_5301
; %bb.5300:                             ;   in Loop: Header=BB2_4992 Depth=3
	v_and_b32_e32 v3, 7, v30
	v_ffbh_u32_e32 v6, v3
	v_min_u32_e32 v6, 32, v6
	v_subrev_u32_e32 v7, 28, v6
	v_lshrrev_b32_e32 v4, 3, v9
	v_cmp_gt_u32_e32 vcc, 8, v9
	v_lshlrev_b64 v[8:9], v7, v[30:31]
	v_sub_u32_e32 v6, 29, v6
	v_and_b32_e32 v7, 7, v8
	v_cndmask_b32_e32 v4, v4, v6, vcc
	v_cndmask_b32_e32 v3, v3, v7, vcc
	v_lshlrev_b32_e32 v6, 24, v30
	v_lshlrev_b32_e32 v3, 20, v3
	v_and_b32_e32 v6, 0x80000000, v6
	v_lshl_add_u32 v4, v4, 23, v48
	v_or3_b32 v8, v6, v4, v3
.LBB2_5301:                             ;   in Loop: Header=BB2_4992 Depth=3
	s_or_b64 exec, exec, s[64:65]
.LBB2_5302:                             ;   in Loop: Header=BB2_4992 Depth=3
	s_or_b64 exec, exec, s[46:47]
.LBB2_5303:                             ;   in Loop: Header=BB2_4992 Depth=3
	s_or_b64 exec, exec, s[54:55]
	v_cndmask_b32_e64 v1, v1, v49, s[44:45]
	v_cndmask_b32_e64 v1, v1, v0, s[42:43]
	;; [unrolled: 1-line block ×3, first 2 shown]
	v_max_f32_e32 v1, v1, v1
	v_max_f32_e32 v3, v8, v8
	v_min_f32_e32 v8, v3, v1
.LBB2_5304:                             ;   in Loop: Header=BB2_4992 Depth=3
	v_and_b32_e32 v34, 0x7f800000, v8
	v_cmp_ne_u64_e32 vcc, s[90:91], v[34:35]
                                        ; implicit-def: $vgpr30
	s_and_saveexec_b64 s[40:41], vcc
	s_xor_b64 s[42:43], exec, s[40:41]
	s_cbranch_execz .LBB2_5318
; %bb.5305:                             ;   in Loop: Header=BB2_4992 Depth=3
	v_and_b32_e32 v34, 0x7fffffff, v8
	v_cmp_gt_u64_e32 vcc, s[92:93], v[34:35]
	v_and_b32_sdwa v1, v8, s59 dst_sel:DWORD dst_unused:UNUSED_PAD src0_sel:BYTE_3 src1_sel:DWORD
                                        ; implicit-def: $vgpr30
	s_and_saveexec_b64 s[40:41], vcc
	s_xor_b64 s[44:45], exec, s[40:41]
	s_cbranch_execz .LBB2_5315
; %bb.5306:                             ;   in Loop: Header=BB2_4992 Depth=3
	v_mov_b32_e32 v30, 0
	v_cmp_ne_u32_e32 vcc, 0, v8
	s_and_saveexec_b64 s[46:47], vcc
	s_cbranch_execz .LBB2_5314
; %bb.5307:                             ;   in Loop: Header=BB2_4992 Depth=3
	v_bfe_u32 v24, v8, 23, 8
	v_cmp_gt_u32_e64 s[40:41], s56, v24
	v_sub_u32_e32 v4, 0x79, v24
	v_and_b32_e32 v3, 0x7fffff, v8
	v_cmp_eq_u32_e32 vcc, 0, v24
	v_cndmask_b32_e64 v4, 0, v4, s[40:41]
	v_mov_b32_e32 v7, 0x78
	v_or_b32_e32 v6, 0x800000, v3
	v_cndmask_b32_e32 v25, v4, v7, vcc
	v_cndmask_b32_e32 v34, v6, v3, vcc
	v_add_u32_e32 v3, 20, v25
	v_lshlrev_b64 v[8:9], v3, -1
	v_add_u32_e32 v3, 19, v25
	v_lshlrev_b64 v[12:13], v3, 1
	v_bfi_b32 v9, v9, 0, 0
	v_bfi_b32 v8, v8, 0, v34
	v_cmp_eq_u64_e64 s[40:41], v[8:9], v[12:13]
	v_lshrrev_b64 v[8:9], v25, v[34:35]
	v_mov_b32_e32 v13, v9
	v_mov_b32_e32 v12, v8
	s_and_saveexec_b64 s[54:55], s[40:41]
; %bb.5308:                             ;   in Loop: Header=BB2_4992 Depth=3
	v_bfe_u32 v3, v8, 20, 1
	v_add_co_u32_e64 v3, s[40:41], v8, v3
	v_add_co_u32_e64 v12, s[40:41], -1, v3
; %bb.5309:                             ;   in Loop: Header=BB2_4992 Depth=3
	s_or_b64 exec, exec, s[54:55]
	v_add_u32_e32 v3, 0xffffff81, v24
	v_cndmask_b32_e32 v3, v3, v52, vcc
	v_lshrrev_b32_e32 v4, 23, v8
	v_add3_u32 v16, v25, v3, v4
	v_add_u32_e32 v13, 6, v16
	v_and_b32_e32 v3, 0xfffff, v12
	v_add_u32_e32 v34, v3, v8
	v_cmp_ne_u32_e32 vcc, 0, v13
                                        ; implicit-def: $vgpr8_vgpr9
                                        ; implicit-def: $vgpr12
	s_and_saveexec_b64 s[40:41], vcc
	s_xor_b64 s[40:41], exec, s[40:41]
; %bb.5310:                             ;   in Loop: Header=BB2_4992 Depth=3
	v_cmp_lt_u64_e32 vcc, s[94:95], v[34:35]
	v_add_u32_e32 v3, 7, v16
	v_cndmask_b32_e32 v12, v13, v3, vcc
	v_cndmask_b32_e64 v3, 0, 1, vcc
	v_lshrrev_b64 v[8:9], v3, v[34:35]
; %bb.5311:                             ;   in Loop: Header=BB2_4992 Depth=3
	s_andn2_saveexec_b64 s[40:41], s[40:41]
; %bb.5312:                             ;   in Loop: Header=BB2_4992 Depth=3
	v_mov_b32_e32 v8, v34
	v_bfe_u32 v12, v34, 23, 1
	v_mov_b32_e32 v9, v35
; %bb.5313:                             ;   in Loop: Header=BB2_4992 Depth=3
	s_or_b64 exec, exec, s[40:41]
	v_lshrrev_b64 v[8:9], 20, v[8:9]
	v_cmp_gt_i32_e32 vcc, 16, v12
	v_cndmask_b32_e32 v9, 0, v9, vcc
	v_cndmask_b32_e32 v8, 7, v8, vcc
	v_min_i32_e32 v3, 15, v12
	v_cmp_eq_u64_e64 s[40:41], 0, v[8:9]
	v_lshlrev_b32_e32 v3, 3, v3
	v_cmp_eq_u32_e32 vcc, 0, v12
	v_and_b32_e32 v3, 0xf8, v3
	v_and_or_b32 v3, v8, 7, v3
	s_and_b64 s[40:41], vcc, s[40:41]
	v_cndmask_b32_e64 v3, v3, 0, s[40:41]
	v_or_b32_e32 v30, v3, v1
.LBB2_5314:                             ;   in Loop: Header=BB2_4992 Depth=3
	s_or_b64 exec, exec, s[46:47]
                                        ; implicit-def: $vgpr1
.LBB2_5315:                             ;   in Loop: Header=BB2_4992 Depth=3
	s_andn2_saveexec_b64 s[40:41], s[44:45]
; %bb.5316:                             ;   in Loop: Header=BB2_4992 Depth=3
	v_or_b32_e32 v30, 0x7e, v1
; %bb.5317:                             ;   in Loop: Header=BB2_4992 Depth=3
	s_or_b64 exec, exec, s[40:41]
                                        ; implicit-def: $vgpr8
.LBB2_5318:                             ;   in Loop: Header=BB2_4992 Depth=3
	s_andn2_saveexec_b64 s[40:41], s[42:43]
; %bb.5319:                             ;   in Loop: Header=BB2_4992 Depth=3
	v_or_b32_sdwa v30, v8, s97 dst_sel:DWORD dst_unused:UNUSED_PAD src0_sel:BYTE_3 src1_sel:DWORD
; %bb.5320:                             ;   in Loop: Header=BB2_4992 Depth=3
	s_or_b64 exec, exec, s[40:41]
	v_and_b32_e32 v1, 7, v14
	v_ffbh_u32_e32 v1, v1
	v_and_b32_e32 v3, 0x7f, v14
	v_min_u32_e32 v1, 32, v1
	v_cmp_eq_u32_e64 s[40:41], s97, v3
	v_cmp_gt_u32_e32 vcc, 8, v3
	v_subrev_u32_e32 v3, 28, v1
	v_cndmask_b32_e32 v3, 0, v3, vcc
	v_lshlrev_b64 v[8:9], v3, v[14:15]
	v_bfe_u32 v4, v14, 3, 4
	v_sub_u32_e32 v1, 29, v1
	v_cndmask_b32_e32 v1, v4, v1, vcc
	v_lshlrev_b32_e32 v3, 20, v8
	v_lshlrev_b32_e32 v4, 24, v14
	v_and_b32_e32 v3, 0x700000, v3
	v_and_b32_e32 v4, 0x80000000, v4
	v_lshl_add_u32 v1, v1, 23, v48
	v_or3_b32 v1, v4, v1, v3
	v_cmp_ne_u16_sdwa s[42:43], v10, v35 src0_sel:BYTE_0 src1_sel:DWORD
	s_mov_b64 s[44:45], -1
	s_and_b64 vcc, exec, s[52:53]
                                        ; implicit-def: $vgpr8
	s_cbranch_vccz .LBB2_5334
; %bb.5321:                             ;   in Loop: Header=BB2_4992 Depth=3
	v_mov_b32_e32 v8, 0
	s_and_saveexec_b64 s[44:45], s[42:43]
	s_cbranch_execz .LBB2_5327
; %bb.5322:                             ;   in Loop: Header=BB2_4992 Depth=3
	v_cmp_ne_u16_sdwa vcc, v10, s59 src0_sel:BYTE_0 src1_sel:DWORD
	v_bfrev_b32_e32 v8, 1
	s_and_saveexec_b64 s[46:47], vcc
	s_cbranch_execz .LBB2_5326
; %bb.5323:                             ;   in Loop: Header=BB2_4992 Depth=3
	v_and_b32_e32 v9, 0x7f, v10
	v_cmp_ne_u32_e32 vcc, s97, v9
	v_mov_b32_e32 v8, 0x7f800001
	s_and_saveexec_b64 s[54:55], vcc
	s_cbranch_execz .LBB2_5325
; %bb.5324:                             ;   in Loop: Header=BB2_4992 Depth=3
	v_and_b32_e32 v3, 7, v10
	v_ffbh_u32_e32 v3, v3
	v_min_u32_e32 v3, 32, v3
	v_lshrrev_b32_e32 v4, 3, v9
	v_cmp_gt_u32_e32 vcc, 8, v9
	v_subrev_u32_e32 v6, 28, v3
	v_sub_u32_e32 v3, 29, v3
	v_cndmask_b32_e32 v3, v4, v3, vcc
	v_cndmask_b32_e32 v4, 0, v6, vcc
	v_lshlrev_b64 v[8:9], v4, v[10:11]
	v_lshlrev_b32_e32 v6, 24, v10
	v_lshlrev_b32_e32 v4, 20, v8
	v_and_b32_e32 v4, 0x700000, v4
	v_and_b32_e32 v6, 0x80000000, v6
	v_lshl_add_u32 v3, v3, 23, v48
	v_or3_b32 v8, v6, v3, v4
.LBB2_5325:                             ;   in Loop: Header=BB2_4992 Depth=3
	s_or_b64 exec, exec, s[54:55]
.LBB2_5326:                             ;   in Loop: Header=BB2_4992 Depth=3
	s_or_b64 exec, exec, s[46:47]
.LBB2_5327:                             ;   in Loop: Header=BB2_4992 Depth=3
	s_or_b64 exec, exec, s[44:45]
	v_cmp_gt_i16_sdwa s[46:47], v14, s97 src0_sel:BYTE_0 src1_sel:DWORD
	s_mov_b64 s[44:45], 0
	s_and_saveexec_b64 vcc, s[46:47]
	s_xor_b64 s[46:47], exec, vcc
	s_cbranch_execz .LBB2_5672
; %bb.5328:                             ;   in Loop: Header=BB2_4992 Depth=3
	v_cmp_eq_u16_sdwa s[54:55], v14, s59 src0_sel:BYTE_0 src1_sel:DWORD
	s_mov_b64 s[44:45], -1
	s_and_saveexec_b64 vcc, s[54:55]
; %bb.5329:                             ;   in Loop: Header=BB2_4992 Depth=3
	s_xor_b64 s[44:45], exec, -1
; %bb.5330:                             ;   in Loop: Header=BB2_4992 Depth=3
	s_or_b64 exec, exec, vcc
	s_and_b64 s[44:45], s[44:45], exec
	s_or_saveexec_b64 s[46:47], s[46:47]
	v_bfrev_b32_e32 v9, 1
	s_xor_b64 exec, exec, s[46:47]
	s_cbranch_execnz .LBB2_5673
.LBB2_5331:                             ;   in Loop: Header=BB2_4992 Depth=3
	s_or_b64 exec, exec, s[46:47]
	s_and_saveexec_b64 s[46:47], s[44:45]
.LBB2_5332:                             ;   in Loop: Header=BB2_4992 Depth=3
	v_cndmask_b32_e64 v9, v1, v49, s[40:41]
.LBB2_5333:                             ;   in Loop: Header=BB2_4992 Depth=3
	s_or_b64 exec, exec, s[46:47]
	v_max_f32_e32 v3, v9, v9
	v_max_f32_e32 v4, v8, v8
	v_max_f32_e32 v8, v4, v3
	s_mov_b64 s[44:45], 0
.LBB2_5334:                             ;   in Loop: Header=BB2_4992 Depth=3
	s_and_b64 vcc, exec, s[44:45]
	s_cbranch_vccz .LBB2_5348
; %bb.5335:                             ;   in Loop: Header=BB2_4992 Depth=3
	v_mov_b32_e32 v8, 0
	s_and_saveexec_b64 s[44:45], s[42:43]
	s_cbranch_execz .LBB2_5341
; %bb.5336:                             ;   in Loop: Header=BB2_4992 Depth=3
	v_cmp_ne_u16_sdwa s[46:47], v10, s59 src0_sel:BYTE_0 src1_sel:DWORD
	v_bfrev_b32_e32 v8, 1
	s_and_saveexec_b64 s[42:43], s[46:47]
	s_cbranch_execz .LBB2_5340
; %bb.5337:                             ;   in Loop: Header=BB2_4992 Depth=3
	v_and_b32_e32 v9, 0x7f, v10
	v_cmp_ne_u32_e32 vcc, s97, v9
	v_mov_b32_e32 v8, 0x7f800001
	s_and_saveexec_b64 s[46:47], vcc
	s_cbranch_execz .LBB2_5339
; %bb.5338:                             ;   in Loop: Header=BB2_4992 Depth=3
	v_and_b32_e32 v3, 7, v10
	v_ffbh_u32_e32 v3, v3
	v_min_u32_e32 v3, 32, v3
	v_lshrrev_b32_e32 v4, 3, v9
	v_cmp_gt_u32_e32 vcc, 8, v9
	v_subrev_u32_e32 v6, 28, v3
	v_sub_u32_e32 v3, 29, v3
	v_cndmask_b32_e32 v3, v4, v3, vcc
	v_cndmask_b32_e32 v4, 0, v6, vcc
	v_lshlrev_b64 v[8:9], v4, v[10:11]
	v_lshlrev_b32_e32 v6, 24, v10
	v_lshlrev_b32_e32 v4, 20, v8
	v_and_b32_e32 v4, 0x700000, v4
	v_and_b32_e32 v6, 0x80000000, v6
	v_lshl_add_u32 v3, v3, 23, v48
	v_or3_b32 v8, v6, v3, v4
.LBB2_5339:                             ;   in Loop: Header=BB2_4992 Depth=3
	s_or_b64 exec, exec, s[46:47]
.LBB2_5340:                             ;   in Loop: Header=BB2_4992 Depth=3
	s_or_b64 exec, exec, s[42:43]
.LBB2_5341:                             ;   in Loop: Header=BB2_4992 Depth=3
	s_or_b64 exec, exec, s[44:45]
	v_cmp_gt_i16_sdwa s[44:45], v14, s97 src0_sel:BYTE_0 src1_sel:DWORD
	s_mov_b64 s[42:43], 0
	s_and_saveexec_b64 s[46:47], s[44:45]
	s_xor_b64 s[44:45], exec, s[46:47]
	s_cbranch_execz .LBB2_5674
; %bb.5342:                             ;   in Loop: Header=BB2_4992 Depth=3
	v_cmp_eq_u16_sdwa vcc, v14, s59 src0_sel:BYTE_0 src1_sel:DWORD
	s_mov_b64 s[42:43], -1
	s_and_saveexec_b64 s[46:47], vcc
; %bb.5343:                             ;   in Loop: Header=BB2_4992 Depth=3
	s_xor_b64 s[42:43], exec, -1
; %bb.5344:                             ;   in Loop: Header=BB2_4992 Depth=3
	s_or_b64 exec, exec, s[46:47]
	s_and_b64 s[42:43], s[42:43], exec
	s_or_saveexec_b64 s[44:45], s[44:45]
	v_bfrev_b32_e32 v9, 1
	s_xor_b64 exec, exec, s[44:45]
	s_cbranch_execnz .LBB2_5675
.LBB2_5345:                             ;   in Loop: Header=BB2_4992 Depth=3
	s_or_b64 exec, exec, s[44:45]
	s_and_saveexec_b64 s[44:45], s[42:43]
.LBB2_5346:                             ;   in Loop: Header=BB2_4992 Depth=3
	v_cndmask_b32_e64 v9, v1, v49, s[40:41]
.LBB2_5347:                             ;   in Loop: Header=BB2_4992 Depth=3
	s_or_b64 exec, exec, s[44:45]
	v_max_f32_e32 v1, v9, v9
	v_max_f32_e32 v3, v8, v8
	v_min_f32_e32 v8, v3, v1
.LBB2_5348:                             ;   in Loop: Header=BB2_4992 Depth=3
	v_and_b32_e32 v34, 0x7f800000, v8
	v_cmp_ne_u64_e32 vcc, s[90:91], v[34:35]
                                        ; implicit-def: $vgpr59
	s_and_saveexec_b64 s[40:41], vcc
	s_xor_b64 s[42:43], exec, s[40:41]
	s_cbranch_execz .LBB2_5362
; %bb.5349:                             ;   in Loop: Header=BB2_4992 Depth=3
	v_and_b32_e32 v34, 0x7fffffff, v8
	v_cmp_gt_u64_e32 vcc, s[92:93], v[34:35]
	v_and_b32_sdwa v1, v8, s59 dst_sel:DWORD dst_unused:UNUSED_PAD src0_sel:BYTE_3 src1_sel:DWORD
                                        ; implicit-def: $vgpr59
	s_and_saveexec_b64 s[40:41], vcc
	s_xor_b64 s[44:45], exec, s[40:41]
	s_cbranch_execz .LBB2_5359
; %bb.5350:                             ;   in Loop: Header=BB2_4992 Depth=3
	v_mov_b32_e32 v59, 0
	v_cmp_ne_u32_e32 vcc, 0, v8
	s_and_saveexec_b64 s[46:47], vcc
	s_cbranch_execz .LBB2_5358
; %bb.5351:                             ;   in Loop: Header=BB2_4992 Depth=3
	v_bfe_u32 v24, v8, 23, 8
	v_cmp_gt_u32_e64 s[40:41], s56, v24
	v_sub_u32_e32 v4, 0x79, v24
	v_and_b32_e32 v3, 0x7fffff, v8
	v_cmp_eq_u32_e32 vcc, 0, v24
	v_cndmask_b32_e64 v4, 0, v4, s[40:41]
	v_mov_b32_e32 v7, 0x78
	v_or_b32_e32 v6, 0x800000, v3
	v_cndmask_b32_e32 v25, v4, v7, vcc
	v_cndmask_b32_e32 v34, v6, v3, vcc
	v_add_u32_e32 v3, 20, v25
	v_lshlrev_b64 v[8:9], v3, -1
	v_add_u32_e32 v3, 19, v25
	v_lshlrev_b64 v[12:13], v3, 1
	v_bfi_b32 v9, v9, 0, 0
	v_bfi_b32 v8, v8, 0, v34
	v_cmp_eq_u64_e64 s[40:41], v[8:9], v[12:13]
	v_lshrrev_b64 v[8:9], v25, v[34:35]
	v_mov_b32_e32 v13, v9
	v_mov_b32_e32 v12, v8
	s_and_saveexec_b64 s[54:55], s[40:41]
; %bb.5352:                             ;   in Loop: Header=BB2_4992 Depth=3
	v_bfe_u32 v3, v8, 20, 1
	v_add_co_u32_e64 v3, s[40:41], v8, v3
	v_add_co_u32_e64 v12, s[40:41], -1, v3
; %bb.5353:                             ;   in Loop: Header=BB2_4992 Depth=3
	s_or_b64 exec, exec, s[54:55]
	v_add_u32_e32 v3, 0xffffff81, v24
	v_cndmask_b32_e32 v3, v3, v52, vcc
	v_lshrrev_b32_e32 v4, 23, v8
	v_add3_u32 v16, v25, v3, v4
	v_add_u32_e32 v13, 6, v16
	v_and_b32_e32 v3, 0xfffff, v12
	v_add_u32_e32 v34, v3, v8
	v_cmp_ne_u32_e32 vcc, 0, v13
                                        ; implicit-def: $vgpr8_vgpr9
                                        ; implicit-def: $vgpr12
	s_and_saveexec_b64 s[40:41], vcc
	s_xor_b64 s[40:41], exec, s[40:41]
; %bb.5354:                             ;   in Loop: Header=BB2_4992 Depth=3
	v_cmp_lt_u64_e32 vcc, s[94:95], v[34:35]
	v_add_u32_e32 v3, 7, v16
	v_cndmask_b32_e32 v12, v13, v3, vcc
	v_cndmask_b32_e64 v3, 0, 1, vcc
	v_lshrrev_b64 v[8:9], v3, v[34:35]
; %bb.5355:                             ;   in Loop: Header=BB2_4992 Depth=3
	s_andn2_saveexec_b64 s[40:41], s[40:41]
; %bb.5356:                             ;   in Loop: Header=BB2_4992 Depth=3
	v_mov_b32_e32 v8, v34
	v_bfe_u32 v12, v34, 23, 1
	v_mov_b32_e32 v9, v35
; %bb.5357:                             ;   in Loop: Header=BB2_4992 Depth=3
	s_or_b64 exec, exec, s[40:41]
	v_lshrrev_b64 v[8:9], 20, v[8:9]
	v_cmp_gt_i32_e32 vcc, 16, v12
	v_cndmask_b32_e32 v9, 0, v9, vcc
	v_cndmask_b32_e32 v8, 7, v8, vcc
	v_min_i32_e32 v3, 15, v12
	v_cmp_eq_u64_e64 s[40:41], 0, v[8:9]
	v_lshlrev_b32_e32 v3, 3, v3
	v_cmp_eq_u32_e32 vcc, 0, v12
	v_and_b32_e32 v3, 0xf8, v3
	v_and_or_b32 v3, v8, 7, v3
	s_and_b64 s[40:41], vcc, s[40:41]
	v_cndmask_b32_e64 v3, v3, 0, s[40:41]
	v_or_b32_e32 v59, v3, v1
.LBB2_5358:                             ;   in Loop: Header=BB2_4992 Depth=3
	s_or_b64 exec, exec, s[46:47]
                                        ; implicit-def: $vgpr1
.LBB2_5359:                             ;   in Loop: Header=BB2_4992 Depth=3
	s_andn2_saveexec_b64 s[40:41], s[44:45]
; %bb.5360:                             ;   in Loop: Header=BB2_4992 Depth=3
	v_or_b32_e32 v59, 0x7e, v1
; %bb.5361:                             ;   in Loop: Header=BB2_4992 Depth=3
	s_or_b64 exec, exec, s[40:41]
                                        ; implicit-def: $vgpr8
.LBB2_5362:                             ;   in Loop: Header=BB2_4992 Depth=3
	s_andn2_saveexec_b64 s[40:41], s[42:43]
; %bb.5363:                             ;   in Loop: Header=BB2_4992 Depth=3
	v_or_b32_sdwa v59, v8, s97 dst_sel:DWORD dst_unused:UNUSED_PAD src0_sel:BYTE_3 src1_sel:DWORD
; %bb.5364:                             ;   in Loop: Header=BB2_4992 Depth=3
	s_or_b64 exec, exec, s[40:41]
	v_lshrrev_b16_e32 v34, 8, v14
	v_and_b32_e32 v1, 7, v34
	v_and_b32_e32 v3, 0x7f, v34
	v_cmp_eq_u32_e64 s[40:41], s97, v3
	v_cmp_gt_u32_e32 vcc, 8, v3
	v_ffbh_u32_e32 v3, v1
	v_min_u32_e32 v3, 32, v3
	v_subrev_u32_e32 v6, 28, v3
	v_lshlrev_b64 v[12:13], v6, v[34:35]
	v_bfe_u32 v4, v34, 3, 4
	v_sub_u32_e32 v3, 29, v3
	v_and_b32_e32 v6, 7, v12
	v_cndmask_b32_e32 v3, v4, v3, vcc
	v_cndmask_b32_e32 v1, v1, v6, vcc
	v_lshlrev_b32_e32 v4, 24, v34
	v_lshrrev_b16_e32 v8, 8, v10
	v_lshlrev_b32_e32 v1, 20, v1
	v_and_b32_e32 v4, 0x80000000, v4
	v_lshl_add_u32 v3, v3, 23, v48
	v_or3_b32 v1, v4, v3, v1
	v_cmp_ne_u16_e64 s[42:43], 0, v8
	s_mov_b64 s[44:45], -1
	s_and_b64 vcc, exec, s[52:53]
                                        ; implicit-def: $vgpr9
	s_cbranch_vccz .LBB2_5378
; %bb.5365:                             ;   in Loop: Header=BB2_4992 Depth=3
	v_mov_b32_e32 v9, 0
	s_and_saveexec_b64 s[44:45], s[42:43]
	s_cbranch_execz .LBB2_5371
; %bb.5366:                             ;   in Loop: Header=BB2_4992 Depth=3
	v_cmp_ne_u16_e32 vcc, s59, v8
	v_bfrev_b32_e32 v9, 1
	s_and_saveexec_b64 s[46:47], vcc
	s_cbranch_execz .LBB2_5370
; %bb.5367:                             ;   in Loop: Header=BB2_4992 Depth=3
	v_and_b32_e32 v12, 0x7f, v8
	v_cmp_ne_u32_e32 vcc, s97, v12
	v_mov_b32_e32 v9, 0x7f800001
	s_and_saveexec_b64 s[54:55], vcc
	s_cbranch_execz .LBB2_5369
; %bb.5368:                             ;   in Loop: Header=BB2_4992 Depth=3
	v_and_b32_e32 v3, 7, v8
	v_ffbh_u32_e32 v6, v3
	v_min_u32_e32 v6, 32, v6
	v_subrev_u32_e32 v7, 28, v6
	v_lshrrev_b32_e32 v4, 3, v12
	v_cmp_gt_u32_e32 vcc, 8, v12
	v_lshlrev_b64 v[12:13], v7, v[8:9]
	v_sub_u32_e32 v6, 29, v6
	v_and_b32_e32 v7, 7, v12
	v_cndmask_b32_e32 v4, v4, v6, vcc
	v_cndmask_b32_e32 v3, v3, v7, vcc
	v_lshlrev_b32_e32 v6, 16, v10
	v_lshlrev_b32_e32 v3, 20, v3
	v_and_b32_e32 v6, 0x80000000, v6
	v_lshl_add_u32 v4, v4, 23, v48
	v_or3_b32 v9, v6, v4, v3
.LBB2_5369:                             ;   in Loop: Header=BB2_4992 Depth=3
	s_or_b64 exec, exec, s[54:55]
.LBB2_5370:                             ;   in Loop: Header=BB2_4992 Depth=3
	s_or_b64 exec, exec, s[46:47]
.LBB2_5371:                             ;   in Loop: Header=BB2_4992 Depth=3
	s_or_b64 exec, exec, s[44:45]
	v_cmp_lt_i16_e32 vcc, s97, v34
	s_mov_b64 s[44:45], 0
	s_and_saveexec_b64 s[46:47], vcc
	s_xor_b64 s[46:47], exec, s[46:47]
	s_cbranch_execz .LBB2_5676
; %bb.5372:                             ;   in Loop: Header=BB2_4992 Depth=3
	v_cmp_eq_u16_e32 vcc, s59, v34
	s_mov_b64 s[44:45], -1
	s_and_saveexec_b64 s[54:55], vcc
; %bb.5373:                             ;   in Loop: Header=BB2_4992 Depth=3
	s_xor_b64 s[44:45], exec, -1
; %bb.5374:                             ;   in Loop: Header=BB2_4992 Depth=3
	s_or_b64 exec, exec, s[54:55]
	s_and_b64 s[44:45], s[44:45], exec
	s_or_saveexec_b64 s[46:47], s[46:47]
	v_bfrev_b32_e32 v12, 1
	s_xor_b64 exec, exec, s[46:47]
	s_cbranch_execnz .LBB2_5677
.LBB2_5375:                             ;   in Loop: Header=BB2_4992 Depth=3
	s_or_b64 exec, exec, s[46:47]
	s_and_saveexec_b64 s[46:47], s[44:45]
.LBB2_5376:                             ;   in Loop: Header=BB2_4992 Depth=3
	v_cndmask_b32_e64 v12, v1, v49, s[40:41]
.LBB2_5377:                             ;   in Loop: Header=BB2_4992 Depth=3
	s_or_b64 exec, exec, s[46:47]
	v_max_f32_e32 v3, v12, v12
	v_max_f32_e32 v4, v9, v9
	;; [unrolled: 1-line block ×3, first 2 shown]
	s_mov_b64 s[44:45], 0
.LBB2_5378:                             ;   in Loop: Header=BB2_4992 Depth=3
	s_and_b64 vcc, exec, s[44:45]
	s_cbranch_vccz .LBB2_5392
; %bb.5379:                             ;   in Loop: Header=BB2_4992 Depth=3
	v_mov_b32_e32 v9, 0
	s_and_saveexec_b64 s[44:45], s[42:43]
	s_cbranch_execz .LBB2_5385
; %bb.5380:                             ;   in Loop: Header=BB2_4992 Depth=3
	v_cmp_ne_u16_e32 vcc, s59, v8
	v_bfrev_b32_e32 v9, 1
	s_and_saveexec_b64 s[42:43], vcc
	s_cbranch_execz .LBB2_5384
; %bb.5381:                             ;   in Loop: Header=BB2_4992 Depth=3
	v_and_b32_e32 v12, 0x7f, v8
	v_cmp_ne_u32_e32 vcc, s97, v12
	v_mov_b32_e32 v9, 0x7f800001
	s_and_saveexec_b64 s[46:47], vcc
	s_cbranch_execz .LBB2_5383
; %bb.5382:                             ;   in Loop: Header=BB2_4992 Depth=3
	v_and_b32_e32 v3, 7, v8
	v_ffbh_u32_e32 v6, v3
	v_min_u32_e32 v6, 32, v6
	v_subrev_u32_e32 v7, 28, v6
	v_lshlrev_b64 v[8:9], v7, v[8:9]
	v_lshrrev_b32_e32 v4, 3, v12
	v_cmp_gt_u32_e32 vcc, 8, v12
	v_sub_u32_e32 v6, 29, v6
	v_and_b32_e32 v7, 7, v8
	v_cndmask_b32_e32 v4, v4, v6, vcc
	v_cndmask_b32_e32 v3, v3, v7, vcc
	v_lshlrev_b32_e32 v6, 16, v10
	v_lshlrev_b32_e32 v3, 20, v3
	v_and_b32_e32 v6, 0x80000000, v6
	v_lshl_add_u32 v4, v4, 23, v48
	v_or3_b32 v9, v6, v4, v3
.LBB2_5383:                             ;   in Loop: Header=BB2_4992 Depth=3
	s_or_b64 exec, exec, s[46:47]
.LBB2_5384:                             ;   in Loop: Header=BB2_4992 Depth=3
	s_or_b64 exec, exec, s[42:43]
.LBB2_5385:                             ;   in Loop: Header=BB2_4992 Depth=3
	s_or_b64 exec, exec, s[44:45]
	v_cmp_lt_i16_e32 vcc, s97, v34
	s_mov_b64 s[42:43], 0
	s_and_saveexec_b64 s[44:45], vcc
	s_xor_b64 s[44:45], exec, s[44:45]
	s_cbranch_execz .LBB2_5678
; %bb.5386:                             ;   in Loop: Header=BB2_4992 Depth=3
	v_cmp_eq_u16_e32 vcc, s59, v34
	s_mov_b64 s[42:43], -1
	s_and_saveexec_b64 s[46:47], vcc
; %bb.5387:                             ;   in Loop: Header=BB2_4992 Depth=3
	s_xor_b64 s[42:43], exec, -1
; %bb.5388:                             ;   in Loop: Header=BB2_4992 Depth=3
	s_or_b64 exec, exec, s[46:47]
	s_and_b64 s[42:43], s[42:43], exec
	s_or_saveexec_b64 s[44:45], s[44:45]
	v_bfrev_b32_e32 v8, 1
	s_xor_b64 exec, exec, s[44:45]
	s_cbranch_execnz .LBB2_5679
.LBB2_5389:                             ;   in Loop: Header=BB2_4992 Depth=3
	s_or_b64 exec, exec, s[44:45]
	s_and_saveexec_b64 s[44:45], s[42:43]
.LBB2_5390:                             ;   in Loop: Header=BB2_4992 Depth=3
	v_cndmask_b32_e64 v8, v1, v49, s[40:41]
.LBB2_5391:                             ;   in Loop: Header=BB2_4992 Depth=3
	s_or_b64 exec, exec, s[44:45]
	v_max_f32_e32 v1, v8, v8
	v_max_f32_e32 v3, v9, v9
	v_min_f32_e32 v9, v3, v1
.LBB2_5392:                             ;   in Loop: Header=BB2_4992 Depth=3
	v_and_b32_e32 v34, 0x7f800000, v9
	v_cmp_ne_u64_e32 vcc, s[90:91], v[34:35]
                                        ; implicit-def: $vgpr60
	s_and_saveexec_b64 s[40:41], vcc
	s_xor_b64 s[42:43], exec, s[40:41]
	s_cbranch_execz .LBB2_5406
; %bb.5393:                             ;   in Loop: Header=BB2_4992 Depth=3
	v_and_b32_e32 v34, 0x7fffffff, v9
	v_cmp_gt_u64_e32 vcc, s[92:93], v[34:35]
	v_and_b32_sdwa v1, v9, s59 dst_sel:DWORD dst_unused:UNUSED_PAD src0_sel:BYTE_3 src1_sel:DWORD
                                        ; implicit-def: $vgpr60
	s_and_saveexec_b64 s[40:41], vcc
	s_xor_b64 s[44:45], exec, s[40:41]
	s_cbranch_execz .LBB2_5403
; %bb.5394:                             ;   in Loop: Header=BB2_4992 Depth=3
	v_mov_b32_e32 v60, 0
	v_cmp_ne_u32_e32 vcc, 0, v9
	s_and_saveexec_b64 s[46:47], vcc
	s_cbranch_execz .LBB2_5402
; %bb.5395:                             ;   in Loop: Header=BB2_4992 Depth=3
	v_bfe_u32 v24, v9, 23, 8
	v_cmp_gt_u32_e64 s[40:41], s56, v24
	v_sub_u32_e32 v4, 0x79, v24
	v_and_b32_e32 v3, 0x7fffff, v9
	v_cmp_eq_u32_e32 vcc, 0, v24
	v_cndmask_b32_e64 v4, 0, v4, s[40:41]
	v_mov_b32_e32 v7, 0x78
	v_or_b32_e32 v6, 0x800000, v3
	v_cndmask_b32_e32 v25, v4, v7, vcc
	v_cndmask_b32_e32 v34, v6, v3, vcc
	v_add_u32_e32 v3, 20, v25
	v_lshlrev_b64 v[8:9], v3, -1
	v_add_u32_e32 v3, 19, v25
	v_lshlrev_b64 v[12:13], v3, 1
	v_bfi_b32 v9, v9, 0, 0
	v_bfi_b32 v8, v8, 0, v34
	v_cmp_eq_u64_e64 s[40:41], v[8:9], v[12:13]
	v_lshrrev_b64 v[8:9], v25, v[34:35]
	v_mov_b32_e32 v13, v9
	v_mov_b32_e32 v12, v8
	s_and_saveexec_b64 s[54:55], s[40:41]
; %bb.5396:                             ;   in Loop: Header=BB2_4992 Depth=3
	v_bfe_u32 v3, v8, 20, 1
	v_add_co_u32_e64 v3, s[40:41], v8, v3
	v_add_co_u32_e64 v12, s[40:41], -1, v3
; %bb.5397:                             ;   in Loop: Header=BB2_4992 Depth=3
	s_or_b64 exec, exec, s[54:55]
	v_add_u32_e32 v3, 0xffffff81, v24
	v_cndmask_b32_e32 v3, v3, v52, vcc
	v_lshrrev_b32_e32 v4, 23, v8
	v_add3_u32 v16, v25, v3, v4
	v_add_u32_e32 v13, 6, v16
	v_and_b32_e32 v3, 0xfffff, v12
	v_add_u32_e32 v34, v3, v8
	v_cmp_ne_u32_e32 vcc, 0, v13
                                        ; implicit-def: $vgpr8_vgpr9
                                        ; implicit-def: $vgpr12
	s_and_saveexec_b64 s[40:41], vcc
	s_xor_b64 s[40:41], exec, s[40:41]
; %bb.5398:                             ;   in Loop: Header=BB2_4992 Depth=3
	v_cmp_lt_u64_e32 vcc, s[94:95], v[34:35]
	v_add_u32_e32 v3, 7, v16
	v_cndmask_b32_e32 v12, v13, v3, vcc
	v_cndmask_b32_e64 v3, 0, 1, vcc
	v_lshrrev_b64 v[8:9], v3, v[34:35]
; %bb.5399:                             ;   in Loop: Header=BB2_4992 Depth=3
	s_andn2_saveexec_b64 s[40:41], s[40:41]
; %bb.5400:                             ;   in Loop: Header=BB2_4992 Depth=3
	v_mov_b32_e32 v8, v34
	v_bfe_u32 v12, v34, 23, 1
	v_mov_b32_e32 v9, v35
; %bb.5401:                             ;   in Loop: Header=BB2_4992 Depth=3
	s_or_b64 exec, exec, s[40:41]
	v_lshrrev_b64 v[8:9], 20, v[8:9]
	v_cmp_gt_i32_e32 vcc, 16, v12
	v_cndmask_b32_e32 v9, 0, v9, vcc
	v_cndmask_b32_e32 v8, 7, v8, vcc
	v_min_i32_e32 v3, 15, v12
	v_cmp_eq_u64_e64 s[40:41], 0, v[8:9]
	v_lshlrev_b32_e32 v3, 3, v3
	v_cmp_eq_u32_e32 vcc, 0, v12
	v_and_b32_e32 v3, 0xf8, v3
	v_and_or_b32 v3, v8, 7, v3
	s_and_b64 s[40:41], vcc, s[40:41]
	v_cndmask_b32_e64 v3, v3, 0, s[40:41]
	v_or_b32_e32 v60, v3, v1
.LBB2_5402:                             ;   in Loop: Header=BB2_4992 Depth=3
	s_or_b64 exec, exec, s[46:47]
                                        ; implicit-def: $vgpr1
.LBB2_5403:                             ;   in Loop: Header=BB2_4992 Depth=3
	s_andn2_saveexec_b64 s[40:41], s[44:45]
; %bb.5404:                             ;   in Loop: Header=BB2_4992 Depth=3
	v_or_b32_e32 v60, 0x7e, v1
; %bb.5405:                             ;   in Loop: Header=BB2_4992 Depth=3
	s_or_b64 exec, exec, s[40:41]
                                        ; implicit-def: $vgpr9
.LBB2_5406:                             ;   in Loop: Header=BB2_4992 Depth=3
	s_andn2_saveexec_b64 s[40:41], s[42:43]
; %bb.5407:                             ;   in Loop: Header=BB2_4992 Depth=3
	v_or_b32_sdwa v60, v9, s97 dst_sel:DWORD dst_unused:UNUSED_PAD src0_sel:BYTE_3 src1_sel:DWORD
; %bb.5408:                             ;   in Loop: Header=BB2_4992 Depth=3
	s_or_b64 exec, exec, s[40:41]
	v_bfe_u32 v1, v14, 16, 3
	v_bfe_u32 v3, v14, 16, 7
	v_cmp_eq_u32_e64 s[40:41], s97, v3
	v_cmp_gt_u32_e32 vcc, 8, v3
	v_ffbh_u32_e32 v3, v1
	v_min_u32_e32 v3, 32, v3
	v_lshrrev_b32_e32 v8, 16, v14
	v_subrev_u32_e32 v6, 28, v3
	v_lshlrev_b64 v[12:13], v6, v[8:9]
	v_bfe_u32 v4, v8, 3, 4
	v_sub_u32_e32 v3, 29, v3
	v_and_b32_e32 v6, 7, v12
	v_cndmask_b32_e32 v3, v4, v3, vcc
	v_cndmask_b32_e32 v1, v1, v6, vcc
	v_lshlrev_b32_e32 v4, 8, v14
	v_lshlrev_b32_e32 v1, 20, v1
	v_and_b32_e32 v4, 0x80000000, v4
	v_lshl_add_u32 v3, v3, 23, v48
	v_lshrrev_b32_e32 v9, 16, v10
	v_or3_b32 v1, v4, v3, v1
	v_cmp_ne_u16_sdwa s[42:43], v9, v35 src0_sel:BYTE_0 src1_sel:DWORD
	s_mov_b64 s[44:45], -1
	s_and_b64 vcc, exec, s[52:53]
                                        ; implicit-def: $vgpr12
	s_cbranch_vccz .LBB2_5422
; %bb.5409:                             ;   in Loop: Header=BB2_4992 Depth=3
	v_mov_b32_e32 v12, 0
	s_and_saveexec_b64 s[44:45], s[42:43]
	s_cbranch_execz .LBB2_5415
; %bb.5410:                             ;   in Loop: Header=BB2_4992 Depth=3
	v_cmp_ne_u16_sdwa vcc, v9, s59 src0_sel:BYTE_0 src1_sel:DWORD
	v_bfrev_b32_e32 v12, 1
	s_and_saveexec_b64 s[46:47], vcc
	s_cbranch_execz .LBB2_5414
; %bb.5411:                             ;   in Loop: Header=BB2_4992 Depth=3
	v_bfe_u32 v13, v10, 16, 7
	v_cmp_ne_u32_e32 vcc, s97, v13
	v_mov_b32_e32 v12, 0x7f800001
	s_and_saveexec_b64 s[54:55], vcc
	s_cbranch_execz .LBB2_5413
; %bb.5412:                             ;   in Loop: Header=BB2_4992 Depth=3
	v_and_b32_e32 v3, 7, v9
	v_ffbh_u32_e32 v6, v3
	v_min_u32_e32 v6, 32, v6
	v_subrev_u32_e32 v7, 28, v6
	v_lshrrev_b32_e32 v4, 3, v13
	v_cmp_gt_u32_e32 vcc, 8, v13
	v_lshlrev_b64 v[12:13], v7, v[9:10]
	v_sub_u32_e32 v6, 29, v6
	v_and_b32_e32 v7, 7, v12
	v_cndmask_b32_e32 v4, v4, v6, vcc
	v_cndmask_b32_e32 v3, v3, v7, vcc
	v_lshlrev_b32_e32 v6, 24, v9
	v_lshlrev_b32_e32 v3, 20, v3
	v_and_b32_e32 v6, 0x80000000, v6
	v_lshl_add_u32 v4, v4, 23, v48
	v_or3_b32 v12, v6, v4, v3
.LBB2_5413:                             ;   in Loop: Header=BB2_4992 Depth=3
	s_or_b64 exec, exec, s[54:55]
.LBB2_5414:                             ;   in Loop: Header=BB2_4992 Depth=3
	s_or_b64 exec, exec, s[46:47]
.LBB2_5415:                             ;   in Loop: Header=BB2_4992 Depth=3
	s_or_b64 exec, exec, s[44:45]
	v_cmp_gt_i16_sdwa s[46:47], v8, s97 src0_sel:BYTE_0 src1_sel:DWORD
	s_mov_b64 s[44:45], 0
	s_and_saveexec_b64 vcc, s[46:47]
	s_xor_b64 s[46:47], exec, vcc
	s_cbranch_execz .LBB2_5680
; %bb.5416:                             ;   in Loop: Header=BB2_4992 Depth=3
	v_cmp_eq_u16_sdwa s[54:55], v8, s59 src0_sel:BYTE_0 src1_sel:DWORD
	s_mov_b64 s[44:45], -1
	s_and_saveexec_b64 vcc, s[54:55]
; %bb.5417:                             ;   in Loop: Header=BB2_4992 Depth=3
	s_xor_b64 s[44:45], exec, -1
; %bb.5418:                             ;   in Loop: Header=BB2_4992 Depth=3
	s_or_b64 exec, exec, vcc
	s_and_b64 s[44:45], s[44:45], exec
	s_or_saveexec_b64 s[46:47], s[46:47]
	v_bfrev_b32_e32 v13, 1
	s_xor_b64 exec, exec, s[46:47]
	s_cbranch_execnz .LBB2_5681
.LBB2_5419:                             ;   in Loop: Header=BB2_4992 Depth=3
	s_or_b64 exec, exec, s[46:47]
	s_and_saveexec_b64 s[46:47], s[44:45]
.LBB2_5420:                             ;   in Loop: Header=BB2_4992 Depth=3
	v_cndmask_b32_e64 v13, v1, v49, s[40:41]
.LBB2_5421:                             ;   in Loop: Header=BB2_4992 Depth=3
	s_or_b64 exec, exec, s[46:47]
	v_max_f32_e32 v3, v13, v13
	v_max_f32_e32 v4, v12, v12
	;; [unrolled: 1-line block ×3, first 2 shown]
	s_mov_b64 s[44:45], 0
.LBB2_5422:                             ;   in Loop: Header=BB2_4992 Depth=3
	s_and_b64 vcc, exec, s[44:45]
	s_cbranch_vccz .LBB2_5436
; %bb.5423:                             ;   in Loop: Header=BB2_4992 Depth=3
	v_mov_b32_e32 v12, 0
	s_and_saveexec_b64 s[44:45], s[42:43]
	s_cbranch_execz .LBB2_5429
; %bb.5424:                             ;   in Loop: Header=BB2_4992 Depth=3
	v_cmp_ne_u16_sdwa s[46:47], v9, s59 src0_sel:BYTE_0 src1_sel:DWORD
	v_bfrev_b32_e32 v12, 1
	s_and_saveexec_b64 s[42:43], s[46:47]
	s_cbranch_execz .LBB2_5428
; %bb.5425:                             ;   in Loop: Header=BB2_4992 Depth=3
	v_bfe_u32 v13, v10, 16, 7
	v_cmp_ne_u32_e32 vcc, s97, v13
	v_mov_b32_e32 v12, 0x7f800001
	s_and_saveexec_b64 s[46:47], vcc
	s_cbranch_execz .LBB2_5427
; %bb.5426:                             ;   in Loop: Header=BB2_4992 Depth=3
	v_and_b32_e32 v3, 7, v9
	v_ffbh_u32_e32 v6, v3
	v_min_u32_e32 v6, 32, v6
	v_subrev_u32_e32 v7, 28, v6
	v_lshrrev_b32_e32 v4, 3, v13
	v_cmp_gt_u32_e32 vcc, 8, v13
	v_lshlrev_b64 v[12:13], v7, v[9:10]
	v_sub_u32_e32 v6, 29, v6
	v_and_b32_e32 v7, 7, v12
	v_cndmask_b32_e32 v4, v4, v6, vcc
	v_cndmask_b32_e32 v3, v3, v7, vcc
	v_lshlrev_b32_e32 v6, 24, v9
	v_lshlrev_b32_e32 v3, 20, v3
	v_and_b32_e32 v6, 0x80000000, v6
	v_lshl_add_u32 v4, v4, 23, v48
	v_or3_b32 v12, v6, v4, v3
.LBB2_5427:                             ;   in Loop: Header=BB2_4992 Depth=3
	s_or_b64 exec, exec, s[46:47]
.LBB2_5428:                             ;   in Loop: Header=BB2_4992 Depth=3
	s_or_b64 exec, exec, s[42:43]
.LBB2_5429:                             ;   in Loop: Header=BB2_4992 Depth=3
	s_or_b64 exec, exec, s[44:45]
	v_cmp_gt_i16_sdwa s[44:45], v8, s97 src0_sel:BYTE_0 src1_sel:DWORD
	s_mov_b64 s[42:43], 0
	s_and_saveexec_b64 s[46:47], s[44:45]
	s_xor_b64 s[44:45], exec, s[46:47]
	s_cbranch_execz .LBB2_5682
; %bb.5430:                             ;   in Loop: Header=BB2_4992 Depth=3
	v_cmp_eq_u16_sdwa vcc, v8, s59 src0_sel:BYTE_0 src1_sel:DWORD
	s_mov_b64 s[42:43], -1
	s_and_saveexec_b64 s[46:47], vcc
; %bb.5431:                             ;   in Loop: Header=BB2_4992 Depth=3
	s_xor_b64 s[42:43], exec, -1
; %bb.5432:                             ;   in Loop: Header=BB2_4992 Depth=3
	s_or_b64 exec, exec, s[46:47]
	s_and_b64 s[42:43], s[42:43], exec
                                        ; implicit-def: $vgpr8
	s_or_saveexec_b64 s[44:45], s[44:45]
	v_bfrev_b32_e32 v9, 1
	s_xor_b64 exec, exec, s[44:45]
	s_cbranch_execnz .LBB2_5683
.LBB2_5433:                             ;   in Loop: Header=BB2_4992 Depth=3
	s_or_b64 exec, exec, s[44:45]
	s_and_saveexec_b64 s[44:45], s[42:43]
.LBB2_5434:                             ;   in Loop: Header=BB2_4992 Depth=3
	v_cndmask_b32_e64 v9, v1, v49, s[40:41]
.LBB2_5435:                             ;   in Loop: Header=BB2_4992 Depth=3
	s_or_b64 exec, exec, s[44:45]
	v_max_f32_e32 v1, v9, v9
	v_max_f32_e32 v3, v12, v12
	v_min_f32_e32 v12, v3, v1
.LBB2_5436:                             ;   in Loop: Header=BB2_4992 Depth=3
	v_and_b32_e32 v34, 0x7f800000, v12
	v_cmp_ne_u64_e32 vcc, s[90:91], v[34:35]
                                        ; implicit-def: $vgpr1
	s_and_saveexec_b64 s[40:41], vcc
	s_xor_b64 s[42:43], exec, s[40:41]
	s_cbranch_execz .LBB2_5450
; %bb.5437:                             ;   in Loop: Header=BB2_4992 Depth=3
	v_and_b32_e32 v34, 0x7fffffff, v12
	v_cmp_gt_u64_e32 vcc, s[92:93], v[34:35]
	v_and_b32_sdwa v24, v12, s59 dst_sel:DWORD dst_unused:UNUSED_PAD src0_sel:BYTE_3 src1_sel:DWORD
                                        ; implicit-def: $vgpr1
	s_and_saveexec_b64 s[40:41], vcc
	s_xor_b64 s[44:45], exec, s[40:41]
	s_cbranch_execz .LBB2_5447
; %bb.5438:                             ;   in Loop: Header=BB2_4992 Depth=3
	v_mov_b32_e32 v1, 0
	v_cmp_ne_u32_e32 vcc, 0, v12
	s_and_saveexec_b64 s[46:47], vcc
	s_cbranch_execz .LBB2_5446
; %bb.5439:                             ;   in Loop: Header=BB2_4992 Depth=3
	v_bfe_u32 v1, v12, 23, 8
	v_cmp_gt_u32_e64 s[40:41], s56, v1
	v_sub_u32_e32 v4, 0x79, v1
	v_and_b32_e32 v3, 0x7fffff, v12
	v_cmp_eq_u32_e32 vcc, 0, v1
	v_cndmask_b32_e64 v4, 0, v4, s[40:41]
	v_mov_b32_e32 v7, 0x78
	v_or_b32_e32 v6, 0x800000, v3
	v_cndmask_b32_e32 v25, v4, v7, vcc
	v_cndmask_b32_e32 v34, v6, v3, vcc
	v_add_u32_e32 v3, 20, v25
	v_lshlrev_b64 v[8:9], v3, -1
	v_add_u32_e32 v3, 19, v25
	v_lshlrev_b64 v[12:13], v3, 1
	v_bfi_b32 v9, v9, 0, 0
	v_bfi_b32 v8, v8, 0, v34
	v_cmp_eq_u64_e64 s[40:41], v[8:9], v[12:13]
	v_lshrrev_b64 v[8:9], v25, v[34:35]
	v_mov_b32_e32 v13, v9
	v_mov_b32_e32 v12, v8
	s_and_saveexec_b64 s[54:55], s[40:41]
; %bb.5440:                             ;   in Loop: Header=BB2_4992 Depth=3
	v_bfe_u32 v3, v8, 20, 1
	v_add_co_u32_e64 v3, s[40:41], v8, v3
	v_add_co_u32_e64 v12, s[40:41], -1, v3
; %bb.5441:                             ;   in Loop: Header=BB2_4992 Depth=3
	s_or_b64 exec, exec, s[54:55]
	v_add_u32_e32 v1, 0xffffff81, v1
	v_cndmask_b32_e32 v1, v1, v52, vcc
	v_lshrrev_b32_e32 v3, 23, v8
	v_add3_u32 v16, v25, v1, v3
	v_add_u32_e32 v13, 6, v16
	v_and_b32_e32 v1, 0xfffff, v12
	v_add_u32_e32 v34, v1, v8
	v_cmp_ne_u32_e32 vcc, 0, v13
                                        ; implicit-def: $vgpr8_vgpr9
                                        ; implicit-def: $vgpr1
	s_and_saveexec_b64 s[40:41], vcc
	s_xor_b64 s[40:41], exec, s[40:41]
; %bb.5442:                             ;   in Loop: Header=BB2_4992 Depth=3
	v_cmp_lt_u64_e32 vcc, s[94:95], v[34:35]
	v_add_u32_e32 v1, 7, v16
	v_cndmask_b32_e64 v3, 0, 1, vcc
	v_cndmask_b32_e32 v1, v13, v1, vcc
	v_lshrrev_b64 v[8:9], v3, v[34:35]
; %bb.5443:                             ;   in Loop: Header=BB2_4992 Depth=3
	s_andn2_saveexec_b64 s[40:41], s[40:41]
; %bb.5444:                             ;   in Loop: Header=BB2_4992 Depth=3
	v_mov_b32_e32 v8, v34
	v_bfe_u32 v1, v34, 23, 1
	v_mov_b32_e32 v9, v35
; %bb.5445:                             ;   in Loop: Header=BB2_4992 Depth=3
	s_or_b64 exec, exec, s[40:41]
	v_lshrrev_b64 v[8:9], 20, v[8:9]
	v_cmp_gt_i32_e32 vcc, 16, v1
	v_cndmask_b32_e32 v9, 0, v9, vcc
	v_cndmask_b32_e32 v8, 7, v8, vcc
	v_cmp_eq_u32_e32 vcc, 0, v1
	v_min_i32_e32 v1, 15, v1
	v_cmp_eq_u64_e64 s[40:41], 0, v[8:9]
	v_lshlrev_b32_e32 v1, 3, v1
	v_and_b32_e32 v1, 0xf8, v1
	v_and_or_b32 v1, v8, 7, v1
	s_and_b64 s[40:41], vcc, s[40:41]
	v_cndmask_b32_e64 v1, v1, 0, s[40:41]
	v_or_b32_e32 v1, v1, v24
.LBB2_5446:                             ;   in Loop: Header=BB2_4992 Depth=3
	s_or_b64 exec, exec, s[46:47]
                                        ; implicit-def: $vgpr24
.LBB2_5447:                             ;   in Loop: Header=BB2_4992 Depth=3
	s_andn2_saveexec_b64 s[40:41], s[44:45]
; %bb.5448:                             ;   in Loop: Header=BB2_4992 Depth=3
	v_or_b32_e32 v1, 0x7e, v24
; %bb.5449:                             ;   in Loop: Header=BB2_4992 Depth=3
	s_or_b64 exec, exec, s[40:41]
                                        ; implicit-def: $vgpr12
.LBB2_5450:                             ;   in Loop: Header=BB2_4992 Depth=3
	s_andn2_saveexec_b64 s[40:41], s[42:43]
; %bb.5451:                             ;   in Loop: Header=BB2_4992 Depth=3
	v_or_b32_sdwa v1, v12, s97 dst_sel:DWORD dst_unused:UNUSED_PAD src0_sel:BYTE_3 src1_sel:DWORD
; %bb.5452:                             ;   in Loop: Header=BB2_4992 Depth=3
	s_or_b64 exec, exec, s[40:41]
	v_bfe_u32 v3, v14, 24, 3
	v_bfe_u32 v4, v14, 24, 7
	v_cmp_eq_u32_e64 s[44:45], s97, v4
	v_cmp_gt_u32_e32 vcc, 8, v4
	v_ffbh_u32_e32 v4, v3
	v_min_u32_e32 v4, 32, v4
	v_lshrrev_b32_e32 v9, 24, v14
	v_subrev_u32_e32 v7, 28, v4
	v_lshlrev_b64 v[12:13], v7, v[9:10]
	v_bfe_u32 v6, v9, 3, 4
	v_sub_u32_e32 v4, 29, v4
	v_and_b32_e32 v7, 7, v12
	v_cndmask_b32_e32 v4, v6, v4, vcc
	v_cndmask_b32_e32 v3, v3, v7, vcc
	v_lshlrev_b32_e32 v3, 20, v3
	v_and_b32_e32 v6, 0x80000000, v14
	v_lshl_add_u32 v4, v4, 23, v48
	v_lshrrev_b32_e32 v8, 24, v10
	v_cmp_gt_u32_e64 s[40:41], s61, v14
	v_cmp_eq_u32_e64 s[42:43], s59, v9
	v_or3_b32 v9, v6, v4, v3
	v_cmp_lt_u32_e64 s[46:47], s63, v10
	s_mov_b64 s[54:55], -1
	s_and_b64 vcc, exec, s[52:53]
                                        ; implicit-def: $vgpr12
	s_cbranch_vccz .LBB2_5460
; %bb.5453:                             ;   in Loop: Header=BB2_4992 Depth=3
	v_mov_b32_e32 v12, 0
	s_and_saveexec_b64 s[54:55], s[46:47]
	s_cbranch_execz .LBB2_5459
; %bb.5454:                             ;   in Loop: Header=BB2_4992 Depth=3
	v_cmp_ne_u32_e32 vcc, s59, v8
	v_bfrev_b32_e32 v12, 1
	s_and_saveexec_b64 s[64:65], vcc
	s_cbranch_execz .LBB2_5458
; %bb.5455:                             ;   in Loop: Header=BB2_4992 Depth=3
	v_bfe_u32 v13, v10, 24, 7
	v_cmp_ne_u32_e32 vcc, s97, v13
	v_mov_b32_e32 v12, 0x7f800001
	s_and_saveexec_b64 s[66:67], vcc
	s_cbranch_execz .LBB2_5457
; %bb.5456:                             ;   in Loop: Header=BB2_4992 Depth=3
	v_and_b32_e32 v3, 7, v8
	v_ffbh_u32_e32 v6, v3
	v_min_u32_e32 v6, 32, v6
	v_subrev_u32_e32 v7, 28, v6
	v_lshrrev_b32_e32 v4, 3, v13
	v_cmp_gt_u32_e32 vcc, 8, v13
	v_lshlrev_b64 v[12:13], v7, v[8:9]
	v_sub_u32_e32 v6, 29, v6
	v_and_b32_e32 v7, 7, v12
	v_cndmask_b32_e32 v4, v4, v6, vcc
	v_cndmask_b32_e32 v3, v3, v7, vcc
	v_lshlrev_b32_e32 v6, 24, v8
	v_lshlrev_b32_e32 v3, 20, v3
	v_and_b32_e32 v6, 0x80000000, v6
	v_lshl_add_u32 v4, v4, 23, v48
	v_or3_b32 v12, v6, v4, v3
.LBB2_5457:                             ;   in Loop: Header=BB2_4992 Depth=3
	s_or_b64 exec, exec, s[66:67]
.LBB2_5458:                             ;   in Loop: Header=BB2_4992 Depth=3
	s_or_b64 exec, exec, s[64:65]
.LBB2_5459:                             ;   in Loop: Header=BB2_4992 Depth=3
	s_or_b64 exec, exec, s[54:55]
	v_cndmask_b32_e64 v3, v9, v49, s[44:45]
	v_cndmask_b32_e64 v3, v3, v0, s[42:43]
	;; [unrolled: 1-line block ×3, first 2 shown]
	v_max_f32_e32 v3, v3, v3
	v_max_f32_e32 v4, v12, v12
	;; [unrolled: 1-line block ×3, first 2 shown]
	s_mov_b64 s[54:55], 0
.LBB2_5460:                             ;   in Loop: Header=BB2_4992 Depth=3
	s_and_b64 vcc, exec, s[54:55]
	s_cbranch_vccz .LBB2_5468
; %bb.5461:                             ;   in Loop: Header=BB2_4992 Depth=3
	v_mov_b32_e32 v12, 0
	s_and_saveexec_b64 s[54:55], s[46:47]
	s_cbranch_execz .LBB2_5467
; %bb.5462:                             ;   in Loop: Header=BB2_4992 Depth=3
	v_cmp_ne_u32_e32 vcc, s59, v8
	v_bfrev_b32_e32 v12, 1
	s_and_saveexec_b64 s[46:47], vcc
	s_cbranch_execz .LBB2_5466
; %bb.5463:                             ;   in Loop: Header=BB2_4992 Depth=3
	v_bfe_u32 v13, v10, 24, 7
	v_cmp_ne_u32_e32 vcc, s97, v13
	v_mov_b32_e32 v12, 0x7f800001
	s_and_saveexec_b64 s[64:65], vcc
	s_cbranch_execz .LBB2_5465
; %bb.5464:                             ;   in Loop: Header=BB2_4992 Depth=3
	v_and_b32_e32 v3, 7, v8
	v_ffbh_u32_e32 v6, v3
	v_min_u32_e32 v6, 32, v6
	v_subrev_u32_e32 v7, 28, v6
	v_lshrrev_b32_e32 v4, 3, v13
	v_cmp_gt_u32_e32 vcc, 8, v13
	v_lshlrev_b64 v[12:13], v7, v[8:9]
	v_sub_u32_e32 v6, 29, v6
	v_and_b32_e32 v7, 7, v12
	v_cndmask_b32_e32 v4, v4, v6, vcc
	v_cndmask_b32_e32 v3, v3, v7, vcc
	v_lshlrev_b32_e32 v6, 24, v8
	v_lshlrev_b32_e32 v3, 20, v3
	v_and_b32_e32 v6, 0x80000000, v6
	v_lshl_add_u32 v4, v4, 23, v48
	v_or3_b32 v12, v6, v4, v3
.LBB2_5465:                             ;   in Loop: Header=BB2_4992 Depth=3
	s_or_b64 exec, exec, s[64:65]
.LBB2_5466:                             ;   in Loop: Header=BB2_4992 Depth=3
	s_or_b64 exec, exec, s[46:47]
.LBB2_5467:                             ;   in Loop: Header=BB2_4992 Depth=3
	s_or_b64 exec, exec, s[54:55]
	v_cndmask_b32_e64 v3, v9, v49, s[44:45]
	v_cndmask_b32_e64 v3, v3, v0, s[42:43]
	;; [unrolled: 1-line block ×3, first 2 shown]
	v_max_f32_e32 v3, v3, v3
	v_max_f32_e32 v4, v12, v12
	v_min_f32_e32 v12, v4, v3
.LBB2_5468:                             ;   in Loop: Header=BB2_4992 Depth=3
	v_and_b32_e32 v34, 0x7f800000, v12
	v_cmp_ne_u64_e32 vcc, s[90:91], v[34:35]
                                        ; implicit-def: $vgpr61
	s_and_saveexec_b64 s[40:41], vcc
	s_xor_b64 s[42:43], exec, s[40:41]
	s_cbranch_execz .LBB2_5482
; %bb.5469:                             ;   in Loop: Header=BB2_4992 Depth=3
	v_and_b32_e32 v34, 0x7fffffff, v12
	v_cmp_gt_u64_e32 vcc, s[92:93], v[34:35]
	v_and_b32_sdwa v24, v12, s59 dst_sel:DWORD dst_unused:UNUSED_PAD src0_sel:BYTE_3 src1_sel:DWORD
                                        ; implicit-def: $vgpr61
	s_and_saveexec_b64 s[40:41], vcc
	s_xor_b64 s[44:45], exec, s[40:41]
	s_cbranch_execz .LBB2_5479
; %bb.5470:                             ;   in Loop: Header=BB2_4992 Depth=3
	v_mov_b32_e32 v61, 0
	v_cmp_ne_u32_e32 vcc, 0, v12
	s_and_saveexec_b64 s[46:47], vcc
	s_cbranch_execz .LBB2_5478
; %bb.5471:                             ;   in Loop: Header=BB2_4992 Depth=3
	v_bfe_u32 v25, v12, 23, 8
	v_cmp_gt_u32_e64 s[40:41], s56, v25
	v_sub_u32_e32 v4, 0x79, v25
	v_and_b32_e32 v3, 0x7fffff, v12
	v_cmp_eq_u32_e32 vcc, 0, v25
	v_cndmask_b32_e64 v4, 0, v4, s[40:41]
	v_mov_b32_e32 v7, 0x78
	v_or_b32_e32 v6, 0x800000, v3
	v_cndmask_b32_e32 v57, v4, v7, vcc
	v_cndmask_b32_e32 v34, v6, v3, vcc
	v_add_u32_e32 v3, 20, v57
	v_lshlrev_b64 v[8:9], v3, -1
	v_add_u32_e32 v3, 19, v57
	v_lshlrev_b64 v[12:13], v3, 1
	v_bfi_b32 v9, v9, 0, 0
	v_bfi_b32 v8, v8, 0, v34
	v_cmp_eq_u64_e64 s[40:41], v[8:9], v[12:13]
	v_lshrrev_b64 v[8:9], v57, v[34:35]
	v_mov_b32_e32 v13, v9
	v_mov_b32_e32 v12, v8
	s_and_saveexec_b64 s[54:55], s[40:41]
; %bb.5472:                             ;   in Loop: Header=BB2_4992 Depth=3
	v_bfe_u32 v3, v8, 20, 1
	v_add_co_u32_e64 v3, s[40:41], v8, v3
	v_add_co_u32_e64 v12, s[40:41], -1, v3
; %bb.5473:                             ;   in Loop: Header=BB2_4992 Depth=3
	s_or_b64 exec, exec, s[54:55]
	v_add_u32_e32 v3, 0xffffff81, v25
	v_cndmask_b32_e32 v3, v3, v52, vcc
	v_lshrrev_b32_e32 v4, 23, v8
	v_add3_u32 v16, v57, v3, v4
	v_add_u32_e32 v13, 6, v16
	v_and_b32_e32 v3, 0xfffff, v12
	v_add_u32_e32 v34, v3, v8
	v_cmp_ne_u32_e32 vcc, 0, v13
                                        ; implicit-def: $vgpr8_vgpr9
                                        ; implicit-def: $vgpr12
	s_and_saveexec_b64 s[40:41], vcc
	s_xor_b64 s[40:41], exec, s[40:41]
; %bb.5474:                             ;   in Loop: Header=BB2_4992 Depth=3
	v_cmp_lt_u64_e32 vcc, s[94:95], v[34:35]
	v_add_u32_e32 v3, 7, v16
	v_cndmask_b32_e32 v12, v13, v3, vcc
	v_cndmask_b32_e64 v3, 0, 1, vcc
	v_lshrrev_b64 v[8:9], v3, v[34:35]
; %bb.5475:                             ;   in Loop: Header=BB2_4992 Depth=3
	s_andn2_saveexec_b64 s[40:41], s[40:41]
; %bb.5476:                             ;   in Loop: Header=BB2_4992 Depth=3
	v_mov_b32_e32 v8, v34
	v_bfe_u32 v12, v34, 23, 1
	v_mov_b32_e32 v9, v35
; %bb.5477:                             ;   in Loop: Header=BB2_4992 Depth=3
	s_or_b64 exec, exec, s[40:41]
	v_lshrrev_b64 v[8:9], 20, v[8:9]
	v_cmp_gt_i32_e32 vcc, 16, v12
	v_cndmask_b32_e32 v9, 0, v9, vcc
	v_cndmask_b32_e32 v8, 7, v8, vcc
	v_min_i32_e32 v3, 15, v12
	v_cmp_eq_u64_e64 s[40:41], 0, v[8:9]
	v_lshlrev_b32_e32 v3, 3, v3
	v_cmp_eq_u32_e32 vcc, 0, v12
	v_and_b32_e32 v3, 0xf8, v3
	v_and_or_b32 v3, v8, 7, v3
	s_and_b64 s[40:41], vcc, s[40:41]
	v_cndmask_b32_e64 v3, v3, 0, s[40:41]
	v_or_b32_e32 v61, v3, v24
.LBB2_5478:                             ;   in Loop: Header=BB2_4992 Depth=3
	s_or_b64 exec, exec, s[46:47]
                                        ; implicit-def: $vgpr24
.LBB2_5479:                             ;   in Loop: Header=BB2_4992 Depth=3
	s_andn2_saveexec_b64 s[40:41], s[44:45]
; %bb.5480:                             ;   in Loop: Header=BB2_4992 Depth=3
	v_or_b32_e32 v61, 0x7e, v24
; %bb.5481:                             ;   in Loop: Header=BB2_4992 Depth=3
	s_or_b64 exec, exec, s[40:41]
                                        ; implicit-def: $vgpr12
.LBB2_5482:                             ;   in Loop: Header=BB2_4992 Depth=3
	s_andn2_saveexec_b64 s[40:41], s[42:43]
; %bb.5483:                             ;   in Loop: Header=BB2_4992 Depth=3
	v_or_b32_sdwa v61, v12, s97 dst_sel:DWORD dst_unused:UNUSED_PAD src0_sel:BYTE_3 src1_sel:DWORD
; %bb.5484:                             ;   in Loop: Header=BB2_4992 Depth=3
	s_or_b64 exec, exec, s[40:41]
	v_and_b32_e32 v3, 7, v15
	v_ffbh_u32_e32 v3, v3
	v_and_b32_e32 v4, 0x7f, v15
	v_min_u32_e32 v3, 32, v3
	v_cmp_eq_u32_e64 s[40:41], s97, v4
	v_cmp_gt_u32_e32 vcc, 8, v4
	v_subrev_u32_e32 v4, 28, v3
	v_mov_b32_e32 v8, v15
	v_mov_b32_e32 v9, v35
	v_cndmask_b32_e32 v4, 0, v4, vcc
	v_lshlrev_b64 v[12:13], v4, v[8:9]
	v_bfe_u32 v6, v15, 3, 4
	v_sub_u32_e32 v3, 29, v3
	v_cndmask_b32_e32 v3, v6, v3, vcc
	v_lshlrev_b32_e32 v4, 20, v12
	v_lshlrev_b32_e32 v6, 24, v15
	v_and_b32_e32 v4, 0x700000, v4
	v_and_b32_e32 v6, 0x80000000, v6
	v_lshl_add_u32 v3, v3, 23, v48
	v_mov_b32_e32 v34, v11
	v_or3_b32 v9, v6, v3, v4
	v_cmp_ne_u16_sdwa s[42:43], v11, v35 src0_sel:BYTE_0 src1_sel:DWORD
	s_mov_b64 s[44:45], -1
	s_and_b64 vcc, exec, s[52:53]
                                        ; implicit-def: $vgpr12
	s_cbranch_vccz .LBB2_5498
; %bb.5485:                             ;   in Loop: Header=BB2_4992 Depth=3
	v_mov_b32_e32 v12, 0
	s_and_saveexec_b64 s[44:45], s[42:43]
	s_cbranch_execz .LBB2_5491
; %bb.5486:                             ;   in Loop: Header=BB2_4992 Depth=3
	v_cmp_ne_u16_sdwa vcc, v11, s59 src0_sel:BYTE_0 src1_sel:DWORD
	v_bfrev_b32_e32 v12, 1
	s_and_saveexec_b64 s[46:47], vcc
	s_cbranch_execz .LBB2_5490
; %bb.5487:                             ;   in Loop: Header=BB2_4992 Depth=3
	v_and_b32_e32 v13, 0x7f, v11
	v_cmp_ne_u32_e32 vcc, s97, v13
	v_mov_b32_e32 v12, 0x7f800001
	s_and_saveexec_b64 s[54:55], vcc
	s_cbranch_execz .LBB2_5489
; %bb.5488:                             ;   in Loop: Header=BB2_4992 Depth=3
	v_and_b32_e32 v3, 7, v11
	v_ffbh_u32_e32 v3, v3
	v_min_u32_e32 v3, 32, v3
	v_lshrrev_b32_e32 v4, 3, v13
	v_cmp_gt_u32_e32 vcc, 8, v13
	v_subrev_u32_e32 v6, 28, v3
	v_sub_u32_e32 v3, 29, v3
	v_cndmask_b32_e32 v3, v4, v3, vcc
	v_cndmask_b32_e32 v4, 0, v6, vcc
	v_lshlrev_b64 v[12:13], v4, v[34:35]
	v_lshlrev_b32_e32 v6, 24, v34
	v_lshlrev_b32_e32 v4, 20, v12
	v_and_b32_e32 v4, 0x700000, v4
	v_and_b32_e32 v6, 0x80000000, v6
	v_lshl_add_u32 v3, v3, 23, v48
	v_or3_b32 v12, v6, v3, v4
.LBB2_5489:                             ;   in Loop: Header=BB2_4992 Depth=3
	s_or_b64 exec, exec, s[54:55]
.LBB2_5490:                             ;   in Loop: Header=BB2_4992 Depth=3
	s_or_b64 exec, exec, s[46:47]
.LBB2_5491:                             ;   in Loop: Header=BB2_4992 Depth=3
	s_or_b64 exec, exec, s[44:45]
	v_cmp_gt_i16_sdwa s[46:47], v15, s97 src0_sel:BYTE_0 src1_sel:DWORD
	s_mov_b64 s[44:45], 0
	s_and_saveexec_b64 vcc, s[46:47]
	s_xor_b64 s[46:47], exec, vcc
	s_cbranch_execz .LBB2_5684
; %bb.5492:                             ;   in Loop: Header=BB2_4992 Depth=3
	v_cmp_eq_u16_sdwa s[54:55], v15, s59 src0_sel:BYTE_0 src1_sel:DWORD
	s_mov_b64 s[44:45], -1
	s_and_saveexec_b64 vcc, s[54:55]
; %bb.5493:                             ;   in Loop: Header=BB2_4992 Depth=3
	s_xor_b64 s[44:45], exec, -1
; %bb.5494:                             ;   in Loop: Header=BB2_4992 Depth=3
	s_or_b64 exec, exec, vcc
	s_and_b64 s[44:45], s[44:45], exec
	s_or_saveexec_b64 s[46:47], s[46:47]
	v_bfrev_b32_e32 v13, 1
	s_xor_b64 exec, exec, s[46:47]
	s_cbranch_execnz .LBB2_5685
.LBB2_5495:                             ;   in Loop: Header=BB2_4992 Depth=3
	s_or_b64 exec, exec, s[46:47]
	s_and_saveexec_b64 s[46:47], s[44:45]
.LBB2_5496:                             ;   in Loop: Header=BB2_4992 Depth=3
	v_cndmask_b32_e64 v13, v9, v49, s[40:41]
.LBB2_5497:                             ;   in Loop: Header=BB2_4992 Depth=3
	s_or_b64 exec, exec, s[46:47]
	v_max_f32_e32 v3, v13, v13
	v_max_f32_e32 v4, v12, v12
	;; [unrolled: 1-line block ×3, first 2 shown]
	s_mov_b64 s[44:45], 0
.LBB2_5498:                             ;   in Loop: Header=BB2_4992 Depth=3
	s_and_b64 vcc, exec, s[44:45]
	s_cbranch_vccz .LBB2_5512
; %bb.5499:                             ;   in Loop: Header=BB2_4992 Depth=3
	v_mov_b32_e32 v12, 0
	s_and_saveexec_b64 s[44:45], s[42:43]
	s_cbranch_execz .LBB2_5505
; %bb.5500:                             ;   in Loop: Header=BB2_4992 Depth=3
	v_cmp_ne_u16_sdwa s[46:47], v11, s59 src0_sel:BYTE_0 src1_sel:DWORD
	v_bfrev_b32_e32 v12, 1
	s_and_saveexec_b64 s[42:43], s[46:47]
	s_cbranch_execz .LBB2_5504
; %bb.5501:                             ;   in Loop: Header=BB2_4992 Depth=3
	v_and_b32_e32 v13, 0x7f, v11
	v_cmp_ne_u32_e32 vcc, s97, v13
	v_mov_b32_e32 v12, 0x7f800001
	s_and_saveexec_b64 s[46:47], vcc
	s_cbranch_execz .LBB2_5503
; %bb.5502:                             ;   in Loop: Header=BB2_4992 Depth=3
	v_and_b32_e32 v3, 7, v11
	v_ffbh_u32_e32 v3, v3
	v_min_u32_e32 v3, 32, v3
	v_lshrrev_b32_e32 v4, 3, v13
	v_cmp_gt_u32_e32 vcc, 8, v13
	v_subrev_u32_e32 v6, 28, v3
	v_sub_u32_e32 v3, 29, v3
	v_cndmask_b32_e32 v3, v4, v3, vcc
	v_cndmask_b32_e32 v4, 0, v6, vcc
	v_lshlrev_b64 v[12:13], v4, v[34:35]
	v_lshlrev_b32_e32 v6, 24, v34
	v_lshlrev_b32_e32 v4, 20, v12
	v_and_b32_e32 v4, 0x700000, v4
	v_and_b32_e32 v6, 0x80000000, v6
	v_lshl_add_u32 v3, v3, 23, v48
	v_or3_b32 v12, v6, v3, v4
.LBB2_5503:                             ;   in Loop: Header=BB2_4992 Depth=3
	s_or_b64 exec, exec, s[46:47]
.LBB2_5504:                             ;   in Loop: Header=BB2_4992 Depth=3
	s_or_b64 exec, exec, s[42:43]
.LBB2_5505:                             ;   in Loop: Header=BB2_4992 Depth=3
	s_or_b64 exec, exec, s[44:45]
	v_cmp_gt_i16_sdwa s[44:45], v15, s97 src0_sel:BYTE_0 src1_sel:DWORD
	s_mov_b64 s[42:43], 0
	s_and_saveexec_b64 s[46:47], s[44:45]
	s_xor_b64 s[44:45], exec, s[46:47]
	s_cbranch_execz .LBB2_5686
; %bb.5506:                             ;   in Loop: Header=BB2_4992 Depth=3
	v_cmp_eq_u16_sdwa vcc, v15, s59 src0_sel:BYTE_0 src1_sel:DWORD
	s_mov_b64 s[42:43], -1
	s_and_saveexec_b64 s[46:47], vcc
; %bb.5507:                             ;   in Loop: Header=BB2_4992 Depth=3
	s_xor_b64 s[42:43], exec, -1
; %bb.5508:                             ;   in Loop: Header=BB2_4992 Depth=3
	s_or_b64 exec, exec, s[46:47]
	s_and_b64 s[42:43], s[42:43], exec
	s_or_saveexec_b64 s[44:45], s[44:45]
	v_bfrev_b32_e32 v13, 1
	s_xor_b64 exec, exec, s[44:45]
	s_cbranch_execnz .LBB2_5687
.LBB2_5509:                             ;   in Loop: Header=BB2_4992 Depth=3
	s_or_b64 exec, exec, s[44:45]
	s_and_saveexec_b64 s[44:45], s[42:43]
.LBB2_5510:                             ;   in Loop: Header=BB2_4992 Depth=3
	v_cndmask_b32_e64 v13, v9, v49, s[40:41]
.LBB2_5511:                             ;   in Loop: Header=BB2_4992 Depth=3
	s_or_b64 exec, exec, s[44:45]
	v_max_f32_e32 v3, v13, v13
	v_max_f32_e32 v4, v12, v12
	v_min_f32_e32 v12, v4, v3
.LBB2_5512:                             ;   in Loop: Header=BB2_4992 Depth=3
	v_and_b32_e32 v24, 0x7f800000, v12
	v_mov_b32_e32 v25, v35
	v_cmp_ne_u64_e32 vcc, s[90:91], v[24:25]
                                        ; implicit-def: $vgpr24
	s_and_saveexec_b64 s[40:41], vcc
	s_xor_b64 s[42:43], exec, s[40:41]
	s_cbranch_execz .LBB2_5526
; %bb.5513:                             ;   in Loop: Header=BB2_4992 Depth=3
	v_and_b32_e32 v24, 0x7fffffff, v12
	v_mov_b32_e32 v25, v35
	v_cmp_gt_u64_e32 vcc, s[92:93], v[24:25]
	v_and_b32_sdwa v9, v12, s59 dst_sel:DWORD dst_unused:UNUSED_PAD src0_sel:BYTE_3 src1_sel:DWORD
                                        ; implicit-def: $vgpr24
	s_and_saveexec_b64 s[40:41], vcc
	s_xor_b64 s[44:45], exec, s[40:41]
	s_cbranch_execz .LBB2_5523
; %bb.5514:                             ;   in Loop: Header=BB2_4992 Depth=3
	v_mov_b32_e32 v24, 0
	v_cmp_ne_u32_e32 vcc, 0, v12
	s_and_saveexec_b64 s[46:47], vcc
	s_cbranch_execz .LBB2_5522
; %bb.5515:                             ;   in Loop: Header=BB2_4992 Depth=3
	v_bfe_u32 v24, v12, 23, 8
	v_cmp_gt_u32_e64 s[40:41], s56, v24
	v_sub_u32_e32 v4, 0x79, v24
	v_and_b32_e32 v3, 0x7fffff, v12
	v_cmp_eq_u32_e32 vcc, 0, v24
	v_cndmask_b32_e64 v4, 0, v4, s[40:41]
	v_mov_b32_e32 v7, 0x78
	v_or_b32_e32 v6, 0x800000, v3
	v_cndmask_b32_e32 v25, v4, v7, vcc
	v_cndmask_b32_e32 v12, v6, v3, vcc
	v_add_u32_e32 v3, 20, v25
	v_lshlrev_b64 v[57:58], v3, -1
	v_mov_b32_e32 v13, v35
	v_add_u32_e32 v3, 19, v25
	v_bfi_b32 v57, v57, 0, v12
	v_lshlrev_b64 v[6:7], v3, 1
	v_lshrrev_b64 v[12:13], v25, v[12:13]
	v_bfi_b32 v58, v58, 0, 0
	v_cmp_eq_u64_e64 s[40:41], v[57:58], v[6:7]
	v_mov_b32_e32 v58, v13
	v_mov_b32_e32 v57, v12
	s_and_saveexec_b64 s[54:55], s[40:41]
; %bb.5516:                             ;   in Loop: Header=BB2_4992 Depth=3
	v_bfe_u32 v3, v12, 20, 1
	v_add_co_u32_e64 v3, s[40:41], v12, v3
	v_add_co_u32_e64 v57, s[40:41], -1, v3
; %bb.5517:                             ;   in Loop: Header=BB2_4992 Depth=3
	s_or_b64 exec, exec, s[54:55]
	v_add_u32_e32 v3, 0xffffff81, v24
	v_cndmask_b32_e32 v3, v3, v52, vcc
	v_lshrrev_b32_e32 v4, 23, v12
	v_add3_u32 v25, v25, v3, v4
	v_add_u32_e32 v16, 6, v25
	v_and_b32_e32 v3, 0xfffff, v57
	v_add_u32_e32 v12, v3, v12
	v_mov_b32_e32 v13, v35
	v_cmp_ne_u32_e32 vcc, 0, v16
                                        ; implicit-def: $vgpr24
	s_and_saveexec_b64 s[40:41], vcc
	s_xor_b64 s[40:41], exec, s[40:41]
; %bb.5518:                             ;   in Loop: Header=BB2_4992 Depth=3
	v_cmp_lt_u64_e32 vcc, s[94:95], v[12:13]
	v_add_u32_e32 v3, 7, v25
	v_cndmask_b32_e32 v24, v16, v3, vcc
	v_cndmask_b32_e64 v3, 0, 1, vcc
	v_lshrrev_b64 v[12:13], v3, v[12:13]
; %bb.5519:                             ;   in Loop: Header=BB2_4992 Depth=3
	s_andn2_saveexec_b64 s[40:41], s[40:41]
; %bb.5520:                             ;   in Loop: Header=BB2_4992 Depth=3
	v_bfe_u32 v24, v12, 23, 1
; %bb.5521:                             ;   in Loop: Header=BB2_4992 Depth=3
	s_or_b64 exec, exec, s[40:41]
	v_lshrrev_b64 v[6:7], 20, v[12:13]
	v_cmp_gt_i32_e32 vcc, 16, v24
	v_cndmask_b32_e32 v7, 0, v7, vcc
	v_cndmask_b32_e32 v6, 7, v6, vcc
	v_min_i32_e32 v3, 15, v24
	v_cmp_eq_u64_e64 s[40:41], 0, v[6:7]
	v_lshlrev_b32_e32 v3, 3, v3
	v_cmp_eq_u32_e32 vcc, 0, v24
	v_and_b32_e32 v3, 0xf8, v3
	v_and_or_b32 v3, v6, 7, v3
	s_and_b64 s[40:41], vcc, s[40:41]
	v_cndmask_b32_e64 v3, v3, 0, s[40:41]
	v_or_b32_e32 v24, v3, v9
.LBB2_5522:                             ;   in Loop: Header=BB2_4992 Depth=3
	s_or_b64 exec, exec, s[46:47]
                                        ; implicit-def: $vgpr9
.LBB2_5523:                             ;   in Loop: Header=BB2_4992 Depth=3
	s_andn2_saveexec_b64 s[40:41], s[44:45]
; %bb.5524:                             ;   in Loop: Header=BB2_4992 Depth=3
	v_or_b32_e32 v24, 0x7e, v9
; %bb.5525:                             ;   in Loop: Header=BB2_4992 Depth=3
	s_or_b64 exec, exec, s[40:41]
                                        ; implicit-def: $vgpr12
.LBB2_5526:                             ;   in Loop: Header=BB2_4992 Depth=3
	s_andn2_saveexec_b64 s[40:41], s[42:43]
; %bb.5527:                             ;   in Loop: Header=BB2_4992 Depth=3
	v_or_b32_sdwa v24, v12, s97 dst_sel:DWORD dst_unused:UNUSED_PAD src0_sel:BYTE_3 src1_sel:DWORD
; %bb.5528:                             ;   in Loop: Header=BB2_4992 Depth=3
	s_or_b64 exec, exec, s[40:41]
	v_lshrrev_b16_e32 v8, 8, v8
	v_and_b32_e32 v3, 7, v8
	v_and_b32_e32 v4, 0x7f, v8
	v_cmp_eq_u32_e64 s[40:41], s97, v4
	v_cmp_gt_u32_e32 vcc, 8, v4
	v_ffbh_u32_e32 v4, v3
	v_min_u32_e32 v4, 32, v4
	v_mov_b32_e32 v9, v35
	v_subrev_u32_e32 v6, 28, v4
	v_lshlrev_b64 v[6:7], v6, v[8:9]
	v_bfe_u32 v13, v8, 3, 4
	v_sub_u32_e32 v4, 29, v4
	v_and_b32_e32 v6, 7, v6
	v_cndmask_b32_e32 v4, v13, v4, vcc
	v_cndmask_b32_e32 v3, v3, v6, vcc
	v_lshlrev_b32_e32 v6, 24, v8
	v_lshrrev_b16_e32 v12, 8, v34
	v_lshlrev_b32_e32 v3, 20, v3
	v_and_b32_e32 v6, 0x80000000, v6
	v_lshl_add_u32 v4, v4, 23, v48
	v_or3_b32 v9, v6, v4, v3
	v_cmp_ne_u16_e64 s[42:43], 0, v12
	s_mov_b64 s[44:45], -1
	s_and_b64 vcc, exec, s[52:53]
                                        ; implicit-def: $vgpr13
	s_cbranch_vccz .LBB2_5542
; %bb.5529:                             ;   in Loop: Header=BB2_4992 Depth=3
	v_mov_b32_e32 v13, 0
	s_and_saveexec_b64 s[44:45], s[42:43]
	s_cbranch_execz .LBB2_5535
; %bb.5530:                             ;   in Loop: Header=BB2_4992 Depth=3
	v_cmp_ne_u16_e32 vcc, s59, v12
	v_bfrev_b32_e32 v13, 1
	s_and_saveexec_b64 s[46:47], vcc
	s_cbranch_execz .LBB2_5534
; %bb.5531:                             ;   in Loop: Header=BB2_4992 Depth=3
	v_and_b32_e32 v16, 0x7f, v12
	v_cmp_ne_u32_e32 vcc, s97, v16
	v_mov_b32_e32 v13, 0x7f800001
	s_and_saveexec_b64 s[54:55], vcc
	s_cbranch_execz .LBB2_5533
; %bb.5532:                             ;   in Loop: Header=BB2_4992 Depth=3
	v_and_b32_e32 v3, 7, v12
	v_ffbh_u32_e32 v6, v3
	v_min_u32_e32 v13, 32, v6
	v_subrev_u32_e32 v6, 28, v13
	v_lshlrev_b64 v[6:7], v6, v[12:13]
	v_lshrrev_b32_e32 v4, 3, v16
	v_cmp_gt_u32_e32 vcc, 8, v16
	v_sub_u32_e32 v7, 29, v13
	v_and_b32_e32 v6, 7, v6
	v_cndmask_b32_e32 v4, v4, v7, vcc
	v_cndmask_b32_e32 v3, v3, v6, vcc
	v_lshlrev_b32_e32 v6, 16, v34
	v_lshlrev_b32_e32 v3, 20, v3
	v_and_b32_e32 v6, 0x80000000, v6
	v_lshl_add_u32 v4, v4, 23, v48
	v_or3_b32 v13, v6, v4, v3
.LBB2_5533:                             ;   in Loop: Header=BB2_4992 Depth=3
	s_or_b64 exec, exec, s[54:55]
.LBB2_5534:                             ;   in Loop: Header=BB2_4992 Depth=3
	s_or_b64 exec, exec, s[46:47]
.LBB2_5535:                             ;   in Loop: Header=BB2_4992 Depth=3
	s_or_b64 exec, exec, s[44:45]
	v_cmp_lt_i16_e32 vcc, s97, v8
	s_mov_b64 s[44:45], 0
	s_and_saveexec_b64 s[46:47], vcc
	s_xor_b64 s[46:47], exec, s[46:47]
	s_cbranch_execz .LBB2_5688
; %bb.5536:                             ;   in Loop: Header=BB2_4992 Depth=3
	v_cmp_eq_u16_e32 vcc, s59, v8
	s_mov_b64 s[44:45], -1
	s_and_saveexec_b64 s[54:55], vcc
; %bb.5537:                             ;   in Loop: Header=BB2_4992 Depth=3
	s_xor_b64 s[44:45], exec, -1
; %bb.5538:                             ;   in Loop: Header=BB2_4992 Depth=3
	s_or_b64 exec, exec, s[54:55]
	s_and_b64 s[44:45], s[44:45], exec
	s_or_saveexec_b64 s[46:47], s[46:47]
	v_bfrev_b32_e32 v16, 1
	s_xor_b64 exec, exec, s[46:47]
	s_cbranch_execnz .LBB2_5689
.LBB2_5539:                             ;   in Loop: Header=BB2_4992 Depth=3
	s_or_b64 exec, exec, s[46:47]
	s_and_saveexec_b64 s[46:47], s[44:45]
.LBB2_5540:                             ;   in Loop: Header=BB2_4992 Depth=3
	v_cndmask_b32_e64 v16, v9, v49, s[40:41]
.LBB2_5541:                             ;   in Loop: Header=BB2_4992 Depth=3
	s_or_b64 exec, exec, s[46:47]
	v_max_f32_e32 v3, v16, v16
	v_max_f32_e32 v4, v13, v13
	;; [unrolled: 1-line block ×3, first 2 shown]
	s_mov_b64 s[44:45], 0
.LBB2_5542:                             ;   in Loop: Header=BB2_4992 Depth=3
	s_and_b64 vcc, exec, s[44:45]
	s_cbranch_vccz .LBB2_5556
; %bb.5543:                             ;   in Loop: Header=BB2_4992 Depth=3
	v_mov_b32_e32 v13, 0
	s_and_saveexec_b64 s[44:45], s[42:43]
	s_cbranch_execz .LBB2_5549
; %bb.5544:                             ;   in Loop: Header=BB2_4992 Depth=3
	v_cmp_ne_u16_e32 vcc, s59, v12
	v_bfrev_b32_e32 v13, 1
	s_and_saveexec_b64 s[42:43], vcc
	s_cbranch_execz .LBB2_5548
; %bb.5545:                             ;   in Loop: Header=BB2_4992 Depth=3
	v_and_b32_e32 v16, 0x7f, v12
	v_cmp_ne_u32_e32 vcc, s97, v16
	v_mov_b32_e32 v13, 0x7f800001
	s_and_saveexec_b64 s[46:47], vcc
	s_cbranch_execz .LBB2_5547
; %bb.5546:                             ;   in Loop: Header=BB2_4992 Depth=3
	v_and_b32_e32 v3, 7, v12
	v_ffbh_u32_e32 v6, v3
	v_min_u32_e32 v13, 32, v6
	v_subrev_u32_e32 v6, 28, v13
	v_lshlrev_b64 v[6:7], v6, v[12:13]
	v_lshrrev_b32_e32 v4, 3, v16
	v_cmp_gt_u32_e32 vcc, 8, v16
	v_sub_u32_e32 v7, 29, v13
	v_and_b32_e32 v6, 7, v6
	v_cndmask_b32_e32 v4, v4, v7, vcc
	v_cndmask_b32_e32 v3, v3, v6, vcc
	v_lshlrev_b32_e32 v6, 16, v34
	v_lshlrev_b32_e32 v3, 20, v3
	v_and_b32_e32 v6, 0x80000000, v6
	v_lshl_add_u32 v4, v4, 23, v48
	v_or3_b32 v13, v6, v4, v3
.LBB2_5547:                             ;   in Loop: Header=BB2_4992 Depth=3
	s_or_b64 exec, exec, s[46:47]
.LBB2_5548:                             ;   in Loop: Header=BB2_4992 Depth=3
	s_or_b64 exec, exec, s[42:43]
.LBB2_5549:                             ;   in Loop: Header=BB2_4992 Depth=3
	s_or_b64 exec, exec, s[44:45]
	v_cmp_lt_i16_e32 vcc, s97, v8
	s_mov_b64 s[42:43], 0
	s_and_saveexec_b64 s[44:45], vcc
	s_xor_b64 s[44:45], exec, s[44:45]
	s_cbranch_execz .LBB2_5690
; %bb.5550:                             ;   in Loop: Header=BB2_4992 Depth=3
	v_cmp_eq_u16_e32 vcc, s59, v8
	s_mov_b64 s[42:43], -1
	s_and_saveexec_b64 s[46:47], vcc
; %bb.5551:                             ;   in Loop: Header=BB2_4992 Depth=3
	s_xor_b64 s[42:43], exec, -1
; %bb.5552:                             ;   in Loop: Header=BB2_4992 Depth=3
	s_or_b64 exec, exec, s[46:47]
	s_and_b64 s[42:43], s[42:43], exec
                                        ; implicit-def: $vgpr8
	s_or_saveexec_b64 s[44:45], s[44:45]
	v_bfrev_b32_e32 v12, 1
	s_xor_b64 exec, exec, s[44:45]
	s_cbranch_execnz .LBB2_5691
.LBB2_5553:                             ;   in Loop: Header=BB2_4992 Depth=3
	s_or_b64 exec, exec, s[44:45]
	s_and_saveexec_b64 s[44:45], s[42:43]
.LBB2_5554:                             ;   in Loop: Header=BB2_4992 Depth=3
	v_cndmask_b32_e64 v12, v9, v49, s[40:41]
.LBB2_5555:                             ;   in Loop: Header=BB2_4992 Depth=3
	s_or_b64 exec, exec, s[44:45]
	v_max_f32_e32 v3, v12, v12
	v_max_f32_e32 v4, v13, v13
	v_min_f32_e32 v13, v4, v3
.LBB2_5556:                             ;   in Loop: Header=BB2_4992 Depth=3
	v_and_b32_e32 v34, 0x7f800000, v13
	v_cmp_ne_u64_e32 vcc, s[90:91], v[34:35]
                                        ; implicit-def: $vgpr25
	s_and_saveexec_b64 s[40:41], vcc
	s_xor_b64 s[42:43], exec, s[40:41]
	s_cbranch_execz .LBB2_5570
; %bb.5557:                             ;   in Loop: Header=BB2_4992 Depth=3
	v_and_b32_e32 v34, 0x7fffffff, v13
	v_cmp_gt_u64_e32 vcc, s[92:93], v[34:35]
	v_and_b32_sdwa v57, v13, s59 dst_sel:DWORD dst_unused:UNUSED_PAD src0_sel:BYTE_3 src1_sel:DWORD
                                        ; implicit-def: $vgpr25
	s_and_saveexec_b64 s[40:41], vcc
	s_xor_b64 s[44:45], exec, s[40:41]
	s_cbranch_execz .LBB2_5567
; %bb.5558:                             ;   in Loop: Header=BB2_4992 Depth=3
	v_mov_b32_e32 v25, 0
	v_cmp_ne_u32_e32 vcc, 0, v13
	s_and_saveexec_b64 s[46:47], vcc
	s_cbranch_execz .LBB2_5566
; %bb.5559:                             ;   in Loop: Header=BB2_4992 Depth=3
	v_bfe_u32 v25, v13, 23, 8
	v_cmp_gt_u32_e64 s[40:41], s56, v25
	v_sub_u32_e32 v4, 0x79, v25
	v_and_b32_e32 v3, 0x7fffff, v13
	v_cmp_eq_u32_e32 vcc, 0, v25
	v_cndmask_b32_e64 v4, 0, v4, s[40:41]
	v_mov_b32_e32 v7, 0x78
	v_or_b32_e32 v6, 0x800000, v3
	v_cndmask_b32_e32 v58, v4, v7, vcc
	v_cndmask_b32_e32 v34, v6, v3, vcc
	v_add_u32_e32 v3, 20, v58
	v_lshlrev_b64 v[6:7], v3, -1
	v_add_u32_e32 v3, 19, v58
	v_lshlrev_b64 v[8:9], v3, 1
	v_bfi_b32 v7, v7, 0, 0
	v_bfi_b32 v6, v6, 0, v34
	v_cmp_eq_u64_e64 s[40:41], v[6:7], v[8:9]
	v_lshrrev_b64 v[8:9], v58, v[34:35]
	v_mov_b32_e32 v13, v9
	v_mov_b32_e32 v12, v8
	s_and_saveexec_b64 s[54:55], s[40:41]
; %bb.5560:                             ;   in Loop: Header=BB2_4992 Depth=3
	v_bfe_u32 v3, v8, 20, 1
	v_add_co_u32_e64 v3, s[40:41], v8, v3
	v_add_co_u32_e64 v12, s[40:41], -1, v3
; %bb.5561:                             ;   in Loop: Header=BB2_4992 Depth=3
	s_or_b64 exec, exec, s[54:55]
	v_add_u32_e32 v3, 0xffffff81, v25
	v_cndmask_b32_e32 v3, v3, v52, vcc
	v_lshrrev_b32_e32 v4, 23, v8
	v_add3_u32 v16, v58, v3, v4
	v_add_u32_e32 v13, 6, v16
	v_and_b32_e32 v3, 0xfffff, v12
	v_add_u32_e32 v34, v3, v8
	v_cmp_ne_u32_e32 vcc, 0, v13
                                        ; implicit-def: $vgpr8_vgpr9
                                        ; implicit-def: $vgpr12
	s_and_saveexec_b64 s[40:41], vcc
	s_xor_b64 s[40:41], exec, s[40:41]
; %bb.5562:                             ;   in Loop: Header=BB2_4992 Depth=3
	v_cmp_lt_u64_e32 vcc, s[94:95], v[34:35]
	v_add_u32_e32 v3, 7, v16
	v_cndmask_b32_e32 v12, v13, v3, vcc
	v_cndmask_b32_e64 v3, 0, 1, vcc
	v_lshrrev_b64 v[8:9], v3, v[34:35]
; %bb.5563:                             ;   in Loop: Header=BB2_4992 Depth=3
	s_andn2_saveexec_b64 s[40:41], s[40:41]
; %bb.5564:                             ;   in Loop: Header=BB2_4992 Depth=3
	v_mov_b32_e32 v8, v34
	v_bfe_u32 v12, v34, 23, 1
	v_mov_b32_e32 v9, v35
; %bb.5565:                             ;   in Loop: Header=BB2_4992 Depth=3
	s_or_b64 exec, exec, s[40:41]
	v_lshrrev_b64 v[6:7], 20, v[8:9]
	v_cmp_gt_i32_e32 vcc, 16, v12
	v_cndmask_b32_e32 v7, 0, v7, vcc
	v_cndmask_b32_e32 v6, 7, v6, vcc
	v_min_i32_e32 v3, 15, v12
	v_cmp_eq_u64_e64 s[40:41], 0, v[6:7]
	v_lshlrev_b32_e32 v3, 3, v3
	v_cmp_eq_u32_e32 vcc, 0, v12
	v_and_b32_e32 v3, 0xf8, v3
	v_and_or_b32 v3, v6, 7, v3
	s_and_b64 s[40:41], vcc, s[40:41]
	v_cndmask_b32_e64 v3, v3, 0, s[40:41]
	v_or_b32_e32 v25, v3, v57
.LBB2_5566:                             ;   in Loop: Header=BB2_4992 Depth=3
	s_or_b64 exec, exec, s[46:47]
                                        ; implicit-def: $vgpr57
.LBB2_5567:                             ;   in Loop: Header=BB2_4992 Depth=3
	s_andn2_saveexec_b64 s[40:41], s[44:45]
; %bb.5568:                             ;   in Loop: Header=BB2_4992 Depth=3
	v_or_b32_e32 v25, 0x7e, v57
; %bb.5569:                             ;   in Loop: Header=BB2_4992 Depth=3
	s_or_b64 exec, exec, s[40:41]
                                        ; implicit-def: $vgpr13
.LBB2_5570:                             ;   in Loop: Header=BB2_4992 Depth=3
	s_andn2_saveexec_b64 s[40:41], s[42:43]
; %bb.5571:                             ;   in Loop: Header=BB2_4992 Depth=3
	v_or_b32_sdwa v25, v13, s97 dst_sel:DWORD dst_unused:UNUSED_PAD src0_sel:BYTE_3 src1_sel:DWORD
; %bb.5572:                             ;   in Loop: Header=BB2_4992 Depth=3
	s_or_b64 exec, exec, s[40:41]
	v_bfe_u32 v3, v15, 16, 3
	v_bfe_u32 v4, v15, 16, 7
	v_cmp_eq_u32_e64 s[40:41], s97, v4
	v_cmp_gt_u32_e32 vcc, 8, v4
	v_ffbh_u32_e32 v4, v3
	v_lshrrev_b32_e32 v8, 16, v15
	v_min_u32_e32 v4, 32, v4
	v_bfe_u32 v9, v8, 3, 4
	v_subrev_u32_e32 v6, 28, v4
	v_lshlrev_b64 v[6:7], v6, v[8:9]
	v_sub_u32_e32 v4, 29, v4
	v_and_b32_e32 v6, 7, v6
	v_cndmask_b32_e32 v4, v9, v4, vcc
	v_cndmask_b32_e32 v3, v3, v6, vcc
	v_lshlrev_b32_e32 v6, 8, v15
	v_lshlrev_b32_e32 v3, 20, v3
	v_and_b32_e32 v6, 0x80000000, v6
	v_lshl_add_u32 v4, v4, 23, v48
	v_lshrrev_b32_e32 v9, 16, v11
	v_or3_b32 v12, v6, v4, v3
	v_cmp_ne_u16_sdwa s[42:43], v9, v35 src0_sel:BYTE_0 src1_sel:DWORD
	s_mov_b64 s[44:45], -1
	s_and_b64 vcc, exec, s[52:53]
                                        ; implicit-def: $vgpr13
	s_cbranch_vccz .LBB2_5586
; %bb.5573:                             ;   in Loop: Header=BB2_4992 Depth=3
	v_mov_b32_e32 v13, 0
	s_and_saveexec_b64 s[44:45], s[42:43]
	s_cbranch_execz .LBB2_5579
; %bb.5574:                             ;   in Loop: Header=BB2_4992 Depth=3
	v_cmp_ne_u16_sdwa vcc, v9, s59 src0_sel:BYTE_0 src1_sel:DWORD
	v_bfrev_b32_e32 v13, 1
	s_and_saveexec_b64 s[46:47], vcc
	s_cbranch_execz .LBB2_5578
; %bb.5575:                             ;   in Loop: Header=BB2_4992 Depth=3
	v_bfe_u32 v16, v11, 16, 7
	v_cmp_ne_u32_e32 vcc, s97, v16
	v_mov_b32_e32 v13, 0x7f800001
	s_and_saveexec_b64 s[54:55], vcc
	s_cbranch_execz .LBB2_5577
; %bb.5576:                             ;   in Loop: Header=BB2_4992 Depth=3
	v_and_b32_e32 v3, 7, v9
	v_ffbh_u32_e32 v6, v3
	v_min_u32_e32 v13, 32, v6
	v_subrev_u32_e32 v6, 28, v13
	v_lshlrev_b64 v[6:7], v6, v[9:10]
	v_lshrrev_b32_e32 v4, 3, v16
	v_cmp_gt_u32_e32 vcc, 8, v16
	v_sub_u32_e32 v7, 29, v13
	v_and_b32_e32 v6, 7, v6
	v_cndmask_b32_e32 v4, v4, v7, vcc
	v_cndmask_b32_e32 v3, v3, v6, vcc
	v_lshlrev_b32_e32 v6, 24, v9
	v_lshlrev_b32_e32 v3, 20, v3
	v_and_b32_e32 v6, 0x80000000, v6
	v_lshl_add_u32 v4, v4, 23, v48
	v_or3_b32 v13, v6, v4, v3
.LBB2_5577:                             ;   in Loop: Header=BB2_4992 Depth=3
	s_or_b64 exec, exec, s[54:55]
.LBB2_5578:                             ;   in Loop: Header=BB2_4992 Depth=3
	s_or_b64 exec, exec, s[46:47]
.LBB2_5579:                             ;   in Loop: Header=BB2_4992 Depth=3
	s_or_b64 exec, exec, s[44:45]
	v_cmp_gt_i16_sdwa s[46:47], v8, s97 src0_sel:BYTE_0 src1_sel:DWORD
	s_mov_b64 s[44:45], 0
	s_and_saveexec_b64 vcc, s[46:47]
	s_xor_b64 s[46:47], exec, vcc
	s_cbranch_execz .LBB2_5692
; %bb.5580:                             ;   in Loop: Header=BB2_4992 Depth=3
	v_cmp_eq_u16_sdwa s[54:55], v8, s59 src0_sel:BYTE_0 src1_sel:DWORD
	s_mov_b64 s[44:45], -1
	s_and_saveexec_b64 vcc, s[54:55]
; %bb.5581:                             ;   in Loop: Header=BB2_4992 Depth=3
	s_xor_b64 s[44:45], exec, -1
; %bb.5582:                             ;   in Loop: Header=BB2_4992 Depth=3
	s_or_b64 exec, exec, vcc
	s_and_b64 s[44:45], s[44:45], exec
	s_or_saveexec_b64 s[46:47], s[46:47]
	v_bfrev_b32_e32 v16, 1
	s_xor_b64 exec, exec, s[46:47]
	s_cbranch_execnz .LBB2_5693
.LBB2_5583:                             ;   in Loop: Header=BB2_4992 Depth=3
	s_or_b64 exec, exec, s[46:47]
	s_and_saveexec_b64 s[46:47], s[44:45]
.LBB2_5584:                             ;   in Loop: Header=BB2_4992 Depth=3
	v_cndmask_b32_e64 v16, v12, v49, s[40:41]
.LBB2_5585:                             ;   in Loop: Header=BB2_4992 Depth=3
	s_or_b64 exec, exec, s[46:47]
	v_max_f32_e32 v3, v16, v16
	v_max_f32_e32 v4, v13, v13
	v_max_f32_e32 v13, v4, v3
	s_mov_b64 s[44:45], 0
.LBB2_5586:                             ;   in Loop: Header=BB2_4992 Depth=3
	s_and_b64 vcc, exec, s[44:45]
	s_cbranch_vccz .LBB2_5600
; %bb.5587:                             ;   in Loop: Header=BB2_4992 Depth=3
	v_mov_b32_e32 v13, 0
	s_and_saveexec_b64 s[44:45], s[42:43]
	s_cbranch_execz .LBB2_5593
; %bb.5588:                             ;   in Loop: Header=BB2_4992 Depth=3
	v_cmp_ne_u16_sdwa s[46:47], v9, s59 src0_sel:BYTE_0 src1_sel:DWORD
	v_bfrev_b32_e32 v13, 1
	s_and_saveexec_b64 s[42:43], s[46:47]
	s_cbranch_execz .LBB2_5592
; %bb.5589:                             ;   in Loop: Header=BB2_4992 Depth=3
	v_bfe_u32 v16, v11, 16, 7
	v_cmp_ne_u32_e32 vcc, s97, v16
	v_mov_b32_e32 v13, 0x7f800001
	s_and_saveexec_b64 s[46:47], vcc
	s_cbranch_execz .LBB2_5591
; %bb.5590:                             ;   in Loop: Header=BB2_4992 Depth=3
	v_and_b32_e32 v3, 7, v9
	v_ffbh_u32_e32 v6, v3
	v_min_u32_e32 v13, 32, v6
	v_subrev_u32_e32 v6, 28, v13
	v_lshlrev_b64 v[6:7], v6, v[9:10]
	v_lshrrev_b32_e32 v4, 3, v16
	v_cmp_gt_u32_e32 vcc, 8, v16
	v_sub_u32_e32 v7, 29, v13
	v_and_b32_e32 v6, 7, v6
	v_cndmask_b32_e32 v4, v4, v7, vcc
	v_cndmask_b32_e32 v3, v3, v6, vcc
	v_lshlrev_b32_e32 v6, 24, v9
	v_lshlrev_b32_e32 v3, 20, v3
	v_and_b32_e32 v6, 0x80000000, v6
	v_lshl_add_u32 v4, v4, 23, v48
	v_or3_b32 v13, v6, v4, v3
.LBB2_5591:                             ;   in Loop: Header=BB2_4992 Depth=3
	s_or_b64 exec, exec, s[46:47]
.LBB2_5592:                             ;   in Loop: Header=BB2_4992 Depth=3
	s_or_b64 exec, exec, s[42:43]
.LBB2_5593:                             ;   in Loop: Header=BB2_4992 Depth=3
	s_or_b64 exec, exec, s[44:45]
	v_cmp_gt_i16_sdwa s[44:45], v8, s97 src0_sel:BYTE_0 src1_sel:DWORD
	s_mov_b64 s[42:43], 0
	s_and_saveexec_b64 s[46:47], s[44:45]
	s_xor_b64 s[44:45], exec, s[46:47]
	s_cbranch_execz .LBB2_5694
; %bb.5594:                             ;   in Loop: Header=BB2_4992 Depth=3
	v_cmp_eq_u16_sdwa vcc, v8, s59 src0_sel:BYTE_0 src1_sel:DWORD
	s_mov_b64 s[42:43], -1
	s_and_saveexec_b64 s[46:47], vcc
; %bb.5595:                             ;   in Loop: Header=BB2_4992 Depth=3
	s_xor_b64 s[42:43], exec, -1
; %bb.5596:                             ;   in Loop: Header=BB2_4992 Depth=3
	s_or_b64 exec, exec, s[46:47]
	s_and_b64 s[42:43], s[42:43], exec
                                        ; implicit-def: $vgpr8
	s_or_saveexec_b64 s[44:45], s[44:45]
	v_bfrev_b32_e32 v9, 1
	s_xor_b64 exec, exec, s[44:45]
	s_cbranch_execnz .LBB2_5695
.LBB2_5597:                             ;   in Loop: Header=BB2_4992 Depth=3
	s_or_b64 exec, exec, s[44:45]
	s_and_saveexec_b64 s[44:45], s[42:43]
.LBB2_5598:                             ;   in Loop: Header=BB2_4992 Depth=3
	v_cndmask_b32_e64 v9, v12, v49, s[40:41]
.LBB2_5599:                             ;   in Loop: Header=BB2_4992 Depth=3
	s_or_b64 exec, exec, s[44:45]
	v_max_f32_e32 v3, v9, v9
	v_max_f32_e32 v4, v13, v13
	v_min_f32_e32 v13, v4, v3
.LBB2_5600:                             ;   in Loop: Header=BB2_4992 Depth=3
	v_and_b32_e32 v34, 0x7f800000, v13
	v_cmp_ne_u64_e32 vcc, s[90:91], v[34:35]
                                        ; implicit-def: $vgpr12
	s_and_saveexec_b64 s[40:41], vcc
	s_xor_b64 s[42:43], exec, s[40:41]
	s_cbranch_execz .LBB2_5614
; %bb.5601:                             ;   in Loop: Header=BB2_4992 Depth=3
	v_and_b32_e32 v34, 0x7fffffff, v13
	v_cmp_gt_u64_e32 vcc, s[92:93], v[34:35]
	v_and_b32_sdwa v57, v13, s59 dst_sel:DWORD dst_unused:UNUSED_PAD src0_sel:BYTE_3 src1_sel:DWORD
                                        ; implicit-def: $vgpr12
	s_and_saveexec_b64 s[40:41], vcc
	s_xor_b64 s[44:45], exec, s[40:41]
	s_cbranch_execz .LBB2_5611
; %bb.5602:                             ;   in Loop: Header=BB2_4992 Depth=3
	v_mov_b32_e32 v12, 0
	v_cmp_ne_u32_e32 vcc, 0, v13
	s_and_saveexec_b64 s[46:47], vcc
	s_cbranch_execz .LBB2_5610
; %bb.5603:                             ;   in Loop: Header=BB2_4992 Depth=3
	v_bfe_u32 v58, v13, 23, 8
	v_cmp_gt_u32_e64 s[40:41], s56, v58
	v_sub_u32_e32 v4, 0x79, v58
	v_and_b32_e32 v3, 0x7fffff, v13
	v_cmp_eq_u32_e32 vcc, 0, v58
	v_cndmask_b32_e64 v4, 0, v4, s[40:41]
	v_mov_b32_e32 v7, 0x78
	v_or_b32_e32 v6, 0x800000, v3
	v_cndmask_b32_e32 v16, v4, v7, vcc
	v_cndmask_b32_e32 v34, v6, v3, vcc
	v_add_u32_e32 v3, 20, v16
	v_lshlrev_b64 v[6:7], v3, -1
	v_add_u32_e32 v3, 19, v16
	v_lshlrev_b64 v[8:9], v3, 1
	v_bfi_b32 v7, v7, 0, 0
	v_bfi_b32 v6, v6, 0, v34
	v_cmp_eq_u64_e64 s[40:41], v[6:7], v[8:9]
	v_lshrrev_b64 v[8:9], v16, v[34:35]
	v_mov_b32_e32 v13, v9
	v_mov_b32_e32 v12, v8
	s_and_saveexec_b64 s[54:55], s[40:41]
; %bb.5604:                             ;   in Loop: Header=BB2_4992 Depth=3
	v_bfe_u32 v3, v8, 20, 1
	v_add_co_u32_e64 v3, s[40:41], v8, v3
	v_add_co_u32_e64 v12, s[40:41], -1, v3
; %bb.5605:                             ;   in Loop: Header=BB2_4992 Depth=3
	s_or_b64 exec, exec, s[54:55]
	v_add_u32_e32 v3, 0xffffff81, v58
	v_cndmask_b32_e32 v3, v3, v52, vcc
	v_lshrrev_b32_e32 v4, 23, v8
	v_add3_u32 v16, v16, v3, v4
	v_add_u32_e32 v13, 6, v16
	v_and_b32_e32 v3, 0xfffff, v12
	v_add_u32_e32 v34, v3, v8
	v_cmp_ne_u32_e32 vcc, 0, v13
                                        ; implicit-def: $vgpr8_vgpr9
                                        ; implicit-def: $vgpr12
	s_and_saveexec_b64 s[40:41], vcc
	s_xor_b64 s[40:41], exec, s[40:41]
; %bb.5606:                             ;   in Loop: Header=BB2_4992 Depth=3
	v_cmp_lt_u64_e32 vcc, s[94:95], v[34:35]
	v_add_u32_e32 v3, 7, v16
	v_cndmask_b32_e32 v12, v13, v3, vcc
	v_cndmask_b32_e64 v3, 0, 1, vcc
	v_lshrrev_b64 v[8:9], v3, v[34:35]
; %bb.5607:                             ;   in Loop: Header=BB2_4992 Depth=3
	s_andn2_saveexec_b64 s[40:41], s[40:41]
; %bb.5608:                             ;   in Loop: Header=BB2_4992 Depth=3
	v_mov_b32_e32 v8, v34
	v_bfe_u32 v12, v34, 23, 1
	v_mov_b32_e32 v9, v35
; %bb.5609:                             ;   in Loop: Header=BB2_4992 Depth=3
	s_or_b64 exec, exec, s[40:41]
	v_lshrrev_b64 v[6:7], 20, v[8:9]
	v_cmp_gt_i32_e32 vcc, 16, v12
	v_cndmask_b32_e32 v7, 0, v7, vcc
	v_cndmask_b32_e32 v6, 7, v6, vcc
	v_min_i32_e32 v3, 15, v12
	v_cmp_eq_u64_e64 s[40:41], 0, v[6:7]
	v_lshlrev_b32_e32 v3, 3, v3
	v_cmp_eq_u32_e32 vcc, 0, v12
	v_and_b32_e32 v3, 0xf8, v3
	v_and_or_b32 v3, v6, 7, v3
	s_and_b64 s[40:41], vcc, s[40:41]
	v_cndmask_b32_e64 v3, v3, 0, s[40:41]
	v_or_b32_e32 v12, v3, v57
.LBB2_5610:                             ;   in Loop: Header=BB2_4992 Depth=3
	s_or_b64 exec, exec, s[46:47]
                                        ; implicit-def: $vgpr57
.LBB2_5611:                             ;   in Loop: Header=BB2_4992 Depth=3
	s_andn2_saveexec_b64 s[40:41], s[44:45]
; %bb.5612:                             ;   in Loop: Header=BB2_4992 Depth=3
	v_or_b32_e32 v12, 0x7e, v57
; %bb.5613:                             ;   in Loop: Header=BB2_4992 Depth=3
	s_or_b64 exec, exec, s[40:41]
                                        ; implicit-def: $vgpr13
.LBB2_5614:                             ;   in Loop: Header=BB2_4992 Depth=3
	s_andn2_saveexec_b64 s[40:41], s[42:43]
; %bb.5615:                             ;   in Loop: Header=BB2_4992 Depth=3
	v_or_b32_sdwa v12, v13, s97 dst_sel:DWORD dst_unused:UNUSED_PAD src0_sel:BYTE_3 src1_sel:DWORD
; %bb.5616:                             ;   in Loop: Header=BB2_4992 Depth=3
	s_or_b64 exec, exec, s[40:41]
	v_bfe_u32 v3, v15, 24, 3
	v_bfe_u32 v4, v15, 24, 7
	v_cmp_eq_u32_e64 s[44:45], s97, v4
	v_cmp_gt_u32_e32 vcc, 8, v4
	v_ffbh_u32_e32 v4, v3
	v_min_u32_e32 v4, 32, v4
	v_lshrrev_b32_e32 v6, 24, v15
	v_subrev_u32_e32 v7, 28, v4
	v_bfe_u32 v9, v6, 3, 4
	v_cmp_eq_u32_e64 s[42:43], s59, v6
	v_lshlrev_b64 v[6:7], v7, v[6:7]
	v_sub_u32_e32 v4, 29, v4
	v_and_b32_e32 v6, 7, v6
	v_cndmask_b32_e32 v4, v9, v4, vcc
	v_cndmask_b32_e32 v3, v3, v6, vcc
	v_cmp_gt_u64_e64 s[40:41], s[60:61], v[14:15]
	v_lshlrev_b32_e32 v3, 20, v3
	v_and_b32_e32 v6, 0x80000000, v15
	v_lshl_add_u32 v4, v4, 23, v48
	v_cmp_lt_u64_e64 s[46:47], s[62:63], v[10:11]
	v_lshrrev_b32_e32 v8, 24, v11
	v_or3_b32 v9, v6, v4, v3
	s_mov_b64 s[54:55], -1
	s_and_b64 vcc, exec, s[52:53]
                                        ; implicit-def: $vgpr10
	s_cbranch_vccz .LBB2_5624
; %bb.5617:                             ;   in Loop: Header=BB2_4992 Depth=3
	v_mov_b32_e32 v10, 0
	s_and_saveexec_b64 s[54:55], s[46:47]
	s_cbranch_execz .LBB2_5623
; %bb.5618:                             ;   in Loop: Header=BB2_4992 Depth=3
	v_cmp_ne_u32_e32 vcc, s59, v8
	v_bfrev_b32_e32 v10, 1
	s_and_saveexec_b64 s[64:65], vcc
	s_cbranch_execz .LBB2_5622
; %bb.5619:                             ;   in Loop: Header=BB2_4992 Depth=3
	v_bfe_u32 v13, v11, 24, 7
	v_cmp_ne_u32_e32 vcc, s97, v13
	v_mov_b32_e32 v10, 0x7f800001
	s_and_saveexec_b64 s[66:67], vcc
	s_cbranch_execz .LBB2_5621
; %bb.5620:                             ;   in Loop: Header=BB2_4992 Depth=3
	v_and_b32_e32 v3, 7, v8
	v_ffbh_u32_e32 v6, v3
	v_min_u32_e32 v10, 32, v6
	v_subrev_u32_e32 v6, 28, v10
	v_lshlrev_b64 v[6:7], v6, v[8:9]
	v_lshrrev_b32_e32 v4, 3, v13
	v_cmp_gt_u32_e32 vcc, 8, v13
	v_sub_u32_e32 v7, 29, v10
	v_and_b32_e32 v6, 7, v6
	v_cndmask_b32_e32 v4, v4, v7, vcc
	v_cndmask_b32_e32 v3, v3, v6, vcc
	v_lshlrev_b32_e32 v6, 24, v8
	v_lshlrev_b32_e32 v3, 20, v3
	v_and_b32_e32 v6, 0x80000000, v6
	v_lshl_add_u32 v4, v4, 23, v48
	v_or3_b32 v10, v6, v4, v3
.LBB2_5621:                             ;   in Loop: Header=BB2_4992 Depth=3
	s_or_b64 exec, exec, s[66:67]
.LBB2_5622:                             ;   in Loop: Header=BB2_4992 Depth=3
	s_or_b64 exec, exec, s[64:65]
.LBB2_5623:                             ;   in Loop: Header=BB2_4992 Depth=3
	s_or_b64 exec, exec, s[54:55]
	v_cndmask_b32_e64 v3, v9, v49, s[44:45]
	v_cndmask_b32_e64 v3, v3, v0, s[42:43]
	;; [unrolled: 1-line block ×3, first 2 shown]
	v_max_f32_e32 v3, v3, v3
	v_max_f32_e32 v4, v10, v10
	;; [unrolled: 1-line block ×3, first 2 shown]
	s_mov_b64 s[54:55], 0
.LBB2_5624:                             ;   in Loop: Header=BB2_4992 Depth=3
	s_and_b64 vcc, exec, s[54:55]
	s_cbranch_vccz .LBB2_5632
; %bb.5625:                             ;   in Loop: Header=BB2_4992 Depth=3
	v_mov_b32_e32 v10, 0
	s_and_saveexec_b64 s[54:55], s[46:47]
	s_cbranch_execz .LBB2_5631
; %bb.5626:                             ;   in Loop: Header=BB2_4992 Depth=3
	v_cmp_ne_u32_e32 vcc, s59, v8
	v_bfrev_b32_e32 v10, 1
	s_and_saveexec_b64 s[46:47], vcc
	s_cbranch_execz .LBB2_5630
; %bb.5627:                             ;   in Loop: Header=BB2_4992 Depth=3
	v_bfe_u32 v11, v11, 24, 7
	v_cmp_ne_u32_e32 vcc, s97, v11
	v_mov_b32_e32 v10, 0x7f800001
	s_and_saveexec_b64 s[64:65], vcc
	s_cbranch_execz .LBB2_5629
; %bb.5628:                             ;   in Loop: Header=BB2_4992 Depth=3
	v_and_b32_e32 v3, 7, v8
	v_ffbh_u32_e32 v6, v3
	v_min_u32_e32 v10, 32, v6
	v_subrev_u32_e32 v6, 28, v10
	v_lshlrev_b64 v[6:7], v6, v[8:9]
	v_lshrrev_b32_e32 v4, 3, v11
	v_cmp_gt_u32_e32 vcc, 8, v11
	v_sub_u32_e32 v7, 29, v10
	v_and_b32_e32 v6, 7, v6
	v_cndmask_b32_e32 v4, v4, v7, vcc
	v_cndmask_b32_e32 v3, v3, v6, vcc
	v_lshlrev_b32_e32 v6, 24, v8
	v_lshlrev_b32_e32 v3, 20, v3
	v_and_b32_e32 v6, 0x80000000, v6
	v_lshl_add_u32 v4, v4, 23, v48
	v_or3_b32 v10, v6, v4, v3
.LBB2_5629:                             ;   in Loop: Header=BB2_4992 Depth=3
	s_or_b64 exec, exec, s[64:65]
.LBB2_5630:                             ;   in Loop: Header=BB2_4992 Depth=3
	s_or_b64 exec, exec, s[46:47]
.LBB2_5631:                             ;   in Loop: Header=BB2_4992 Depth=3
	s_or_b64 exec, exec, s[54:55]
	v_cndmask_b32_e64 v3, v9, v49, s[44:45]
	v_cndmask_b32_e64 v3, v3, v0, s[42:43]
	;; [unrolled: 1-line block ×3, first 2 shown]
	v_max_f32_e32 v3, v3, v3
	v_max_f32_e32 v4, v10, v10
	v_min_f32_e32 v10, v4, v3
.LBB2_5632:                             ;   in Loop: Header=BB2_4992 Depth=3
	v_and_b32_e32 v34, 0x7f800000, v10
	v_cmp_ne_u64_e32 vcc, s[90:91], v[34:35]
                                        ; implicit-def: $vgpr8
	s_and_saveexec_b64 s[40:41], vcc
	s_xor_b64 s[42:43], exec, s[40:41]
	s_cbranch_execz .LBB2_5646
; %bb.5633:                             ;   in Loop: Header=BB2_4992 Depth=3
	v_and_b32_e32 v34, 0x7fffffff, v10
	v_cmp_gt_u64_e32 vcc, s[92:93], v[34:35]
	v_and_b32_sdwa v11, v10, s59 dst_sel:DWORD dst_unused:UNUSED_PAD src0_sel:BYTE_3 src1_sel:DWORD
                                        ; implicit-def: $vgpr8
	s_and_saveexec_b64 s[40:41], vcc
	s_xor_b64 s[44:45], exec, s[40:41]
	s_cbranch_execz .LBB2_5643
; %bb.5634:                             ;   in Loop: Header=BB2_4992 Depth=3
	v_mov_b32_e32 v8, 0
	v_cmp_ne_u32_e32 vcc, 0, v10
	s_and_saveexec_b64 s[46:47], vcc
	s_cbranch_execz .LBB2_5642
; %bb.5635:                             ;   in Loop: Header=BB2_4992 Depth=3
	v_bfe_u32 v13, v10, 23, 8
	v_cmp_gt_u32_e64 s[40:41], s56, v13
	v_sub_u32_e32 v4, 0x79, v13
	v_and_b32_e32 v3, 0x7fffff, v10
	v_cmp_eq_u32_e32 vcc, 0, v13
	v_cndmask_b32_e64 v4, 0, v4, s[40:41]
	v_mov_b32_e32 v7, 0x78
	v_or_b32_e32 v6, 0x800000, v3
	v_cndmask_b32_e32 v14, v4, v7, vcc
	v_cndmask_b32_e32 v34, v6, v3, vcc
	v_add_u32_e32 v3, 20, v14
	v_lshlrev_b64 v[6:7], v3, -1
	v_add_u32_e32 v3, 19, v14
	v_lshlrev_b64 v[8:9], v3, 1
	v_bfi_b32 v7, v7, 0, 0
	v_bfi_b32 v6, v6, 0, v34
	v_cmp_eq_u64_e64 s[40:41], v[6:7], v[8:9]
	v_lshrrev_b64 v[8:9], v14, v[34:35]
	v_mov_b32_e32 v10, v9
	v_mov_b32_e32 v9, v8
	s_and_saveexec_b64 s[54:55], s[40:41]
; %bb.5636:                             ;   in Loop: Header=BB2_4992 Depth=3
	v_bfe_u32 v3, v8, 20, 1
	v_add_co_u32_e64 v3, s[40:41], v8, v3
	v_add_co_u32_e64 v9, s[40:41], -1, v3
; %bb.5637:                             ;   in Loop: Header=BB2_4992 Depth=3
	s_or_b64 exec, exec, s[54:55]
	v_add_u32_e32 v3, 0xffffff81, v13
	v_cndmask_b32_e32 v3, v3, v52, vcc
	v_lshrrev_b32_e32 v4, 23, v8
	v_add3_u32 v14, v14, v3, v4
	v_add_u32_e32 v13, 6, v14
	v_and_b32_e32 v3, 0xfffff, v9
	v_add_u32_e32 v34, v3, v8
	v_cmp_ne_u32_e32 vcc, 0, v13
                                        ; implicit-def: $vgpr8_vgpr9
                                        ; implicit-def: $vgpr10
	s_and_saveexec_b64 s[40:41], vcc
	s_xor_b64 s[40:41], exec, s[40:41]
; %bb.5638:                             ;   in Loop: Header=BB2_4992 Depth=3
	v_cmp_lt_u64_e32 vcc, s[94:95], v[34:35]
	v_add_u32_e32 v3, 7, v14
	v_cndmask_b32_e32 v10, v13, v3, vcc
	v_cndmask_b32_e64 v3, 0, 1, vcc
	v_lshrrev_b64 v[8:9], v3, v[34:35]
; %bb.5639:                             ;   in Loop: Header=BB2_4992 Depth=3
	s_andn2_saveexec_b64 s[40:41], s[40:41]
; %bb.5640:                             ;   in Loop: Header=BB2_4992 Depth=3
	v_mov_b32_e32 v8, v34
	v_bfe_u32 v10, v34, 23, 1
	v_mov_b32_e32 v9, v35
; %bb.5641:                             ;   in Loop: Header=BB2_4992 Depth=3
	s_or_b64 exec, exec, s[40:41]
	v_lshrrev_b64 v[6:7], 20, v[8:9]
	v_cmp_gt_i32_e32 vcc, 16, v10
	v_cndmask_b32_e32 v7, 0, v7, vcc
	v_cndmask_b32_e32 v6, 7, v6, vcc
	v_min_i32_e32 v3, 15, v10
	v_cmp_eq_u64_e64 s[40:41], 0, v[6:7]
	v_lshlrev_b32_e32 v3, 3, v3
	v_cmp_eq_u32_e32 vcc, 0, v10
	v_and_b32_e32 v3, 0xf8, v3
	v_and_or_b32 v3, v6, 7, v3
	s_and_b64 s[40:41], vcc, s[40:41]
	v_cndmask_b32_e64 v3, v3, 0, s[40:41]
	v_or_b32_e32 v8, v3, v11
.LBB2_5642:                             ;   in Loop: Header=BB2_4992 Depth=3
	s_or_b64 exec, exec, s[46:47]
                                        ; implicit-def: $vgpr11
.LBB2_5643:                             ;   in Loop: Header=BB2_4992 Depth=3
	s_andn2_saveexec_b64 s[40:41], s[44:45]
; %bb.5644:                             ;   in Loop: Header=BB2_4992 Depth=3
	v_or_b32_e32 v8, 0x7e, v11
; %bb.5645:                             ;   in Loop: Header=BB2_4992 Depth=3
	s_or_b64 exec, exec, s[40:41]
                                        ; implicit-def: $vgpr10
.LBB2_5646:                             ;   in Loop: Header=BB2_4992 Depth=3
	s_andn2_saveexec_b64 s[40:41], s[42:43]
	s_cbranch_execz .LBB2_4991
; %bb.5647:                             ;   in Loop: Header=BB2_4992 Depth=3
	v_or_b32_sdwa v8, v10, s97 dst_sel:DWORD dst_unused:UNUSED_PAD src0_sel:BYTE_3 src1_sel:DWORD
	s_branch .LBB2_4991
.LBB2_5648:                             ;   in Loop: Header=BB2_4992 Depth=3
	s_or_saveexec_b64 s[46:47], s[46:47]
	v_bfrev_b32_e32 v16, 1
	s_xor_b64 exec, exec, s[46:47]
	s_cbranch_execz .LBB2_5003
.LBB2_5649:                             ;   in Loop: Header=BB2_4992 Depth=3
	v_cmp_ne_u16_sdwa vcc, v12, v35 src0_sel:BYTE_0 src1_sel:DWORD
	s_andn2_b64 s[44:45], s[44:45], exec
	s_and_b64 vcc, vcc, exec
	v_mov_b32_e32 v16, 0
	s_or_b64 s[44:45], s[44:45], vcc
	s_or_b64 exec, exec, s[46:47]
	s_and_saveexec_b64 s[46:47], s[44:45]
	s_cbranch_execnz .LBB2_5004
	s_branch .LBB2_5005
.LBB2_5650:                             ;   in Loop: Header=BB2_4992 Depth=3
	s_or_saveexec_b64 s[44:45], s[44:45]
	v_bfrev_b32_e32 v16, 1
	s_xor_b64 exec, exec, s[44:45]
	s_cbranch_execz .LBB2_5017
.LBB2_5651:                             ;   in Loop: Header=BB2_4992 Depth=3
	v_cmp_ne_u16_sdwa s[46:47], v12, v35 src0_sel:BYTE_0 src1_sel:DWORD
	s_andn2_b64 s[42:43], s[42:43], exec
	s_and_b64 s[46:47], s[46:47], exec
	v_mov_b32_e32 v16, 0
	s_or_b64 s[42:43], s[42:43], s[46:47]
	s_or_b64 exec, exec, s[44:45]
	s_and_saveexec_b64 s[44:45], s[42:43]
	s_cbranch_execnz .LBB2_5018
	s_branch .LBB2_5019
.LBB2_5652:                             ;   in Loop: Header=BB2_4992 Depth=3
	s_or_saveexec_b64 s[46:47], s[46:47]
	v_bfrev_b32_e32 v16, 1
	s_xor_b64 exec, exec, s[46:47]
	s_cbranch_execz .LBB2_5047
.LBB2_5653:                             ;   in Loop: Header=BB2_4992 Depth=3
	v_cmp_ne_u16_e32 vcc, 0, v34
	s_andn2_b64 s[44:45], s[44:45], exec
	s_and_b64 vcc, vcc, exec
	v_mov_b32_e32 v16, 0
	s_or_b64 s[44:45], s[44:45], vcc
	s_or_b64 exec, exec, s[46:47]
	s_and_saveexec_b64 s[46:47], s[44:45]
	s_cbranch_execnz .LBB2_5048
	s_branch .LBB2_5049
.LBB2_5654:                             ;   in Loop: Header=BB2_4992 Depth=3
	s_or_saveexec_b64 s[44:45], s[44:45]
	v_bfrev_b32_e32 v16, 1
	s_xor_b64 exec, exec, s[44:45]
	s_cbranch_execz .LBB2_5061
.LBB2_5655:                             ;   in Loop: Header=BB2_4992 Depth=3
	v_cmp_ne_u16_e32 vcc, 0, v34
	s_andn2_b64 s[42:43], s[42:43], exec
	s_and_b64 s[46:47], vcc, exec
	v_mov_b32_e32 v16, 0
	s_or_b64 s[42:43], s[42:43], s[46:47]
	s_or_b64 exec, exec, s[44:45]
	s_and_saveexec_b64 s[44:45], s[42:43]
	s_cbranch_execnz .LBB2_5062
	s_branch .LBB2_5063
.LBB2_5656:                             ;   in Loop: Header=BB2_4992 Depth=3
	s_or_saveexec_b64 s[46:47], s[46:47]
	v_bfrev_b32_e32 v16, 1
	s_xor_b64 exec, exec, s[46:47]
	s_cbranch_execz .LBB2_5091
.LBB2_5657:                             ;   in Loop: Header=BB2_4992 Depth=3
	v_cmp_ne_u16_sdwa vcc, v30, v35 src0_sel:BYTE_0 src1_sel:DWORD
	s_andn2_b64 s[44:45], s[44:45], exec
	s_and_b64 vcc, vcc, exec
	v_mov_b32_e32 v16, 0
	s_or_b64 s[44:45], s[44:45], vcc
	s_or_b64 exec, exec, s[46:47]
	s_and_saveexec_b64 s[46:47], s[44:45]
	s_cbranch_execnz .LBB2_5092
	s_branch .LBB2_5093
.LBB2_5658:                             ;   in Loop: Header=BB2_4992 Depth=3
	s_or_saveexec_b64 s[44:45], s[44:45]
	v_bfrev_b32_e32 v16, 1
	s_xor_b64 exec, exec, s[44:45]
	s_cbranch_execz .LBB2_5105
.LBB2_5659:                             ;   in Loop: Header=BB2_4992 Depth=3
	v_cmp_ne_u16_sdwa s[46:47], v30, v35 src0_sel:BYTE_0 src1_sel:DWORD
	s_andn2_b64 s[42:43], s[42:43], exec
	s_and_b64 s[46:47], s[46:47], exec
	v_mov_b32_e32 v16, 0
	s_or_b64 s[42:43], s[42:43], s[46:47]
	s_or_b64 exec, exec, s[44:45]
	s_and_saveexec_b64 s[44:45], s[42:43]
	s_cbranch_execnz .LBB2_5106
	s_branch .LBB2_5107
.LBB2_5660:                             ;   in Loop: Header=BB2_4992 Depth=3
	s_or_saveexec_b64 s[46:47], s[46:47]
	v_bfrev_b32_e32 v16, 1
	s_xor_b64 exec, exec, s[46:47]
	s_cbranch_execz .LBB2_5167
.LBB2_5661:                             ;   in Loop: Header=BB2_4992 Depth=3
	v_cmp_ne_u16_sdwa vcc, v13, v35 src0_sel:BYTE_0 src1_sel:DWORD
	s_andn2_b64 s[44:45], s[44:45], exec
	s_and_b64 vcc, vcc, exec
	v_mov_b32_e32 v16, 0
	s_or_b64 s[44:45], s[44:45], vcc
	s_or_b64 exec, exec, s[46:47]
	s_and_saveexec_b64 s[46:47], s[44:45]
	s_cbranch_execnz .LBB2_5168
	s_branch .LBB2_5169
.LBB2_5662:                             ;   in Loop: Header=BB2_4992 Depth=3
	s_or_saveexec_b64 s[44:45], s[44:45]
	v_bfrev_b32_e32 v16, 1
	s_xor_b64 exec, exec, s[44:45]
	s_cbranch_execz .LBB2_5181
.LBB2_5663:                             ;   in Loop: Header=BB2_4992 Depth=3
	v_cmp_ne_u16_sdwa s[46:47], v13, v35 src0_sel:BYTE_0 src1_sel:DWORD
	s_andn2_b64 s[42:43], s[42:43], exec
	s_and_b64 s[46:47], s[46:47], exec
	v_mov_b32_e32 v16, 0
	s_or_b64 s[42:43], s[42:43], s[46:47]
	s_or_b64 exec, exec, s[44:45]
	s_and_saveexec_b64 s[44:45], s[42:43]
	s_cbranch_execnz .LBB2_5182
	s_branch .LBB2_5183
.LBB2_5664:                             ;   in Loop: Header=BB2_4992 Depth=3
	s_or_saveexec_b64 s[46:47], s[46:47]
	v_bfrev_b32_e32 v16, 1
	s_xor_b64 exec, exec, s[46:47]
	s_cbranch_execz .LBB2_5211
.LBB2_5665:                             ;   in Loop: Header=BB2_4992 Depth=3
	v_cmp_ne_u16_e32 vcc, 0, v34
	s_andn2_b64 s[44:45], s[44:45], exec
	s_and_b64 vcc, vcc, exec
	v_mov_b32_e32 v16, 0
	s_or_b64 s[44:45], s[44:45], vcc
	s_or_b64 exec, exec, s[46:47]
	s_and_saveexec_b64 s[46:47], s[44:45]
	s_cbranch_execnz .LBB2_5212
	s_branch .LBB2_5213
.LBB2_5666:                             ;   in Loop: Header=BB2_4992 Depth=3
	s_or_saveexec_b64 s[44:45], s[44:45]
	v_bfrev_b32_e32 v16, 1
	s_xor_b64 exec, exec, s[44:45]
	s_cbranch_execz .LBB2_5225
.LBB2_5667:                             ;   in Loop: Header=BB2_4992 Depth=3
	v_cmp_ne_u16_e32 vcc, 0, v34
	s_andn2_b64 s[42:43], s[42:43], exec
	s_and_b64 s[46:47], vcc, exec
	v_mov_b32_e32 v16, 0
	s_or_b64 s[42:43], s[42:43], s[46:47]
	s_or_b64 exec, exec, s[44:45]
	s_and_saveexec_b64 s[44:45], s[42:43]
	s_cbranch_execnz .LBB2_5226
	s_branch .LBB2_5227
.LBB2_5668:                             ;   in Loop: Header=BB2_4992 Depth=3
	s_or_saveexec_b64 s[46:47], s[46:47]
	v_bfrev_b32_e32 v16, 1
	s_xor_b64 exec, exec, s[46:47]
	s_cbranch_execz .LBB2_5255
.LBB2_5669:                             ;   in Loop: Header=BB2_4992 Depth=3
	v_cmp_ne_u16_sdwa vcc, v30, v35 src0_sel:BYTE_0 src1_sel:DWORD
	s_andn2_b64 s[44:45], s[44:45], exec
	s_and_b64 vcc, vcc, exec
	v_mov_b32_e32 v16, 0
	s_or_b64 s[44:45], s[44:45], vcc
	s_or_b64 exec, exec, s[46:47]
	s_and_saveexec_b64 s[46:47], s[44:45]
	s_cbranch_execnz .LBB2_5256
	s_branch .LBB2_5257
.LBB2_5670:                             ;   in Loop: Header=BB2_4992 Depth=3
	s_or_saveexec_b64 s[44:45], s[44:45]
	v_bfrev_b32_e32 v16, 1
	s_xor_b64 exec, exec, s[44:45]
	s_cbranch_execz .LBB2_5269
.LBB2_5671:                             ;   in Loop: Header=BB2_4992 Depth=3
	v_cmp_ne_u16_sdwa s[46:47], v30, v35 src0_sel:BYTE_0 src1_sel:DWORD
	s_andn2_b64 s[42:43], s[42:43], exec
	s_and_b64 s[46:47], s[46:47], exec
	v_mov_b32_e32 v16, 0
	s_or_b64 s[42:43], s[42:43], s[46:47]
	s_or_b64 exec, exec, s[44:45]
	s_and_saveexec_b64 s[44:45], s[42:43]
	s_cbranch_execnz .LBB2_5270
	s_branch .LBB2_5271
.LBB2_5672:                             ;   in Loop: Header=BB2_4992 Depth=3
	s_or_saveexec_b64 s[46:47], s[46:47]
	v_bfrev_b32_e32 v9, 1
	s_xor_b64 exec, exec, s[46:47]
	s_cbranch_execz .LBB2_5331
.LBB2_5673:                             ;   in Loop: Header=BB2_4992 Depth=3
	v_cmp_ne_u16_sdwa vcc, v14, v35 src0_sel:BYTE_0 src1_sel:DWORD
	s_andn2_b64 s[44:45], s[44:45], exec
	s_and_b64 vcc, vcc, exec
	v_mov_b32_e32 v9, 0
	s_or_b64 s[44:45], s[44:45], vcc
	s_or_b64 exec, exec, s[46:47]
	s_and_saveexec_b64 s[46:47], s[44:45]
	s_cbranch_execnz .LBB2_5332
	s_branch .LBB2_5333
.LBB2_5674:                             ;   in Loop: Header=BB2_4992 Depth=3
	s_or_saveexec_b64 s[44:45], s[44:45]
	v_bfrev_b32_e32 v9, 1
	s_xor_b64 exec, exec, s[44:45]
	s_cbranch_execz .LBB2_5345
.LBB2_5675:                             ;   in Loop: Header=BB2_4992 Depth=3
	v_cmp_ne_u16_sdwa s[46:47], v14, v35 src0_sel:BYTE_0 src1_sel:DWORD
	s_andn2_b64 s[42:43], s[42:43], exec
	s_and_b64 s[46:47], s[46:47], exec
	v_mov_b32_e32 v9, 0
	s_or_b64 s[42:43], s[42:43], s[46:47]
	s_or_b64 exec, exec, s[44:45]
	s_and_saveexec_b64 s[44:45], s[42:43]
	s_cbranch_execnz .LBB2_5346
	s_branch .LBB2_5347
.LBB2_5676:                             ;   in Loop: Header=BB2_4992 Depth=3
	s_or_saveexec_b64 s[46:47], s[46:47]
	v_bfrev_b32_e32 v12, 1
	s_xor_b64 exec, exec, s[46:47]
	s_cbranch_execz .LBB2_5375
.LBB2_5677:                             ;   in Loop: Header=BB2_4992 Depth=3
	v_cmp_ne_u16_e32 vcc, 0, v34
	s_andn2_b64 s[44:45], s[44:45], exec
	s_and_b64 vcc, vcc, exec
	v_mov_b32_e32 v12, 0
	s_or_b64 s[44:45], s[44:45], vcc
	s_or_b64 exec, exec, s[46:47]
	s_and_saveexec_b64 s[46:47], s[44:45]
	s_cbranch_execnz .LBB2_5376
	s_branch .LBB2_5377
.LBB2_5678:                             ;   in Loop: Header=BB2_4992 Depth=3
	s_or_saveexec_b64 s[44:45], s[44:45]
	v_bfrev_b32_e32 v8, 1
	s_xor_b64 exec, exec, s[44:45]
	s_cbranch_execz .LBB2_5389
.LBB2_5679:                             ;   in Loop: Header=BB2_4992 Depth=3
	v_cmp_ne_u16_e32 vcc, 0, v34
	s_andn2_b64 s[42:43], s[42:43], exec
	s_and_b64 s[46:47], vcc, exec
	v_mov_b32_e32 v8, 0
	s_or_b64 s[42:43], s[42:43], s[46:47]
	s_or_b64 exec, exec, s[44:45]
	s_and_saveexec_b64 s[44:45], s[42:43]
	s_cbranch_execnz .LBB2_5390
	s_branch .LBB2_5391
.LBB2_5680:                             ;   in Loop: Header=BB2_4992 Depth=3
	s_or_saveexec_b64 s[46:47], s[46:47]
	v_bfrev_b32_e32 v13, 1
	s_xor_b64 exec, exec, s[46:47]
	s_cbranch_execz .LBB2_5419
.LBB2_5681:                             ;   in Loop: Header=BB2_4992 Depth=3
	v_cmp_ne_u16_sdwa vcc, v8, v35 src0_sel:BYTE_0 src1_sel:DWORD
	s_andn2_b64 s[44:45], s[44:45], exec
	s_and_b64 vcc, vcc, exec
	v_mov_b32_e32 v13, 0
	s_or_b64 s[44:45], s[44:45], vcc
	s_or_b64 exec, exec, s[46:47]
	s_and_saveexec_b64 s[46:47], s[44:45]
	s_cbranch_execnz .LBB2_5420
	s_branch .LBB2_5421
.LBB2_5682:                             ;   in Loop: Header=BB2_4992 Depth=3
	s_or_saveexec_b64 s[44:45], s[44:45]
	v_bfrev_b32_e32 v9, 1
	s_xor_b64 exec, exec, s[44:45]
	s_cbranch_execz .LBB2_5433
.LBB2_5683:                             ;   in Loop: Header=BB2_4992 Depth=3
	v_cmp_ne_u16_sdwa s[46:47], v8, v35 src0_sel:BYTE_0 src1_sel:DWORD
	s_andn2_b64 s[42:43], s[42:43], exec
	s_and_b64 s[46:47], s[46:47], exec
	v_mov_b32_e32 v9, 0
	s_or_b64 s[42:43], s[42:43], s[46:47]
	s_or_b64 exec, exec, s[44:45]
	s_and_saveexec_b64 s[44:45], s[42:43]
	s_cbranch_execnz .LBB2_5434
	s_branch .LBB2_5435
.LBB2_5684:                             ;   in Loop: Header=BB2_4992 Depth=3
	s_or_saveexec_b64 s[46:47], s[46:47]
	v_bfrev_b32_e32 v13, 1
	s_xor_b64 exec, exec, s[46:47]
	s_cbranch_execz .LBB2_5495
.LBB2_5685:                             ;   in Loop: Header=BB2_4992 Depth=3
	v_cmp_ne_u16_sdwa vcc, v15, v35 src0_sel:BYTE_0 src1_sel:DWORD
	s_andn2_b64 s[44:45], s[44:45], exec
	s_and_b64 vcc, vcc, exec
	v_mov_b32_e32 v13, 0
	s_or_b64 s[44:45], s[44:45], vcc
	s_or_b64 exec, exec, s[46:47]
	s_and_saveexec_b64 s[46:47], s[44:45]
	s_cbranch_execnz .LBB2_5496
	s_branch .LBB2_5497
.LBB2_5686:                             ;   in Loop: Header=BB2_4992 Depth=3
	s_or_saveexec_b64 s[44:45], s[44:45]
	v_bfrev_b32_e32 v13, 1
	s_xor_b64 exec, exec, s[44:45]
	s_cbranch_execz .LBB2_5509
.LBB2_5687:                             ;   in Loop: Header=BB2_4992 Depth=3
	v_cmp_ne_u16_sdwa s[46:47], v15, v35 src0_sel:BYTE_0 src1_sel:DWORD
	s_andn2_b64 s[42:43], s[42:43], exec
	s_and_b64 s[46:47], s[46:47], exec
	v_mov_b32_e32 v13, 0
	s_or_b64 s[42:43], s[42:43], s[46:47]
	s_or_b64 exec, exec, s[44:45]
	s_and_saveexec_b64 s[44:45], s[42:43]
	s_cbranch_execnz .LBB2_5510
	s_branch .LBB2_5511
.LBB2_5688:                             ;   in Loop: Header=BB2_4992 Depth=3
	s_or_saveexec_b64 s[46:47], s[46:47]
	v_bfrev_b32_e32 v16, 1
	s_xor_b64 exec, exec, s[46:47]
	s_cbranch_execz .LBB2_5539
.LBB2_5689:                             ;   in Loop: Header=BB2_4992 Depth=3
	v_cmp_ne_u16_e32 vcc, 0, v8
	s_andn2_b64 s[44:45], s[44:45], exec
	s_and_b64 vcc, vcc, exec
	v_mov_b32_e32 v16, 0
	s_or_b64 s[44:45], s[44:45], vcc
	s_or_b64 exec, exec, s[46:47]
	s_and_saveexec_b64 s[46:47], s[44:45]
	s_cbranch_execnz .LBB2_5540
	s_branch .LBB2_5541
.LBB2_5690:                             ;   in Loop: Header=BB2_4992 Depth=3
	s_or_saveexec_b64 s[44:45], s[44:45]
	v_bfrev_b32_e32 v12, 1
	s_xor_b64 exec, exec, s[44:45]
	s_cbranch_execz .LBB2_5553
.LBB2_5691:                             ;   in Loop: Header=BB2_4992 Depth=3
	v_cmp_ne_u16_e32 vcc, 0, v8
	s_andn2_b64 s[42:43], s[42:43], exec
	s_and_b64 s[46:47], vcc, exec
	v_mov_b32_e32 v12, 0
	s_or_b64 s[42:43], s[42:43], s[46:47]
	s_or_b64 exec, exec, s[44:45]
	s_and_saveexec_b64 s[44:45], s[42:43]
	s_cbranch_execnz .LBB2_5554
	s_branch .LBB2_5555
.LBB2_5692:                             ;   in Loop: Header=BB2_4992 Depth=3
	s_or_saveexec_b64 s[46:47], s[46:47]
	v_bfrev_b32_e32 v16, 1
	s_xor_b64 exec, exec, s[46:47]
	s_cbranch_execz .LBB2_5583
.LBB2_5693:                             ;   in Loop: Header=BB2_4992 Depth=3
	v_cmp_ne_u16_sdwa vcc, v8, v35 src0_sel:BYTE_0 src1_sel:DWORD
	s_andn2_b64 s[44:45], s[44:45], exec
	s_and_b64 vcc, vcc, exec
	v_mov_b32_e32 v16, 0
	s_or_b64 s[44:45], s[44:45], vcc
	s_or_b64 exec, exec, s[46:47]
	s_and_saveexec_b64 s[46:47], s[44:45]
	s_cbranch_execnz .LBB2_5584
	s_branch .LBB2_5585
.LBB2_5694:                             ;   in Loop: Header=BB2_4992 Depth=3
	s_or_saveexec_b64 s[44:45], s[44:45]
	v_bfrev_b32_e32 v9, 1
	s_xor_b64 exec, exec, s[44:45]
	s_cbranch_execz .LBB2_5597
.LBB2_5695:                             ;   in Loop: Header=BB2_4992 Depth=3
	v_cmp_ne_u16_sdwa s[46:47], v8, v35 src0_sel:BYTE_0 src1_sel:DWORD
	s_andn2_b64 s[42:43], s[42:43], exec
	s_and_b64 s[46:47], s[46:47], exec
	v_mov_b32_e32 v9, 0
	s_or_b64 s[42:43], s[42:43], s[46:47]
	s_or_b64 exec, exec, s[44:45]
	s_and_saveexec_b64 s[44:45], s[42:43]
	s_cbranch_execnz .LBB2_5598
	s_branch .LBB2_5599
.LBB2_5696:                             ;   in Loop: Header=BB2_2331 Depth=2
	s_or_b64 exec, exec, s[50:51]
	v_sub_u32_e32 v7, v37, v38
.LBB2_5697:                             ;   in Loop: Header=BB2_2331 Depth=2
	s_or_b64 exec, exec, s[48:49]
	v_and_b32_e32 v1, 15, v37
	v_cmp_lt_i32_e32 vcc, 0, v26
	v_sub_u32_e32 v3, v7, v1
	v_cndmask_b32_e64 v7, v7, v1, s[28:29]
	v_cndmask_b32_e32 v1, 0, v17, vcc
	v_cndmask_b32_e64 v3, 0, v3, s[28:29]
	v_sub_u32_e32 v1, v1, v26
	v_cmp_ne_u32_e32 vcc, 0, v7
	v_add3_u32 v6, v38, v42, v3
	v_lshl_add_u32 v21, v1, 6, v43
	s_and_b64 s[40:41], vcc, exec
.LBB2_5698:                             ;   in Loop: Header=BB2_2331 Depth=2
	s_or_b64 exec, exec, s[38:39]
	s_and_saveexec_b64 s[44:45], s[40:41]
	s_cbranch_execz .LBB2_6139
.LBB2_5699:                             ;   in Loop: Header=BB2_2331 Depth=2
	s_waitcnt vmcnt(0)
	v_ashrrev_i32_e32 v1, 31, v21
	v_ashrrev_i32_e32 v3, 31, v7
	v_lshrrev_b32_e32 v1, 26, v1
	v_lshrrev_b32_e32 v3, 23, v3
	v_add_u32_e32 v1, v21, v1
	v_add_u32_e32 v3, v7, v3
	v_ashrrev_i32_e32 v16, 6, v1
	v_ashrrev_i32_e32 v27, 9, v3
	v_sub_u32_e32 v26, v27, v16
	v_cmp_lt_i32_e32 vcc, 0, v26
	s_and_saveexec_b64 s[42:43], vcc
	s_cbranch_execz .LBB2_6087
; %bb.5700:                             ;   in Loop: Header=BB2_2331 Depth=2
	s_trap 2
	ds_read_b64 v[10:11], v0
	buffer_load_dword v8, off, s[0:3], s33 offset:156 ; 4-byte Folded Reload
	buffer_load_dword v9, off, s[0:3], s33 offset:160 ; 4-byte Folded Reload
	;; [unrolled: 1-line block ×4, first 2 shown]
	v_and_b32_e32 v1, 0xffffffc0, v1
	v_sub_u32_e32 v1, v21, v1
	v_lshlrev_b32_e32 v3, 9, v16
	v_add3_u32 v1, v6, v1, v3
	v_ashrrev_i32_e32 v3, 31, v1
	s_bitcmp1_b32 s70, 0
	s_cselect_b64 s[46:47], -1, 0
	s_mov_b64 s[38:39], 0
	s_waitcnt vmcnt(0)
	v_add_co_u32_e32 v8, vcc, v1, v8
	v_addc_co_u32_e32 v9, vcc, v3, v9, vcc
	s_waitcnt lgkmcnt(0)
	v_add_co_u32_e32 v10, vcc, v10, v1
	v_addc_co_u32_e32 v11, vcc, v11, v3, vcc
	v_add_co_u32_e32 v4, vcc, 0x1c0, v12
	v_addc_co_u32_e32 v13, vcc, 0, v13, vcc
	;; [unrolled: 2-line block ×3, first 2 shown]
	s_branch .LBB2_5702
.LBB2_5701:                             ;   in Loop: Header=BB2_5702 Depth=3
	s_or_b64 exec, exec, s[28:29]
	v_add_co_u32_e32 v30, vcc, 0xfffffe40, v12
	v_addc_co_u32_e32 v31, vcc, -1, v13, vcc
	flat_store_byte v[30:31], v36 glc slc
	v_add_co_u32_e32 v30, vcc, 0xfffffe80, v12
	v_addc_co_u32_e32 v31, vcc, -1, v13, vcc
	flat_store_byte v[30:31], v39 glc slc
	;; [unrolled: 3-line block ×6, first 2 shown]
	v_add_co_u32_e32 v30, vcc, s87, v12
	v_addc_co_u32_e32 v31, vcc, -1, v13, vcc
	v_add_co_u32_e32 v8, vcc, v8, v2
	v_addc_co_u32_e32 v9, vcc, 0, v9, vcc
	v_add_co_u32_e32 v10, vcc, v10, v2
	v_addc_co_u32_e32 v11, vcc, 0, v11, vcc
	v_sub_u32_e32 v26, v26, v17
	v_cmp_gt_i32_e32 vcc, 1, v26
	flat_store_byte v[30:31], v25 glc slc
	flat_store_byte v[12:13], v15 glc slc
	s_or_b64 s[38:39], vcc, s[38:39]
	v_add_co_u32_e32 v12, vcc, v12, v2
	v_addc_co_u32_e32 v13, vcc, 0, v13, vcc
	s_andn2_b64 exec, exec, s[38:39]
	s_cbranch_execz .LBB2_6086
.LBB2_5702:                             ;   Parent Loop BB2_47 Depth=1
                                        ;     Parent Loop BB2_2331 Depth=2
                                        ; =>    This Inner Loop Header: Depth=3
	flat_load_ubyte v34, v[8:9] glc slc
	flat_load_ubyte v45, v[8:9] offset:64 glc slc
	flat_load_ubyte v44, v[8:9] offset:128 glc slc
	;; [unrolled: 1-line block ×7, first 2 shown]
	flat_load_ubyte v15, v[10:11] glc slc
	flat_load_ubyte v39, v[10:11] offset:64 glc slc
	flat_load_ubyte v55, v[10:11] offset:128 glc slc
	;; [unrolled: 1-line block ×7, first 2 shown]
	s_mov_b64 s[40:41], -1
	s_and_b64 vcc, exec, s[46:47]
                                        ; implicit-def: $vgpr14
	s_waitcnt vmcnt(0) lgkmcnt(0)
	v_cmp_ne_u16_e64 s[28:29], 0, v34
	s_cbranch_vccz .LBB2_5716
; %bb.5703:                             ;   in Loop: Header=BB2_5702 Depth=3
	v_mov_b32_e32 v36, 0
	v_mov_b32_e32 v40, 0
	s_and_saveexec_b64 s[40:41], s[28:29]
	s_cbranch_execz .LBB2_5709
; %bb.5704:                             ;   in Loop: Header=BB2_5702 Depth=3
	v_cmp_ne_u16_e32 vcc, s59, v34
	v_bfrev_b32_e32 v40, 1
	s_and_saveexec_b64 s[48:49], vcc
	s_cbranch_execz .LBB2_5708
; %bb.5705:                             ;   in Loop: Header=BB2_5702 Depth=3
	v_and_b32_e32 v14, 0xffff, v34
	v_and_b32_e32 v41, 0x7f, v14
	v_cmp_ne_u32_e32 vcc, s97, v41
	v_mov_b32_e32 v40, 0x7f800001
	s_and_saveexec_b64 s[50:51], vcc
	s_cbranch_execz .LBB2_5707
; %bb.5706:                             ;   in Loop: Header=BB2_5702 Depth=3
	v_and_b32_e32 v3, 7, v14
	v_ffbh_u32_e32 v40, v3
	v_min_u32_e32 v46, 32, v40
	v_subrev_u32_e32 v40, 28, v46
	v_lshrrev_b32_e32 v4, 3, v41
	v_cmp_gt_u32_e32 vcc, 8, v41
	v_lshlrev_b64 v[40:41], v40, v[14:15]
	v_sub_u32_e32 v14, 29, v46
	v_and_b32_e32 v40, 7, v40
	v_cndmask_b32_e32 v4, v4, v14, vcc
	v_cndmask_b32_e32 v3, v3, v40, vcc
	v_lshlrev_b32_e32 v14, 24, v34
	v_lshlrev_b32_e32 v3, 20, v3
	v_and_b32_e32 v14, 0x80000000, v14
	v_lshl_add_u32 v4, v4, 23, v48
	v_or3_b32 v40, v14, v4, v3
.LBB2_5707:                             ;   in Loop: Header=BB2_5702 Depth=3
	s_or_b64 exec, exec, s[50:51]
.LBB2_5708:                             ;   in Loop: Header=BB2_5702 Depth=3
	s_or_b64 exec, exec, s[48:49]
.LBB2_5709:                             ;   in Loop: Header=BB2_5702 Depth=3
	s_or_b64 exec, exec, s[40:41]
	v_and_b32_e32 v14, 0xff, v15
	v_cmp_ne_u16_e32 vcc, 0, v14
	s_and_saveexec_b64 s[40:41], vcc
	s_cbranch_execz .LBB2_5715
; %bb.5710:                             ;   in Loop: Header=BB2_5702 Depth=3
	v_cmp_ne_u16_e32 vcc, s59, v14
	v_bfrev_b32_e32 v36, 1
	s_and_saveexec_b64 s[48:49], vcc
	s_cbranch_execz .LBB2_5714
; %bb.5711:                             ;   in Loop: Header=BB2_5702 Depth=3
	v_and_b32_e32 v41, 0x7f, v15
	v_cmp_ne_u32_e32 vcc, s97, v41
	v_mov_b32_e32 v36, 0x7f800001
	s_and_saveexec_b64 s[50:51], vcc
	s_cbranch_execz .LBB2_5713
; %bb.5712:                             ;   in Loop: Header=BB2_5702 Depth=3
	v_and_b32_e32 v3, 7, v14
	v_ffbh_u32_e32 v36, v3
	v_min_u32_e32 v36, 32, v36
	v_lshrrev_b32_e32 v4, 3, v41
	v_cmp_gt_u32_e32 vcc, 8, v41
	v_subrev_u32_e32 v41, 28, v36
	v_lshlrev_b64 v[46:47], v41, v[14:15]
	v_sub_u32_e32 v14, 29, v36
	v_and_b32_e32 v36, 7, v46
	v_cndmask_b32_e32 v4, v4, v14, vcc
	v_cndmask_b32_e32 v3, v3, v36, vcc
	v_lshlrev_b32_e32 v14, 24, v15
	v_lshlrev_b32_e32 v3, 20, v3
	v_and_b32_e32 v14, 0x80000000, v14
	v_lshl_add_u32 v4, v4, 23, v48
	v_or3_b32 v36, v14, v4, v3
.LBB2_5713:                             ;   in Loop: Header=BB2_5702 Depth=3
	s_or_b64 exec, exec, s[50:51]
.LBB2_5714:                             ;   in Loop: Header=BB2_5702 Depth=3
	s_or_b64 exec, exec, s[48:49]
.LBB2_5715:                             ;   in Loop: Header=BB2_5702 Depth=3
	s_or_b64 exec, exec, s[40:41]
	v_max_f32_e32 v3, v36, v36
	v_max_f32_e32 v4, v40, v40
	;; [unrolled: 1-line block ×3, first 2 shown]
	s_mov_b64 s[40:41], 0
.LBB2_5716:                             ;   in Loop: Header=BB2_5702 Depth=3
	s_and_b64 vcc, exec, s[40:41]
	s_cbranch_vccz .LBB2_5730
; %bb.5717:                             ;   in Loop: Header=BB2_5702 Depth=3
	v_mov_b32_e32 v36, 0
	v_mov_b32_e32 v40, 0
	s_and_saveexec_b64 s[40:41], s[28:29]
	s_cbranch_execz .LBB2_5723
; %bb.5718:                             ;   in Loop: Header=BB2_5702 Depth=3
	v_cmp_ne_u16_e32 vcc, s59, v34
	v_bfrev_b32_e32 v40, 1
	s_and_saveexec_b64 s[28:29], vcc
	s_cbranch_execz .LBB2_5722
; %bb.5719:                             ;   in Loop: Header=BB2_5702 Depth=3
	v_and_b32_e32 v14, 0xffff, v34
	v_and_b32_e32 v41, 0x7f, v14
	v_cmp_ne_u32_e32 vcc, s97, v41
	v_mov_b32_e32 v40, 0x7f800001
	s_and_saveexec_b64 s[48:49], vcc
	s_cbranch_execz .LBB2_5721
; %bb.5720:                             ;   in Loop: Header=BB2_5702 Depth=3
	v_and_b32_e32 v3, 7, v14
	v_ffbh_u32_e32 v40, v3
	v_min_u32_e32 v46, 32, v40
	v_subrev_u32_e32 v40, 28, v46
	v_lshrrev_b32_e32 v4, 3, v41
	v_cmp_gt_u32_e32 vcc, 8, v41
	v_lshlrev_b64 v[40:41], v40, v[14:15]
	v_sub_u32_e32 v14, 29, v46
	v_and_b32_e32 v40, 7, v40
	v_cndmask_b32_e32 v4, v4, v14, vcc
	v_cndmask_b32_e32 v3, v3, v40, vcc
	v_lshlrev_b32_e32 v14, 24, v34
	v_lshlrev_b32_e32 v3, 20, v3
	v_and_b32_e32 v14, 0x80000000, v14
	v_lshl_add_u32 v4, v4, 23, v48
	v_or3_b32 v40, v14, v4, v3
.LBB2_5721:                             ;   in Loop: Header=BB2_5702 Depth=3
	s_or_b64 exec, exec, s[48:49]
.LBB2_5722:                             ;   in Loop: Header=BB2_5702 Depth=3
	s_or_b64 exec, exec, s[28:29]
.LBB2_5723:                             ;   in Loop: Header=BB2_5702 Depth=3
	s_or_b64 exec, exec, s[40:41]
	v_and_b32_e32 v14, 0xff, v15
	v_cmp_ne_u16_e32 vcc, 0, v14
	s_and_saveexec_b64 s[28:29], vcc
	s_cbranch_execz .LBB2_5729
; %bb.5724:                             ;   in Loop: Header=BB2_5702 Depth=3
	v_cmp_ne_u16_e32 vcc, s59, v14
	v_bfrev_b32_e32 v36, 1
	s_and_saveexec_b64 s[40:41], vcc
	s_cbranch_execz .LBB2_5728
; %bb.5725:                             ;   in Loop: Header=BB2_5702 Depth=3
	v_and_b32_e32 v34, 0x7f, v15
	v_cmp_ne_u32_e32 vcc, s97, v34
	v_mov_b32_e32 v36, 0x7f800001
	s_and_saveexec_b64 s[48:49], vcc
	s_cbranch_execz .LBB2_5727
; %bb.5726:                             ;   in Loop: Header=BB2_5702 Depth=3
	v_and_b32_e32 v3, 7, v14
	v_lshrrev_b32_e32 v4, 3, v34
	v_cmp_gt_u32_e32 vcc, 8, v34
	v_ffbh_u32_e32 v34, v3
	v_min_u32_e32 v34, 32, v34
	v_subrev_u32_e32 v36, 28, v34
	v_lshlrev_b64 v[46:47], v36, v[14:15]
	v_sub_u32_e32 v14, 29, v34
	v_and_b32_e32 v34, 7, v46
	v_cndmask_b32_e32 v4, v4, v14, vcc
	v_cndmask_b32_e32 v3, v3, v34, vcc
	v_lshlrev_b32_e32 v14, 24, v15
	v_lshlrev_b32_e32 v3, 20, v3
	v_and_b32_e32 v14, 0x80000000, v14
	v_lshl_add_u32 v4, v4, 23, v48
	v_or3_b32 v36, v14, v4, v3
.LBB2_5727:                             ;   in Loop: Header=BB2_5702 Depth=3
	s_or_b64 exec, exec, s[48:49]
.LBB2_5728:                             ;   in Loop: Header=BB2_5702 Depth=3
	s_or_b64 exec, exec, s[40:41]
.LBB2_5729:                             ;   in Loop: Header=BB2_5702 Depth=3
	s_or_b64 exec, exec, s[28:29]
	v_max_f32_e32 v3, v36, v36
	v_max_f32_e32 v4, v40, v40
	v_min_f32_e32 v14, v4, v3
.LBB2_5730:                             ;   in Loop: Header=BB2_5702 Depth=3
	v_and_b32_e32 v34, 0x7f800000, v14
	v_cmp_ne_u64_e32 vcc, s[90:91], v[34:35]
                                        ; implicit-def: $vgpr36
	s_and_saveexec_b64 s[28:29], vcc
	s_xor_b64 s[40:41], exec, s[28:29]
	s_cbranch_execz .LBB2_5748
; %bb.5731:                             ;   in Loop: Header=BB2_5702 Depth=3
	v_and_b32_e32 v34, 0x7fffffff, v14
	v_cmp_gt_u64_e32 vcc, s[92:93], v[34:35]
	v_and_b32_sdwa v46, v14, s59 dst_sel:DWORD dst_unused:UNUSED_PAD src0_sel:BYTE_3 src1_sel:DWORD
                                        ; implicit-def: $vgpr36
	s_and_saveexec_b64 s[28:29], vcc
	s_xor_b64 s[48:49], exec, s[28:29]
	s_cbranch_execz .LBB2_5745
; %bb.5732:                             ;   in Loop: Header=BB2_5702 Depth=3
	v_cmp_ne_u32_e32 vcc, 0, v14
	v_mov_b32_e32 v36, 0
	s_and_saveexec_b64 s[50:51], vcc
	s_cbranch_execz .LBB2_5744
; %bb.5733:                             ;   in Loop: Header=BB2_5702 Depth=3
	v_bfe_u32 v36, v14, 23, 8
	v_cmp_gt_u32_e64 s[28:29], s56, v36
	v_sub_u32_e32 v4, 0x79, v36
	v_and_b32_e32 v3, 0x7fffff, v14
	v_cmp_eq_u32_e32 vcc, 0, v36
	v_cndmask_b32_e64 v4, 0, v4, s[28:29]
	v_mov_b32_e32 v15, 0x78
	v_or_b32_e32 v14, 0x800000, v3
	v_cndmask_b32_e32 v47, v4, v15, vcc
	v_cndmask_b32_e32 v34, v14, v3, vcc
	v_add_u32_e32 v3, 20, v47
	v_lshlrev_b64 v[14:15], v3, -1
	v_add_u32_e32 v3, 19, v47
	v_lshlrev_b64 v[40:41], v3, 1
	v_bfi_b32 v15, v15, 0, 0
	v_bfi_b32 v14, v14, 0, v34
	v_cmp_eq_u64_e64 s[28:29], v[14:15], v[40:41]
	v_lshrrev_b64 v[14:15], v47, v[34:35]
	v_mov_b32_e32 v41, v15
	v_mov_b32_e32 v40, v14
	s_and_saveexec_b64 s[52:53], s[28:29]
; %bb.5734:                             ;   in Loop: Header=BB2_5702 Depth=3
	v_bfe_u32 v3, v14, 20, 1
	v_add_co_u32_e64 v3, s[28:29], v14, v3
	v_add_co_u32_e64 v40, s[28:29], -1, v3
; %bb.5735:                             ;   in Loop: Header=BB2_5702 Depth=3
	s_or_b64 exec, exec, s[52:53]
	v_add_u32_e32 v3, 0xffffff81, v36
	v_cndmask_b32_e32 v3, v3, v52, vcc
	v_lshrrev_b32_e32 v4, 23, v14
	v_add3_u32 v41, v47, v3, v4
	v_add_u32_e32 v36, 6, v41
	v_and_b32_e32 v3, 0xfffff, v40
	v_add_u32_e32 v34, v3, v14
	v_cmp_ne_u32_e32 vcc, 0, v36
                                        ; implicit-def: $vgpr14_vgpr15
                                        ; implicit-def: $vgpr40
	s_and_saveexec_b64 s[28:29], vcc
	s_xor_b64 s[28:29], exec, s[28:29]
; %bb.5736:                             ;   in Loop: Header=BB2_5702 Depth=3
	v_cmp_lt_u64_e32 vcc, s[94:95], v[34:35]
	v_add_u32_e32 v3, 7, v41
	v_cndmask_b32_e32 v40, v36, v3, vcc
	v_cndmask_b32_e64 v3, 0, 1, vcc
	v_lshrrev_b64 v[14:15], v3, v[34:35]
; %bb.5737:                             ;   in Loop: Header=BB2_5702 Depth=3
	s_andn2_saveexec_b64 s[28:29], s[28:29]
; %bb.5738:                             ;   in Loop: Header=BB2_5702 Depth=3
	v_mov_b32_e32 v14, v34
	v_bfe_u32 v40, v34, 23, 1
	v_mov_b32_e32 v15, v35
; %bb.5739:                             ;   in Loop: Header=BB2_5702 Depth=3
	s_or_b64 exec, exec, s[28:29]
	v_lshrrev_b64 v[14:15], 20, v[14:15]
	v_cmp_gt_i32_e32 vcc, 16, v40
	v_cndmask_b32_e32 v15, 0, v15, vcc
	v_cndmask_b32_e32 v14, 7, v14, vcc
	v_cmp_ne_u64_e32 vcc, 0, v[14:15]
	v_cmp_ne_u32_e64 s[28:29], 0, v40
	s_or_b64 s[28:29], s[28:29], vcc
                                        ; implicit-def: $vgpr36
	s_and_saveexec_b64 vcc, s[28:29]
	s_xor_b64 s[28:29], exec, vcc
; %bb.5740:                             ;   in Loop: Header=BB2_5702 Depth=3
	v_min_i32_e32 v3, 15, v40
	v_lshl_or_b32 v3, v3, 3, v46
	v_and_or_b32 v36, v14, 7, v3
                                        ; implicit-def: $vgpr46
; %bb.5741:                             ;   in Loop: Header=BB2_5702 Depth=3
	s_andn2_saveexec_b64 s[28:29], s[28:29]
; %bb.5742:                             ;   in Loop: Header=BB2_5702 Depth=3
	v_mov_b32_e32 v36, v46
; %bb.5743:                             ;   in Loop: Header=BB2_5702 Depth=3
	s_or_b64 exec, exec, s[28:29]
.LBB2_5744:                             ;   in Loop: Header=BB2_5702 Depth=3
	s_or_b64 exec, exec, s[50:51]
                                        ; implicit-def: $vgpr46
.LBB2_5745:                             ;   in Loop: Header=BB2_5702 Depth=3
	s_andn2_saveexec_b64 s[28:29], s[48:49]
; %bb.5746:                             ;   in Loop: Header=BB2_5702 Depth=3
	v_or_b32_e32 v36, 0x7e, v46
; %bb.5747:                             ;   in Loop: Header=BB2_5702 Depth=3
	s_or_b64 exec, exec, s[28:29]
                                        ; implicit-def: $vgpr14
.LBB2_5748:                             ;   in Loop: Header=BB2_5702 Depth=3
	s_andn2_saveexec_b64 s[28:29], s[40:41]
; %bb.5749:                             ;   in Loop: Header=BB2_5702 Depth=3
	v_or_b32_sdwa v36, v14, s97 dst_sel:DWORD dst_unused:UNUSED_PAD src0_sel:BYTE_3 src1_sel:DWORD
; %bb.5750:                             ;   in Loop: Header=BB2_5702 Depth=3
	s_or_b64 exec, exec, s[28:29]
	v_and_b32_e32 v14, 0xff, v45
	v_cndmask_b32_e64 v3, 0, 1, s[46:47]
	v_cmp_ne_u16_e64 s[40:41], 0, v14
	v_cmp_ne_u32_e64 s[28:29], 1, v3
	s_andn2_b64 vcc, exec, s[46:47]
	s_mov_b64 s[48:49], -1
                                        ; implicit-def: $vgpr15
	s_cbranch_vccnz .LBB2_5764
; %bb.5751:                             ;   in Loop: Header=BB2_5702 Depth=3
	v_mov_b32_e32 v40, 0
	v_mov_b32_e32 v34, 0
	s_and_saveexec_b64 s[48:49], s[40:41]
	s_cbranch_execz .LBB2_5757
; %bb.5752:                             ;   in Loop: Header=BB2_5702 Depth=3
	v_cmp_ne_u16_e32 vcc, s59, v14
	v_bfrev_b32_e32 v34, 1
	s_and_saveexec_b64 s[50:51], vcc
	s_cbranch_execz .LBB2_5756
; %bb.5753:                             ;   in Loop: Header=BB2_5702 Depth=3
	v_and_b32_e32 v15, 0x7f, v45
	v_cmp_ne_u32_e32 vcc, s97, v15
	v_mov_b32_e32 v34, 0x7f800001
	s_and_saveexec_b64 s[52:53], vcc
	s_cbranch_execz .LBB2_5755
; %bb.5754:                             ;   in Loop: Header=BB2_5702 Depth=3
	v_and_b32_e32 v3, 7, v14
	v_lshrrev_b32_e32 v4, 3, v15
	v_cmp_gt_u32_e32 vcc, 8, v15
	v_ffbh_u32_e32 v15, v3
	v_min_u32_e32 v15, 32, v15
	v_subrev_u32_e32 v34, 28, v15
	v_lshlrev_b64 v[46:47], v34, v[14:15]
	v_sub_u32_e32 v15, 29, v15
	v_and_b32_e32 v34, 7, v46
	v_cndmask_b32_e32 v4, v4, v15, vcc
	v_cndmask_b32_e32 v3, v3, v34, vcc
	v_lshlrev_b32_e32 v15, 24, v45
	v_lshlrev_b32_e32 v3, 20, v3
	v_and_b32_e32 v15, 0x80000000, v15
	v_lshl_add_u32 v4, v4, 23, v48
	v_or3_b32 v34, v15, v4, v3
.LBB2_5755:                             ;   in Loop: Header=BB2_5702 Depth=3
	s_or_b64 exec, exec, s[52:53]
.LBB2_5756:                             ;   in Loop: Header=BB2_5702 Depth=3
	s_or_b64 exec, exec, s[50:51]
.LBB2_5757:                             ;   in Loop: Header=BB2_5702 Depth=3
	s_or_b64 exec, exec, s[48:49]
	v_and_b32_e32 v15, 0xff, v39
	v_cmp_ne_u16_e32 vcc, 0, v15
	s_and_saveexec_b64 s[48:49], vcc
	s_cbranch_execz .LBB2_5763
; %bb.5758:                             ;   in Loop: Header=BB2_5702 Depth=3
	v_cmp_ne_u16_e32 vcc, s59, v15
	v_bfrev_b32_e32 v40, 1
	s_and_saveexec_b64 s[50:51], vcc
	s_cbranch_execz .LBB2_5762
; %bb.5759:                             ;   in Loop: Header=BB2_5702 Depth=3
	v_and_b32_e32 v41, 0x7f, v39
	v_cmp_ne_u32_e32 vcc, s97, v41
	v_mov_b32_e32 v40, 0x7f800001
	s_and_saveexec_b64 s[52:53], vcc
	s_cbranch_execz .LBB2_5761
; %bb.5760:                             ;   in Loop: Header=BB2_5702 Depth=3
	v_and_b32_e32 v3, 7, v15
	v_ffbh_u32_e32 v40, v3
	v_min_u32_e32 v46, 32, v40
	v_subrev_u32_e32 v40, 28, v46
	v_lshrrev_b32_e32 v4, 3, v41
	v_cmp_gt_u32_e32 vcc, 8, v41
	v_lshlrev_b64 v[40:41], v40, v[15:16]
	v_sub_u32_e32 v15, 29, v46
	v_and_b32_e32 v40, 7, v40
	v_cndmask_b32_e32 v4, v4, v15, vcc
	v_cndmask_b32_e32 v3, v3, v40, vcc
	v_lshlrev_b32_e32 v15, 24, v39
	v_lshlrev_b32_e32 v3, 20, v3
	v_and_b32_e32 v15, 0x80000000, v15
	v_lshl_add_u32 v4, v4, 23, v48
	v_or3_b32 v40, v15, v4, v3
.LBB2_5761:                             ;   in Loop: Header=BB2_5702 Depth=3
	s_or_b64 exec, exec, s[52:53]
.LBB2_5762:                             ;   in Loop: Header=BB2_5702 Depth=3
	s_or_b64 exec, exec, s[50:51]
.LBB2_5763:                             ;   in Loop: Header=BB2_5702 Depth=3
	s_or_b64 exec, exec, s[48:49]
	v_max_f32_e32 v3, v40, v40
	v_max_f32_e32 v4, v34, v34
	;; [unrolled: 1-line block ×3, first 2 shown]
	s_mov_b64 s[48:49], 0
.LBB2_5764:                             ;   in Loop: Header=BB2_5702 Depth=3
	s_and_b64 vcc, exec, s[48:49]
	s_cbranch_vccz .LBB2_5778
; %bb.5765:                             ;   in Loop: Header=BB2_5702 Depth=3
	v_mov_b32_e32 v34, 0
	v_mov_b32_e32 v15, 0
	s_and_saveexec_b64 s[48:49], s[40:41]
	s_cbranch_execz .LBB2_5771
; %bb.5766:                             ;   in Loop: Header=BB2_5702 Depth=3
	v_cmp_ne_u16_e32 vcc, s59, v14
	v_bfrev_b32_e32 v15, 1
	s_and_saveexec_b64 s[40:41], vcc
	s_cbranch_execz .LBB2_5770
; %bb.5767:                             ;   in Loop: Header=BB2_5702 Depth=3
	v_and_b32_e32 v40, 0x7f, v45
	v_cmp_ne_u32_e32 vcc, s97, v40
	v_mov_b32_e32 v15, 0x7f800001
	s_and_saveexec_b64 s[50:51], vcc
	s_cbranch_execz .LBB2_5769
; %bb.5768:                             ;   in Loop: Header=BB2_5702 Depth=3
	v_and_b32_e32 v3, 7, v14
	v_ffbh_u32_e32 v15, v3
	v_lshrrev_b32_e32 v4, 3, v40
	v_cmp_gt_u32_e32 vcc, 8, v40
	v_min_u32_e32 v40, 32, v15
	v_subrev_u32_e32 v15, 28, v40
	v_lshlrev_b64 v[14:15], v15, v[14:15]
	v_sub_u32_e32 v15, 29, v40
	v_and_b32_e32 v14, 7, v14
	v_cndmask_b32_e32 v4, v4, v15, vcc
	v_cndmask_b32_e32 v3, v3, v14, vcc
	v_lshlrev_b32_e32 v14, 24, v45
	v_lshlrev_b32_e32 v3, 20, v3
	v_and_b32_e32 v14, 0x80000000, v14
	v_lshl_add_u32 v4, v4, 23, v48
	v_or3_b32 v15, v14, v4, v3
.LBB2_5769:                             ;   in Loop: Header=BB2_5702 Depth=3
	s_or_b64 exec, exec, s[50:51]
.LBB2_5770:                             ;   in Loop: Header=BB2_5702 Depth=3
	s_or_b64 exec, exec, s[40:41]
.LBB2_5771:                             ;   in Loop: Header=BB2_5702 Depth=3
	s_or_b64 exec, exec, s[48:49]
	v_and_b32_e32 v14, 0xff, v39
	v_cmp_ne_u16_e32 vcc, 0, v14
	s_and_saveexec_b64 s[40:41], vcc
	s_cbranch_execz .LBB2_5777
; %bb.5772:                             ;   in Loop: Header=BB2_5702 Depth=3
	v_cmp_ne_u16_e32 vcc, s59, v14
	v_bfrev_b32_e32 v34, 1
	s_and_saveexec_b64 s[48:49], vcc
	s_cbranch_execz .LBB2_5776
; %bb.5773:                             ;   in Loop: Header=BB2_5702 Depth=3
	v_and_b32_e32 v40, 0x7f, v39
	v_cmp_ne_u32_e32 vcc, s97, v40
	v_mov_b32_e32 v34, 0x7f800001
	s_and_saveexec_b64 s[50:51], vcc
	s_cbranch_execz .LBB2_5775
; %bb.5774:                             ;   in Loop: Header=BB2_5702 Depth=3
	v_and_b32_e32 v3, 7, v14
	v_ffbh_u32_e32 v34, v3
	v_min_u32_e32 v34, 32, v34
	v_lshrrev_b32_e32 v4, 3, v40
	v_cmp_gt_u32_e32 vcc, 8, v40
	v_subrev_u32_e32 v40, 28, v34
	v_lshlrev_b64 v[40:41], v40, v[14:15]
	v_sub_u32_e32 v14, 29, v34
	v_and_b32_e32 v34, 7, v40
	v_cndmask_b32_e32 v4, v4, v14, vcc
	v_cndmask_b32_e32 v3, v3, v34, vcc
	v_lshlrev_b32_e32 v14, 24, v39
	v_lshlrev_b32_e32 v3, 20, v3
	v_and_b32_e32 v14, 0x80000000, v14
	v_lshl_add_u32 v4, v4, 23, v48
	v_or3_b32 v34, v14, v4, v3
.LBB2_5775:                             ;   in Loop: Header=BB2_5702 Depth=3
	s_or_b64 exec, exec, s[50:51]
.LBB2_5776:                             ;   in Loop: Header=BB2_5702 Depth=3
	s_or_b64 exec, exec, s[48:49]
.LBB2_5777:                             ;   in Loop: Header=BB2_5702 Depth=3
	s_or_b64 exec, exec, s[40:41]
	v_max_f32_e32 v3, v34, v34
	v_max_f32_e32 v4, v15, v15
	v_min_f32_e32 v15, v4, v3
.LBB2_5778:                             ;   in Loop: Header=BB2_5702 Depth=3
	v_and_b32_e32 v34, 0x7f800000, v15
	v_cmp_ne_u64_e32 vcc, s[90:91], v[34:35]
                                        ; implicit-def: $vgpr39
	s_and_saveexec_b64 s[40:41], vcc
	s_xor_b64 s[48:49], exec, s[40:41]
	s_cbranch_execz .LBB2_5796
; %bb.5779:                             ;   in Loop: Header=BB2_5702 Depth=3
	v_and_b32_e32 v34, 0x7fffffff, v15
	v_cmp_gt_u64_e32 vcc, s[92:93], v[34:35]
	v_and_b32_sdwa v45, v15, s59 dst_sel:DWORD dst_unused:UNUSED_PAD src0_sel:BYTE_3 src1_sel:DWORD
                                        ; implicit-def: $vgpr39
	s_and_saveexec_b64 s[40:41], vcc
	s_xor_b64 s[50:51], exec, s[40:41]
	s_cbranch_execz .LBB2_5793
; %bb.5780:                             ;   in Loop: Header=BB2_5702 Depth=3
	v_cmp_ne_u32_e32 vcc, 0, v15
	v_mov_b32_e32 v39, 0
	s_and_saveexec_b64 s[52:53], vcc
	s_cbranch_execz .LBB2_5792
; %bb.5781:                             ;   in Loop: Header=BB2_5702 Depth=3
	v_bfe_u32 v39, v15, 23, 8
	v_cmp_gt_u32_e64 s[40:41], s56, v39
	v_sub_u32_e32 v4, 0x79, v39
	v_and_b32_e32 v3, 0x7fffff, v15
	v_cmp_eq_u32_e32 vcc, 0, v39
	v_cndmask_b32_e64 v4, 0, v4, s[40:41]
	v_mov_b32_e32 v15, 0x78
	v_or_b32_e32 v14, 0x800000, v3
	v_cndmask_b32_e32 v46, v4, v15, vcc
	v_cndmask_b32_e32 v34, v14, v3, vcc
	v_add_u32_e32 v3, 20, v46
	v_lshlrev_b64 v[14:15], v3, -1
	v_add_u32_e32 v3, 19, v46
	v_lshlrev_b64 v[40:41], v3, 1
	v_bfi_b32 v15, v15, 0, 0
	v_bfi_b32 v14, v14, 0, v34
	v_cmp_eq_u64_e64 s[40:41], v[14:15], v[40:41]
	v_lshrrev_b64 v[14:15], v46, v[34:35]
	v_mov_b32_e32 v41, v15
	v_mov_b32_e32 v40, v14
	s_and_saveexec_b64 s[54:55], s[40:41]
; %bb.5782:                             ;   in Loop: Header=BB2_5702 Depth=3
	v_bfe_u32 v3, v14, 20, 1
	v_add_co_u32_e64 v3, s[40:41], v14, v3
	v_add_co_u32_e64 v40, s[40:41], -1, v3
; %bb.5783:                             ;   in Loop: Header=BB2_5702 Depth=3
	s_or_b64 exec, exec, s[54:55]
	v_add_u32_e32 v3, 0xffffff81, v39
	v_cndmask_b32_e32 v3, v3, v52, vcc
	v_lshrrev_b32_e32 v4, 23, v14
	v_add3_u32 v41, v46, v3, v4
	v_add_u32_e32 v39, 6, v41
	v_and_b32_e32 v3, 0xfffff, v40
	v_add_u32_e32 v34, v3, v14
	v_cmp_ne_u32_e32 vcc, 0, v39
                                        ; implicit-def: $vgpr14_vgpr15
                                        ; implicit-def: $vgpr40
	s_and_saveexec_b64 s[40:41], vcc
	s_xor_b64 s[40:41], exec, s[40:41]
; %bb.5784:                             ;   in Loop: Header=BB2_5702 Depth=3
	v_cmp_lt_u64_e32 vcc, s[94:95], v[34:35]
	v_add_u32_e32 v3, 7, v41
	v_cndmask_b32_e32 v40, v39, v3, vcc
	v_cndmask_b32_e64 v3, 0, 1, vcc
	v_lshrrev_b64 v[14:15], v3, v[34:35]
; %bb.5785:                             ;   in Loop: Header=BB2_5702 Depth=3
	s_andn2_saveexec_b64 s[40:41], s[40:41]
; %bb.5786:                             ;   in Loop: Header=BB2_5702 Depth=3
	v_mov_b32_e32 v14, v34
	v_bfe_u32 v40, v34, 23, 1
	v_mov_b32_e32 v15, v35
; %bb.5787:                             ;   in Loop: Header=BB2_5702 Depth=3
	s_or_b64 exec, exec, s[40:41]
	v_lshrrev_b64 v[14:15], 20, v[14:15]
	v_cmp_gt_i32_e32 vcc, 16, v40
	v_cndmask_b32_e32 v15, 0, v15, vcc
	v_cndmask_b32_e32 v14, 7, v14, vcc
	v_cmp_ne_u64_e32 vcc, 0, v[14:15]
	v_cmp_ne_u32_e64 s[40:41], 0, v40
	s_or_b64 s[40:41], s[40:41], vcc
                                        ; implicit-def: $vgpr39
	s_and_saveexec_b64 vcc, s[40:41]
	s_xor_b64 s[40:41], exec, vcc
; %bb.5788:                             ;   in Loop: Header=BB2_5702 Depth=3
	v_min_i32_e32 v3, 15, v40
	v_lshl_or_b32 v3, v3, 3, v45
	v_and_or_b32 v39, v14, 7, v3
                                        ; implicit-def: $vgpr45
; %bb.5789:                             ;   in Loop: Header=BB2_5702 Depth=3
	s_andn2_saveexec_b64 s[40:41], s[40:41]
; %bb.5790:                             ;   in Loop: Header=BB2_5702 Depth=3
	v_mov_b32_e32 v39, v45
; %bb.5791:                             ;   in Loop: Header=BB2_5702 Depth=3
	s_or_b64 exec, exec, s[40:41]
.LBB2_5792:                             ;   in Loop: Header=BB2_5702 Depth=3
	s_or_b64 exec, exec, s[52:53]
                                        ; implicit-def: $vgpr45
.LBB2_5793:                             ;   in Loop: Header=BB2_5702 Depth=3
	s_andn2_saveexec_b64 s[40:41], s[50:51]
; %bb.5794:                             ;   in Loop: Header=BB2_5702 Depth=3
	v_or_b32_e32 v39, 0x7e, v45
; %bb.5795:                             ;   in Loop: Header=BB2_5702 Depth=3
	s_or_b64 exec, exec, s[40:41]
                                        ; implicit-def: $vgpr15
.LBB2_5796:                             ;   in Loop: Header=BB2_5702 Depth=3
	s_andn2_saveexec_b64 s[40:41], s[48:49]
; %bb.5797:                             ;   in Loop: Header=BB2_5702 Depth=3
	v_or_b32_sdwa v39, v15, s97 dst_sel:DWORD dst_unused:UNUSED_PAD src0_sel:BYTE_3 src1_sel:DWORD
; %bb.5798:                             ;   in Loop: Header=BB2_5702 Depth=3
	s_or_b64 exec, exec, s[40:41]
	v_and_b32_e32 v14, 0xff, v44
	v_cmp_ne_u16_e64 s[40:41], 0, v14
	s_and_b64 vcc, exec, s[28:29]
	s_mov_b64 s[48:49], -1
                                        ; implicit-def: $vgpr15
	s_cbranch_vccnz .LBB2_5812
; %bb.5799:                             ;   in Loop: Header=BB2_5702 Depth=3
	v_mov_b32_e32 v40, 0
	v_mov_b32_e32 v34, 0
	s_and_saveexec_b64 s[48:49], s[40:41]
	s_cbranch_execz .LBB2_5805
; %bb.5800:                             ;   in Loop: Header=BB2_5702 Depth=3
	v_cmp_ne_u16_e32 vcc, s59, v14
	v_bfrev_b32_e32 v34, 1
	s_and_saveexec_b64 s[50:51], vcc
	s_cbranch_execz .LBB2_5804
; %bb.5801:                             ;   in Loop: Header=BB2_5702 Depth=3
	v_and_b32_e32 v15, 0x7f, v44
	v_cmp_ne_u32_e32 vcc, s97, v15
	v_mov_b32_e32 v34, 0x7f800001
	s_and_saveexec_b64 s[52:53], vcc
	s_cbranch_execz .LBB2_5803
; %bb.5802:                             ;   in Loop: Header=BB2_5702 Depth=3
	v_and_b32_e32 v3, 7, v14
	v_lshrrev_b32_e32 v4, 3, v15
	v_cmp_gt_u32_e32 vcc, 8, v15
	v_ffbh_u32_e32 v15, v3
	v_min_u32_e32 v15, 32, v15
	v_subrev_u32_e32 v34, 28, v15
	v_lshlrev_b64 v[45:46], v34, v[14:15]
	v_sub_u32_e32 v15, 29, v15
	v_and_b32_e32 v34, 7, v45
	v_cndmask_b32_e32 v4, v4, v15, vcc
	v_cndmask_b32_e32 v3, v3, v34, vcc
	v_lshlrev_b32_e32 v15, 24, v44
	v_lshlrev_b32_e32 v3, 20, v3
	v_and_b32_e32 v15, 0x80000000, v15
	v_lshl_add_u32 v4, v4, 23, v48
	v_or3_b32 v34, v15, v4, v3
.LBB2_5803:                             ;   in Loop: Header=BB2_5702 Depth=3
	s_or_b64 exec, exec, s[52:53]
.LBB2_5804:                             ;   in Loop: Header=BB2_5702 Depth=3
	s_or_b64 exec, exec, s[50:51]
.LBB2_5805:                             ;   in Loop: Header=BB2_5702 Depth=3
	s_or_b64 exec, exec, s[48:49]
	v_and_b32_e32 v15, 0xff, v55
	v_cmp_ne_u16_e32 vcc, 0, v15
	s_and_saveexec_b64 s[48:49], vcc
	s_cbranch_execz .LBB2_5811
; %bb.5806:                             ;   in Loop: Header=BB2_5702 Depth=3
	v_cmp_ne_u16_e32 vcc, s59, v15
	v_bfrev_b32_e32 v40, 1
	s_and_saveexec_b64 s[50:51], vcc
	s_cbranch_execz .LBB2_5810
; %bb.5807:                             ;   in Loop: Header=BB2_5702 Depth=3
	v_and_b32_e32 v41, 0x7f, v55
	v_cmp_ne_u32_e32 vcc, s97, v41
	v_mov_b32_e32 v40, 0x7f800001
	s_and_saveexec_b64 s[52:53], vcc
	s_cbranch_execz .LBB2_5809
; %bb.5808:                             ;   in Loop: Header=BB2_5702 Depth=3
	v_and_b32_e32 v3, 7, v15
	v_ffbh_u32_e32 v40, v3
	v_min_u32_e32 v45, 32, v40
	v_subrev_u32_e32 v40, 28, v45
	v_lshrrev_b32_e32 v4, 3, v41
	v_cmp_gt_u32_e32 vcc, 8, v41
	v_lshlrev_b64 v[40:41], v40, v[15:16]
	v_sub_u32_e32 v15, 29, v45
	v_and_b32_e32 v40, 7, v40
	v_cndmask_b32_e32 v4, v4, v15, vcc
	v_cndmask_b32_e32 v3, v3, v40, vcc
	v_lshlrev_b32_e32 v15, 24, v55
	v_lshlrev_b32_e32 v3, 20, v3
	v_and_b32_e32 v15, 0x80000000, v15
	v_lshl_add_u32 v4, v4, 23, v48
	v_or3_b32 v40, v15, v4, v3
.LBB2_5809:                             ;   in Loop: Header=BB2_5702 Depth=3
	s_or_b64 exec, exec, s[52:53]
.LBB2_5810:                             ;   in Loop: Header=BB2_5702 Depth=3
	s_or_b64 exec, exec, s[50:51]
.LBB2_5811:                             ;   in Loop: Header=BB2_5702 Depth=3
	s_or_b64 exec, exec, s[48:49]
	v_max_f32_e32 v3, v40, v40
	v_max_f32_e32 v4, v34, v34
	;; [unrolled: 1-line block ×3, first 2 shown]
	s_mov_b64 s[48:49], 0
.LBB2_5812:                             ;   in Loop: Header=BB2_5702 Depth=3
	s_and_b64 vcc, exec, s[48:49]
	s_cbranch_vccz .LBB2_5826
; %bb.5813:                             ;   in Loop: Header=BB2_5702 Depth=3
	v_mov_b32_e32 v34, 0
	v_mov_b32_e32 v15, 0
	s_and_saveexec_b64 s[48:49], s[40:41]
	s_cbranch_execz .LBB2_5819
; %bb.5814:                             ;   in Loop: Header=BB2_5702 Depth=3
	v_cmp_ne_u16_e32 vcc, s59, v14
	v_bfrev_b32_e32 v15, 1
	s_and_saveexec_b64 s[40:41], vcc
	s_cbranch_execz .LBB2_5818
; %bb.5815:                             ;   in Loop: Header=BB2_5702 Depth=3
	v_and_b32_e32 v40, 0x7f, v44
	v_cmp_ne_u32_e32 vcc, s97, v40
	v_mov_b32_e32 v15, 0x7f800001
	s_and_saveexec_b64 s[50:51], vcc
	s_cbranch_execz .LBB2_5817
; %bb.5816:                             ;   in Loop: Header=BB2_5702 Depth=3
	v_and_b32_e32 v3, 7, v14
	v_ffbh_u32_e32 v15, v3
	v_lshrrev_b32_e32 v4, 3, v40
	v_cmp_gt_u32_e32 vcc, 8, v40
	v_min_u32_e32 v40, 32, v15
	v_subrev_u32_e32 v15, 28, v40
	v_lshlrev_b64 v[14:15], v15, v[14:15]
	v_sub_u32_e32 v15, 29, v40
	v_and_b32_e32 v14, 7, v14
	v_cndmask_b32_e32 v4, v4, v15, vcc
	v_cndmask_b32_e32 v3, v3, v14, vcc
	v_lshlrev_b32_e32 v14, 24, v44
	v_lshlrev_b32_e32 v3, 20, v3
	v_and_b32_e32 v14, 0x80000000, v14
	v_lshl_add_u32 v4, v4, 23, v48
	v_or3_b32 v15, v14, v4, v3
.LBB2_5817:                             ;   in Loop: Header=BB2_5702 Depth=3
	s_or_b64 exec, exec, s[50:51]
.LBB2_5818:                             ;   in Loop: Header=BB2_5702 Depth=3
	s_or_b64 exec, exec, s[40:41]
.LBB2_5819:                             ;   in Loop: Header=BB2_5702 Depth=3
	s_or_b64 exec, exec, s[48:49]
	v_and_b32_e32 v14, 0xff, v55
	v_cmp_ne_u16_e32 vcc, 0, v14
	s_and_saveexec_b64 s[40:41], vcc
	s_cbranch_execz .LBB2_5825
; %bb.5820:                             ;   in Loop: Header=BB2_5702 Depth=3
	v_cmp_ne_u16_e32 vcc, s59, v14
	v_bfrev_b32_e32 v34, 1
	s_and_saveexec_b64 s[48:49], vcc
	s_cbranch_execz .LBB2_5824
; %bb.5821:                             ;   in Loop: Header=BB2_5702 Depth=3
	v_and_b32_e32 v40, 0x7f, v55
	v_cmp_ne_u32_e32 vcc, s97, v40
	v_mov_b32_e32 v34, 0x7f800001
	s_and_saveexec_b64 s[50:51], vcc
	s_cbranch_execz .LBB2_5823
; %bb.5822:                             ;   in Loop: Header=BB2_5702 Depth=3
	v_and_b32_e32 v3, 7, v14
	v_ffbh_u32_e32 v34, v3
	v_min_u32_e32 v34, 32, v34
	v_lshrrev_b32_e32 v4, 3, v40
	v_cmp_gt_u32_e32 vcc, 8, v40
	v_subrev_u32_e32 v40, 28, v34
	v_lshlrev_b64 v[40:41], v40, v[14:15]
	v_sub_u32_e32 v14, 29, v34
	v_and_b32_e32 v34, 7, v40
	v_cndmask_b32_e32 v4, v4, v14, vcc
	v_cndmask_b32_e32 v3, v3, v34, vcc
	v_lshlrev_b32_e32 v14, 24, v55
	v_lshlrev_b32_e32 v3, 20, v3
	v_and_b32_e32 v14, 0x80000000, v14
	v_lshl_add_u32 v4, v4, 23, v48
	v_or3_b32 v34, v14, v4, v3
.LBB2_5823:                             ;   in Loop: Header=BB2_5702 Depth=3
	s_or_b64 exec, exec, s[50:51]
.LBB2_5824:                             ;   in Loop: Header=BB2_5702 Depth=3
	s_or_b64 exec, exec, s[48:49]
.LBB2_5825:                             ;   in Loop: Header=BB2_5702 Depth=3
	s_or_b64 exec, exec, s[40:41]
	v_max_f32_e32 v3, v34, v34
	v_max_f32_e32 v4, v15, v15
	v_min_f32_e32 v15, v4, v3
.LBB2_5826:                             ;   in Loop: Header=BB2_5702 Depth=3
	v_and_b32_e32 v34, 0x7f800000, v15
	v_cmp_ne_u64_e32 vcc, s[90:91], v[34:35]
                                        ; implicit-def: $vgpr55
	s_and_saveexec_b64 s[40:41], vcc
	s_xor_b64 s[48:49], exec, s[40:41]
	s_cbranch_execz .LBB2_5844
; %bb.5827:                             ;   in Loop: Header=BB2_5702 Depth=3
	v_and_b32_e32 v34, 0x7fffffff, v15
	v_cmp_gt_u64_e32 vcc, s[92:93], v[34:35]
	v_and_b32_sdwa v44, v15, s59 dst_sel:DWORD dst_unused:UNUSED_PAD src0_sel:BYTE_3 src1_sel:DWORD
                                        ; implicit-def: $vgpr55
	s_and_saveexec_b64 s[40:41], vcc
	s_xor_b64 s[50:51], exec, s[40:41]
	s_cbranch_execz .LBB2_5841
; %bb.5828:                             ;   in Loop: Header=BB2_5702 Depth=3
	v_cmp_ne_u32_e32 vcc, 0, v15
	v_mov_b32_e32 v55, 0
	s_and_saveexec_b64 s[52:53], vcc
	s_cbranch_execz .LBB2_5840
; %bb.5829:                             ;   in Loop: Header=BB2_5702 Depth=3
	v_bfe_u32 v55, v15, 23, 8
	v_cmp_gt_u32_e64 s[40:41], s56, v55
	v_sub_u32_e32 v4, 0x79, v55
	v_and_b32_e32 v3, 0x7fffff, v15
	v_cmp_eq_u32_e32 vcc, 0, v55
	v_cndmask_b32_e64 v4, 0, v4, s[40:41]
	v_mov_b32_e32 v15, 0x78
	v_or_b32_e32 v14, 0x800000, v3
	v_cndmask_b32_e32 v45, v4, v15, vcc
	v_cndmask_b32_e32 v34, v14, v3, vcc
	v_add_u32_e32 v3, 20, v45
	v_lshlrev_b64 v[14:15], v3, -1
	v_add_u32_e32 v3, 19, v45
	v_lshlrev_b64 v[40:41], v3, 1
	v_bfi_b32 v15, v15, 0, 0
	v_bfi_b32 v14, v14, 0, v34
	v_cmp_eq_u64_e64 s[40:41], v[14:15], v[40:41]
	v_lshrrev_b64 v[14:15], v45, v[34:35]
	v_mov_b32_e32 v41, v15
	v_mov_b32_e32 v40, v14
	s_and_saveexec_b64 s[54:55], s[40:41]
; %bb.5830:                             ;   in Loop: Header=BB2_5702 Depth=3
	v_bfe_u32 v3, v14, 20, 1
	v_add_co_u32_e64 v3, s[40:41], v14, v3
	v_add_co_u32_e64 v40, s[40:41], -1, v3
; %bb.5831:                             ;   in Loop: Header=BB2_5702 Depth=3
	s_or_b64 exec, exec, s[54:55]
	v_add_u32_e32 v3, 0xffffff81, v55
	v_cndmask_b32_e32 v3, v3, v52, vcc
	v_lshrrev_b32_e32 v4, 23, v14
	v_add3_u32 v41, v45, v3, v4
	v_add_u32_e32 v55, 6, v41
	v_and_b32_e32 v3, 0xfffff, v40
	v_add_u32_e32 v34, v3, v14
	v_cmp_ne_u32_e32 vcc, 0, v55
                                        ; implicit-def: $vgpr14_vgpr15
                                        ; implicit-def: $vgpr40
	s_and_saveexec_b64 s[40:41], vcc
	s_xor_b64 s[40:41], exec, s[40:41]
; %bb.5832:                             ;   in Loop: Header=BB2_5702 Depth=3
	v_cmp_lt_u64_e32 vcc, s[94:95], v[34:35]
	v_add_u32_e32 v3, 7, v41
	v_cndmask_b32_e32 v40, v55, v3, vcc
	v_cndmask_b32_e64 v3, 0, 1, vcc
	v_lshrrev_b64 v[14:15], v3, v[34:35]
; %bb.5833:                             ;   in Loop: Header=BB2_5702 Depth=3
	s_andn2_saveexec_b64 s[40:41], s[40:41]
; %bb.5834:                             ;   in Loop: Header=BB2_5702 Depth=3
	v_mov_b32_e32 v14, v34
	v_bfe_u32 v40, v34, 23, 1
	v_mov_b32_e32 v15, v35
; %bb.5835:                             ;   in Loop: Header=BB2_5702 Depth=3
	s_or_b64 exec, exec, s[40:41]
	v_lshrrev_b64 v[14:15], 20, v[14:15]
	v_cmp_gt_i32_e32 vcc, 16, v40
	v_cndmask_b32_e32 v15, 0, v15, vcc
	v_cndmask_b32_e32 v14, 7, v14, vcc
	v_cmp_ne_u64_e32 vcc, 0, v[14:15]
	v_cmp_ne_u32_e64 s[40:41], 0, v40
	s_or_b64 s[40:41], s[40:41], vcc
                                        ; implicit-def: $vgpr55
	s_and_saveexec_b64 vcc, s[40:41]
	s_xor_b64 s[40:41], exec, vcc
; %bb.5836:                             ;   in Loop: Header=BB2_5702 Depth=3
	v_min_i32_e32 v3, 15, v40
	v_lshl_or_b32 v3, v3, 3, v44
	v_and_or_b32 v55, v14, 7, v3
                                        ; implicit-def: $vgpr44
; %bb.5837:                             ;   in Loop: Header=BB2_5702 Depth=3
	s_andn2_saveexec_b64 s[40:41], s[40:41]
; %bb.5838:                             ;   in Loop: Header=BB2_5702 Depth=3
	v_mov_b32_e32 v55, v44
; %bb.5839:                             ;   in Loop: Header=BB2_5702 Depth=3
	s_or_b64 exec, exec, s[40:41]
.LBB2_5840:                             ;   in Loop: Header=BB2_5702 Depth=3
	s_or_b64 exec, exec, s[52:53]
                                        ; implicit-def: $vgpr44
.LBB2_5841:                             ;   in Loop: Header=BB2_5702 Depth=3
	s_andn2_saveexec_b64 s[40:41], s[50:51]
; %bb.5842:                             ;   in Loop: Header=BB2_5702 Depth=3
	v_or_b32_e32 v55, 0x7e, v44
; %bb.5843:                             ;   in Loop: Header=BB2_5702 Depth=3
	s_or_b64 exec, exec, s[40:41]
                                        ; implicit-def: $vgpr15
.LBB2_5844:                             ;   in Loop: Header=BB2_5702 Depth=3
	s_andn2_saveexec_b64 s[40:41], s[48:49]
; %bb.5845:                             ;   in Loop: Header=BB2_5702 Depth=3
	v_or_b32_sdwa v55, v15, s97 dst_sel:DWORD dst_unused:UNUSED_PAD src0_sel:BYTE_3 src1_sel:DWORD
; %bb.5846:                             ;   in Loop: Header=BB2_5702 Depth=3
	s_or_b64 exec, exec, s[40:41]
	v_and_b32_e32 v14, 0xff, v25
	v_cmp_ne_u16_e64 s[40:41], 0, v14
	s_and_b64 vcc, exec, s[28:29]
	s_mov_b64 s[48:49], -1
                                        ; implicit-def: $vgpr15
	s_cbranch_vccnz .LBB2_5860
; %bb.5847:                             ;   in Loop: Header=BB2_5702 Depth=3
	v_mov_b32_e32 v40, 0
	v_mov_b32_e32 v34, 0
	s_and_saveexec_b64 s[48:49], s[40:41]
	s_cbranch_execz .LBB2_5853
; %bb.5848:                             ;   in Loop: Header=BB2_5702 Depth=3
	v_cmp_ne_u16_e32 vcc, s59, v14
	v_bfrev_b32_e32 v34, 1
	s_and_saveexec_b64 s[50:51], vcc
	s_cbranch_execz .LBB2_5852
; %bb.5849:                             ;   in Loop: Header=BB2_5702 Depth=3
	v_and_b32_e32 v15, 0x7f, v25
	v_cmp_ne_u32_e32 vcc, s97, v15
	v_mov_b32_e32 v34, 0x7f800001
	s_and_saveexec_b64 s[52:53], vcc
	s_cbranch_execz .LBB2_5851
; %bb.5850:                             ;   in Loop: Header=BB2_5702 Depth=3
	v_and_b32_e32 v3, 7, v14
	v_lshrrev_b32_e32 v4, 3, v15
	v_cmp_gt_u32_e32 vcc, 8, v15
	v_ffbh_u32_e32 v15, v3
	v_min_u32_e32 v15, 32, v15
	v_subrev_u32_e32 v34, 28, v15
	v_lshlrev_b64 v[44:45], v34, v[14:15]
	v_sub_u32_e32 v15, 29, v15
	v_and_b32_e32 v34, 7, v44
	v_cndmask_b32_e32 v4, v4, v15, vcc
	v_cndmask_b32_e32 v3, v3, v34, vcc
	v_lshlrev_b32_e32 v15, 24, v25
	v_lshlrev_b32_e32 v3, 20, v3
	v_and_b32_e32 v15, 0x80000000, v15
	v_lshl_add_u32 v4, v4, 23, v48
	v_or3_b32 v34, v15, v4, v3
.LBB2_5851:                             ;   in Loop: Header=BB2_5702 Depth=3
	s_or_b64 exec, exec, s[52:53]
.LBB2_5852:                             ;   in Loop: Header=BB2_5702 Depth=3
	s_or_b64 exec, exec, s[50:51]
.LBB2_5853:                             ;   in Loop: Header=BB2_5702 Depth=3
	s_or_b64 exec, exec, s[48:49]
	v_and_b32_e32 v15, 0xff, v24
	v_cmp_ne_u16_e32 vcc, 0, v15
	s_and_saveexec_b64 s[48:49], vcc
	s_cbranch_execz .LBB2_5859
; %bb.5854:                             ;   in Loop: Header=BB2_5702 Depth=3
	v_cmp_ne_u16_e32 vcc, s59, v15
	v_bfrev_b32_e32 v40, 1
	s_and_saveexec_b64 s[50:51], vcc
	s_cbranch_execz .LBB2_5858
; %bb.5855:                             ;   in Loop: Header=BB2_5702 Depth=3
	v_and_b32_e32 v41, 0x7f, v24
	v_cmp_ne_u32_e32 vcc, s97, v41
	v_mov_b32_e32 v40, 0x7f800001
	s_and_saveexec_b64 s[52:53], vcc
	s_cbranch_execz .LBB2_5857
; %bb.5856:                             ;   in Loop: Header=BB2_5702 Depth=3
	v_and_b32_e32 v3, 7, v15
	v_ffbh_u32_e32 v40, v3
	v_min_u32_e32 v44, 32, v40
	v_subrev_u32_e32 v40, 28, v44
	v_lshrrev_b32_e32 v4, 3, v41
	v_cmp_gt_u32_e32 vcc, 8, v41
	v_lshlrev_b64 v[40:41], v40, v[15:16]
	v_sub_u32_e32 v15, 29, v44
	v_and_b32_e32 v40, 7, v40
	v_cndmask_b32_e32 v4, v4, v15, vcc
	v_cndmask_b32_e32 v3, v3, v40, vcc
	v_lshlrev_b32_e32 v15, 24, v24
	v_lshlrev_b32_e32 v3, 20, v3
	v_and_b32_e32 v15, 0x80000000, v15
	v_lshl_add_u32 v4, v4, 23, v48
	v_or3_b32 v40, v15, v4, v3
.LBB2_5857:                             ;   in Loop: Header=BB2_5702 Depth=3
	s_or_b64 exec, exec, s[52:53]
.LBB2_5858:                             ;   in Loop: Header=BB2_5702 Depth=3
	s_or_b64 exec, exec, s[50:51]
.LBB2_5859:                             ;   in Loop: Header=BB2_5702 Depth=3
	s_or_b64 exec, exec, s[48:49]
	v_max_f32_e32 v3, v40, v40
	v_max_f32_e32 v4, v34, v34
	;; [unrolled: 1-line block ×3, first 2 shown]
	s_mov_b64 s[48:49], 0
.LBB2_5860:                             ;   in Loop: Header=BB2_5702 Depth=3
	s_and_b64 vcc, exec, s[48:49]
	s_cbranch_vccz .LBB2_5874
; %bb.5861:                             ;   in Loop: Header=BB2_5702 Depth=3
	v_mov_b32_e32 v34, 0
	v_mov_b32_e32 v15, 0
	s_and_saveexec_b64 s[48:49], s[40:41]
	s_cbranch_execz .LBB2_5867
; %bb.5862:                             ;   in Loop: Header=BB2_5702 Depth=3
	v_cmp_ne_u16_e32 vcc, s59, v14
	v_bfrev_b32_e32 v15, 1
	s_and_saveexec_b64 s[40:41], vcc
	s_cbranch_execz .LBB2_5866
; %bb.5863:                             ;   in Loop: Header=BB2_5702 Depth=3
	v_and_b32_e32 v40, 0x7f, v25
	v_cmp_ne_u32_e32 vcc, s97, v40
	v_mov_b32_e32 v15, 0x7f800001
	s_and_saveexec_b64 s[50:51], vcc
	s_cbranch_execz .LBB2_5865
; %bb.5864:                             ;   in Loop: Header=BB2_5702 Depth=3
	v_and_b32_e32 v3, 7, v14
	v_ffbh_u32_e32 v15, v3
	v_lshrrev_b32_e32 v4, 3, v40
	v_cmp_gt_u32_e32 vcc, 8, v40
	v_min_u32_e32 v40, 32, v15
	v_subrev_u32_e32 v15, 28, v40
	v_lshlrev_b64 v[14:15], v15, v[14:15]
	v_sub_u32_e32 v15, 29, v40
	v_and_b32_e32 v14, 7, v14
	v_cndmask_b32_e32 v4, v4, v15, vcc
	v_cndmask_b32_e32 v3, v3, v14, vcc
	v_lshlrev_b32_e32 v14, 24, v25
	v_lshlrev_b32_e32 v3, 20, v3
	v_and_b32_e32 v14, 0x80000000, v14
	v_lshl_add_u32 v4, v4, 23, v48
	v_or3_b32 v15, v14, v4, v3
.LBB2_5865:                             ;   in Loop: Header=BB2_5702 Depth=3
	s_or_b64 exec, exec, s[50:51]
.LBB2_5866:                             ;   in Loop: Header=BB2_5702 Depth=3
	s_or_b64 exec, exec, s[40:41]
.LBB2_5867:                             ;   in Loop: Header=BB2_5702 Depth=3
	s_or_b64 exec, exec, s[48:49]
	v_and_b32_e32 v14, 0xff, v24
	v_cmp_ne_u16_e32 vcc, 0, v14
	s_and_saveexec_b64 s[40:41], vcc
	s_cbranch_execz .LBB2_5873
; %bb.5868:                             ;   in Loop: Header=BB2_5702 Depth=3
	v_cmp_ne_u16_e32 vcc, s59, v14
	v_bfrev_b32_e32 v34, 1
	s_and_saveexec_b64 s[48:49], vcc
	s_cbranch_execz .LBB2_5872
; %bb.5869:                             ;   in Loop: Header=BB2_5702 Depth=3
	v_and_b32_e32 v25, 0x7f, v24
	v_cmp_ne_u32_e32 vcc, s97, v25
	v_mov_b32_e32 v34, 0x7f800001
	s_and_saveexec_b64 s[50:51], vcc
	s_cbranch_execz .LBB2_5871
; %bb.5870:                             ;   in Loop: Header=BB2_5702 Depth=3
	v_and_b32_e32 v3, 7, v14
	v_lshrrev_b32_e32 v4, 3, v25
	v_cmp_gt_u32_e32 vcc, 8, v25
	v_ffbh_u32_e32 v25, v3
	v_min_u32_e32 v25, 32, v25
	v_subrev_u32_e32 v34, 28, v25
	v_lshlrev_b64 v[40:41], v34, v[14:15]
	v_sub_u32_e32 v14, 29, v25
	v_and_b32_e32 v25, 7, v40
	v_cndmask_b32_e32 v4, v4, v14, vcc
	v_cndmask_b32_e32 v3, v3, v25, vcc
	v_lshlrev_b32_e32 v14, 24, v24
	v_lshlrev_b32_e32 v3, 20, v3
	v_and_b32_e32 v14, 0x80000000, v14
	v_lshl_add_u32 v4, v4, 23, v48
	v_or3_b32 v34, v14, v4, v3
.LBB2_5871:                             ;   in Loop: Header=BB2_5702 Depth=3
	s_or_b64 exec, exec, s[50:51]
.LBB2_5872:                             ;   in Loop: Header=BB2_5702 Depth=3
	s_or_b64 exec, exec, s[48:49]
.LBB2_5873:                             ;   in Loop: Header=BB2_5702 Depth=3
	s_or_b64 exec, exec, s[40:41]
	v_max_f32_e32 v3, v34, v34
	v_max_f32_e32 v4, v15, v15
	v_min_f32_e32 v15, v4, v3
.LBB2_5874:                             ;   in Loop: Header=BB2_5702 Depth=3
	v_and_b32_e32 v34, 0x7f800000, v15
	v_cmp_ne_u64_e32 vcc, s[90:91], v[34:35]
                                        ; implicit-def: $vgpr44
	s_and_saveexec_b64 s[40:41], vcc
	s_xor_b64 s[48:49], exec, s[40:41]
	s_cbranch_execz .LBB2_5892
; %bb.5875:                             ;   in Loop: Header=BB2_5702 Depth=3
	v_and_b32_e32 v34, 0x7fffffff, v15
	v_cmp_gt_u64_e32 vcc, s[92:93], v[34:35]
	v_and_b32_sdwa v24, v15, s59 dst_sel:DWORD dst_unused:UNUSED_PAD src0_sel:BYTE_3 src1_sel:DWORD
                                        ; implicit-def: $vgpr44
	s_and_saveexec_b64 s[40:41], vcc
	s_xor_b64 s[50:51], exec, s[40:41]
	s_cbranch_execz .LBB2_5889
; %bb.5876:                             ;   in Loop: Header=BB2_5702 Depth=3
	v_cmp_ne_u32_e32 vcc, 0, v15
	v_mov_b32_e32 v44, 0
	s_and_saveexec_b64 s[52:53], vcc
	s_cbranch_execz .LBB2_5888
; %bb.5877:                             ;   in Loop: Header=BB2_5702 Depth=3
	v_bfe_u32 v25, v15, 23, 8
	v_cmp_gt_u32_e64 s[40:41], s56, v25
	v_sub_u32_e32 v4, 0x79, v25
	v_and_b32_e32 v3, 0x7fffff, v15
	v_cmp_eq_u32_e32 vcc, 0, v25
	v_cndmask_b32_e64 v4, 0, v4, s[40:41]
	v_mov_b32_e32 v15, 0x78
	v_or_b32_e32 v14, 0x800000, v3
	v_cndmask_b32_e32 v44, v4, v15, vcc
	v_cndmask_b32_e32 v34, v14, v3, vcc
	v_add_u32_e32 v3, 20, v44
	v_lshlrev_b64 v[14:15], v3, -1
	v_add_u32_e32 v3, 19, v44
	v_lshlrev_b64 v[40:41], v3, 1
	v_bfi_b32 v15, v15, 0, 0
	v_bfi_b32 v14, v14, 0, v34
	v_cmp_eq_u64_e64 s[40:41], v[14:15], v[40:41]
	v_lshrrev_b64 v[14:15], v44, v[34:35]
	v_mov_b32_e32 v41, v15
	v_mov_b32_e32 v40, v14
	s_and_saveexec_b64 s[54:55], s[40:41]
; %bb.5878:                             ;   in Loop: Header=BB2_5702 Depth=3
	v_bfe_u32 v3, v14, 20, 1
	v_add_co_u32_e64 v3, s[40:41], v14, v3
	v_add_co_u32_e64 v40, s[40:41], -1, v3
; %bb.5879:                             ;   in Loop: Header=BB2_5702 Depth=3
	s_or_b64 exec, exec, s[54:55]
	v_add_u32_e32 v3, 0xffffff81, v25
	v_cndmask_b32_e32 v3, v3, v52, vcc
	v_lshrrev_b32_e32 v4, 23, v14
	v_add3_u32 v44, v44, v3, v4
	v_add_u32_e32 v41, 6, v44
	v_and_b32_e32 v3, 0xfffff, v40
	v_add_u32_e32 v34, v3, v14
	v_cmp_ne_u32_e32 vcc, 0, v41
                                        ; implicit-def: $vgpr14_vgpr15
                                        ; implicit-def: $vgpr25
	s_and_saveexec_b64 s[40:41], vcc
	s_xor_b64 s[40:41], exec, s[40:41]
; %bb.5880:                             ;   in Loop: Header=BB2_5702 Depth=3
	v_cmp_lt_u64_e32 vcc, s[94:95], v[34:35]
	v_add_u32_e32 v3, 7, v44
	v_cndmask_b32_e32 v25, v41, v3, vcc
	v_cndmask_b32_e64 v3, 0, 1, vcc
	v_lshrrev_b64 v[14:15], v3, v[34:35]
; %bb.5881:                             ;   in Loop: Header=BB2_5702 Depth=3
	s_andn2_saveexec_b64 s[40:41], s[40:41]
; %bb.5882:                             ;   in Loop: Header=BB2_5702 Depth=3
	v_mov_b32_e32 v14, v34
	v_bfe_u32 v25, v34, 23, 1
	v_mov_b32_e32 v15, v35
; %bb.5883:                             ;   in Loop: Header=BB2_5702 Depth=3
	s_or_b64 exec, exec, s[40:41]
	v_lshrrev_b64 v[14:15], 20, v[14:15]
	v_cmp_gt_i32_e32 vcc, 16, v25
	v_cndmask_b32_e32 v15, 0, v15, vcc
	v_cndmask_b32_e32 v14, 7, v14, vcc
	v_cmp_ne_u64_e32 vcc, 0, v[14:15]
	v_cmp_ne_u32_e64 s[40:41], 0, v25
	s_or_b64 s[40:41], s[40:41], vcc
                                        ; implicit-def: $vgpr44
	s_and_saveexec_b64 vcc, s[40:41]
	s_xor_b64 s[40:41], exec, vcc
; %bb.5884:                             ;   in Loop: Header=BB2_5702 Depth=3
	v_min_i32_e32 v3, 15, v25
	v_lshl_or_b32 v3, v3, 3, v24
	v_and_or_b32 v44, v14, 7, v3
                                        ; implicit-def: $vgpr24
; %bb.5885:                             ;   in Loop: Header=BB2_5702 Depth=3
	s_andn2_saveexec_b64 s[40:41], s[40:41]
; %bb.5886:                             ;   in Loop: Header=BB2_5702 Depth=3
	v_mov_b32_e32 v44, v24
; %bb.5887:                             ;   in Loop: Header=BB2_5702 Depth=3
	s_or_b64 exec, exec, s[40:41]
.LBB2_5888:                             ;   in Loop: Header=BB2_5702 Depth=3
	s_or_b64 exec, exec, s[52:53]
                                        ; implicit-def: $vgpr24
.LBB2_5889:                             ;   in Loop: Header=BB2_5702 Depth=3
	s_andn2_saveexec_b64 s[40:41], s[50:51]
; %bb.5890:                             ;   in Loop: Header=BB2_5702 Depth=3
	v_or_b32_e32 v44, 0x7e, v24
; %bb.5891:                             ;   in Loop: Header=BB2_5702 Depth=3
	s_or_b64 exec, exec, s[40:41]
                                        ; implicit-def: $vgpr15
.LBB2_5892:                             ;   in Loop: Header=BB2_5702 Depth=3
	s_andn2_saveexec_b64 s[40:41], s[48:49]
; %bb.5893:                             ;   in Loop: Header=BB2_5702 Depth=3
	v_or_b32_sdwa v44, v15, s97 dst_sel:DWORD dst_unused:UNUSED_PAD src0_sel:BYTE_3 src1_sel:DWORD
; %bb.5894:                             ;   in Loop: Header=BB2_5702 Depth=3
	s_or_b64 exec, exec, s[40:41]
	v_and_b32_e32 v14, 0xff, v43
	v_cmp_ne_u16_e64 s[40:41], 0, v14
	s_and_b64 vcc, exec, s[28:29]
	s_mov_b64 s[48:49], -1
                                        ; implicit-def: $vgpr15
	s_cbranch_vccnz .LBB2_5908
; %bb.5895:                             ;   in Loop: Header=BB2_5702 Depth=3
	v_mov_b32_e32 v25, 0
	v_mov_b32_e32 v24, 0
	s_and_saveexec_b64 s[48:49], s[40:41]
	s_cbranch_execz .LBB2_5901
; %bb.5896:                             ;   in Loop: Header=BB2_5702 Depth=3
	v_cmp_ne_u16_e32 vcc, s59, v14
	v_bfrev_b32_e32 v24, 1
	s_and_saveexec_b64 s[50:51], vcc
	s_cbranch_execz .LBB2_5900
; %bb.5897:                             ;   in Loop: Header=BB2_5702 Depth=3
	v_and_b32_e32 v15, 0x7f, v43
	v_cmp_ne_u32_e32 vcc, s97, v15
	v_mov_b32_e32 v24, 0x7f800001
	s_and_saveexec_b64 s[52:53], vcc
	s_cbranch_execz .LBB2_5899
; %bb.5898:                             ;   in Loop: Header=BB2_5702 Depth=3
	v_and_b32_e32 v3, 7, v14
	v_lshrrev_b32_e32 v4, 3, v15
	v_cmp_gt_u32_e32 vcc, 8, v15
	v_ffbh_u32_e32 v15, v3
	v_min_u32_e32 v15, 32, v15
	v_subrev_u32_e32 v24, 28, v15
	v_lshlrev_b64 v[40:41], v24, v[14:15]
	v_sub_u32_e32 v15, 29, v15
	v_and_b32_e32 v24, 7, v40
	v_cndmask_b32_e32 v4, v4, v15, vcc
	v_cndmask_b32_e32 v3, v3, v24, vcc
	v_lshlrev_b32_e32 v15, 24, v43
	v_lshlrev_b32_e32 v3, 20, v3
	v_and_b32_e32 v15, 0x80000000, v15
	v_lshl_add_u32 v4, v4, 23, v48
	v_or3_b32 v24, v15, v4, v3
.LBB2_5899:                             ;   in Loop: Header=BB2_5702 Depth=3
	s_or_b64 exec, exec, s[52:53]
.LBB2_5900:                             ;   in Loop: Header=BB2_5702 Depth=3
	s_or_b64 exec, exec, s[50:51]
.LBB2_5901:                             ;   in Loop: Header=BB2_5702 Depth=3
	s_or_b64 exec, exec, s[48:49]
	v_and_b32_e32 v15, 0xff, v42
	v_cmp_ne_u16_e32 vcc, 0, v15
	s_and_saveexec_b64 s[48:49], vcc
	s_cbranch_execz .LBB2_5907
; %bb.5902:                             ;   in Loop: Header=BB2_5702 Depth=3
	v_cmp_ne_u16_e32 vcc, s59, v15
	v_bfrev_b32_e32 v25, 1
	s_and_saveexec_b64 s[50:51], vcc
	s_cbranch_execz .LBB2_5906
; %bb.5903:                             ;   in Loop: Header=BB2_5702 Depth=3
	v_and_b32_e32 v34, 0x7f, v42
	v_cmp_ne_u32_e32 vcc, s97, v34
	v_mov_b32_e32 v25, 0x7f800001
	s_and_saveexec_b64 s[52:53], vcc
	s_cbranch_execz .LBB2_5905
; %bb.5904:                             ;   in Loop: Header=BB2_5702 Depth=3
	v_and_b32_e32 v3, 7, v15
	v_ffbh_u32_e32 v25, v3
	v_min_u32_e32 v25, 32, v25
	v_lshrrev_b32_e32 v4, 3, v34
	v_cmp_gt_u32_e32 vcc, 8, v34
	v_subrev_u32_e32 v34, 28, v25
	v_lshlrev_b64 v[40:41], v34, v[15:16]
	v_sub_u32_e32 v15, 29, v25
	v_and_b32_e32 v25, 7, v40
	v_cndmask_b32_e32 v4, v4, v15, vcc
	v_cndmask_b32_e32 v3, v3, v25, vcc
	v_lshlrev_b32_e32 v15, 24, v42
	v_lshlrev_b32_e32 v3, 20, v3
	v_and_b32_e32 v15, 0x80000000, v15
	v_lshl_add_u32 v4, v4, 23, v48
	v_or3_b32 v25, v15, v4, v3
.LBB2_5905:                             ;   in Loop: Header=BB2_5702 Depth=3
	s_or_b64 exec, exec, s[52:53]
.LBB2_5906:                             ;   in Loop: Header=BB2_5702 Depth=3
	s_or_b64 exec, exec, s[50:51]
.LBB2_5907:                             ;   in Loop: Header=BB2_5702 Depth=3
	s_or_b64 exec, exec, s[48:49]
	v_max_f32_e32 v3, v25, v25
	v_max_f32_e32 v4, v24, v24
	;; [unrolled: 1-line block ×3, first 2 shown]
	s_mov_b64 s[48:49], 0
.LBB2_5908:                             ;   in Loop: Header=BB2_5702 Depth=3
	s_and_b64 vcc, exec, s[48:49]
	s_cbranch_vccz .LBB2_5922
; %bb.5909:                             ;   in Loop: Header=BB2_5702 Depth=3
	v_mov_b32_e32 v24, 0
	v_mov_b32_e32 v15, 0
	s_and_saveexec_b64 s[48:49], s[40:41]
	s_cbranch_execz .LBB2_5915
; %bb.5910:                             ;   in Loop: Header=BB2_5702 Depth=3
	v_cmp_ne_u16_e32 vcc, s59, v14
	v_bfrev_b32_e32 v15, 1
	s_and_saveexec_b64 s[40:41], vcc
	s_cbranch_execz .LBB2_5914
; %bb.5911:                             ;   in Loop: Header=BB2_5702 Depth=3
	v_and_b32_e32 v25, 0x7f, v43
	v_cmp_ne_u32_e32 vcc, s97, v25
	v_mov_b32_e32 v15, 0x7f800001
	s_and_saveexec_b64 s[50:51], vcc
	s_cbranch_execz .LBB2_5913
; %bb.5912:                             ;   in Loop: Header=BB2_5702 Depth=3
	v_and_b32_e32 v3, 7, v14
	v_ffbh_u32_e32 v15, v3
	v_lshrrev_b32_e32 v4, 3, v25
	v_cmp_gt_u32_e32 vcc, 8, v25
	v_min_u32_e32 v25, 32, v15
	v_subrev_u32_e32 v15, 28, v25
	v_lshlrev_b64 v[14:15], v15, v[14:15]
	v_sub_u32_e32 v15, 29, v25
	v_and_b32_e32 v14, 7, v14
	v_cndmask_b32_e32 v4, v4, v15, vcc
	v_cndmask_b32_e32 v3, v3, v14, vcc
	v_lshlrev_b32_e32 v14, 24, v43
	v_lshlrev_b32_e32 v3, 20, v3
	v_and_b32_e32 v14, 0x80000000, v14
	v_lshl_add_u32 v4, v4, 23, v48
	v_or3_b32 v15, v14, v4, v3
.LBB2_5913:                             ;   in Loop: Header=BB2_5702 Depth=3
	s_or_b64 exec, exec, s[50:51]
.LBB2_5914:                             ;   in Loop: Header=BB2_5702 Depth=3
	s_or_b64 exec, exec, s[40:41]
.LBB2_5915:                             ;   in Loop: Header=BB2_5702 Depth=3
	s_or_b64 exec, exec, s[48:49]
	v_and_b32_e32 v14, 0xff, v42
	v_cmp_ne_u16_e32 vcc, 0, v14
	s_and_saveexec_b64 s[40:41], vcc
	s_cbranch_execz .LBB2_5921
; %bb.5916:                             ;   in Loop: Header=BB2_5702 Depth=3
	v_cmp_ne_u16_e32 vcc, s59, v14
	v_bfrev_b32_e32 v24, 1
	s_and_saveexec_b64 s[48:49], vcc
	s_cbranch_execz .LBB2_5920
; %bb.5917:                             ;   in Loop: Header=BB2_5702 Depth=3
	v_and_b32_e32 v25, 0x7f, v42
	v_cmp_ne_u32_e32 vcc, s97, v25
	v_mov_b32_e32 v24, 0x7f800001
	s_and_saveexec_b64 s[50:51], vcc
	s_cbranch_execz .LBB2_5919
; %bb.5918:                             ;   in Loop: Header=BB2_5702 Depth=3
	v_and_b32_e32 v3, 7, v14
	v_ffbh_u32_e32 v24, v3
	v_min_u32_e32 v34, 32, v24
	v_subrev_u32_e32 v24, 28, v34
	v_lshrrev_b32_e32 v4, 3, v25
	v_cmp_gt_u32_e32 vcc, 8, v25
	v_lshlrev_b64 v[24:25], v24, v[14:15]
	v_sub_u32_e32 v14, 29, v34
	v_and_b32_e32 v24, 7, v24
	v_cndmask_b32_e32 v4, v4, v14, vcc
	v_cndmask_b32_e32 v3, v3, v24, vcc
	v_lshlrev_b32_e32 v14, 24, v42
	v_lshlrev_b32_e32 v3, 20, v3
	v_and_b32_e32 v14, 0x80000000, v14
	v_lshl_add_u32 v4, v4, 23, v48
	v_or3_b32 v24, v14, v4, v3
.LBB2_5919:                             ;   in Loop: Header=BB2_5702 Depth=3
	s_or_b64 exec, exec, s[50:51]
.LBB2_5920:                             ;   in Loop: Header=BB2_5702 Depth=3
	s_or_b64 exec, exec, s[48:49]
.LBB2_5921:                             ;   in Loop: Header=BB2_5702 Depth=3
	s_or_b64 exec, exec, s[40:41]
	v_max_f32_e32 v3, v24, v24
	v_max_f32_e32 v4, v15, v15
	v_min_f32_e32 v15, v4, v3
.LBB2_5922:                             ;   in Loop: Header=BB2_5702 Depth=3
	v_and_b32_e32 v34, 0x7f800000, v15
	v_cmp_ne_u64_e32 vcc, s[90:91], v[34:35]
                                        ; implicit-def: $vgpr24
	s_and_saveexec_b64 s[40:41], vcc
	s_xor_b64 s[48:49], exec, s[40:41]
	s_cbranch_execz .LBB2_5940
; %bb.5923:                             ;   in Loop: Header=BB2_5702 Depth=3
	v_and_b32_e32 v34, 0x7fffffff, v15
	v_cmp_gt_u64_e32 vcc, s[92:93], v[34:35]
	v_and_b32_sdwa v25, v15, s59 dst_sel:DWORD dst_unused:UNUSED_PAD src0_sel:BYTE_3 src1_sel:DWORD
                                        ; implicit-def: $vgpr24
	s_and_saveexec_b64 s[40:41], vcc
	s_xor_b64 s[50:51], exec, s[40:41]
	s_cbranch_execz .LBB2_5937
; %bb.5924:                             ;   in Loop: Header=BB2_5702 Depth=3
	v_cmp_ne_u32_e32 vcc, 0, v15
	v_mov_b32_e32 v24, 0
	s_and_saveexec_b64 s[52:53], vcc
	s_cbranch_execz .LBB2_5936
; %bb.5925:                             ;   in Loop: Header=BB2_5702 Depth=3
	v_bfe_u32 v24, v15, 23, 8
	v_cmp_gt_u32_e64 s[40:41], s56, v24
	v_sub_u32_e32 v4, 0x79, v24
	v_and_b32_e32 v3, 0x7fffff, v15
	v_cmp_eq_u32_e32 vcc, 0, v24
	v_cndmask_b32_e64 v4, 0, v4, s[40:41]
	v_mov_b32_e32 v15, 0x78
	v_or_b32_e32 v14, 0x800000, v3
	v_cndmask_b32_e32 v42, v4, v15, vcc
	v_cndmask_b32_e32 v34, v14, v3, vcc
	v_add_u32_e32 v3, 20, v42
	v_lshlrev_b64 v[14:15], v3, -1
	v_add_u32_e32 v3, 19, v42
	v_lshlrev_b64 v[40:41], v3, 1
	v_bfi_b32 v15, v15, 0, 0
	v_bfi_b32 v14, v14, 0, v34
	v_cmp_eq_u64_e64 s[40:41], v[14:15], v[40:41]
	v_lshrrev_b64 v[14:15], v42, v[34:35]
	v_mov_b32_e32 v41, v15
	v_mov_b32_e32 v40, v14
	s_and_saveexec_b64 s[54:55], s[40:41]
; %bb.5926:                             ;   in Loop: Header=BB2_5702 Depth=3
	v_bfe_u32 v3, v14, 20, 1
	v_add_co_u32_e64 v3, s[40:41], v14, v3
	v_add_co_u32_e64 v40, s[40:41], -1, v3
; %bb.5927:                             ;   in Loop: Header=BB2_5702 Depth=3
	s_or_b64 exec, exec, s[54:55]
	v_add_u32_e32 v3, 0xffffff81, v24
	v_cndmask_b32_e32 v3, v3, v52, vcc
	v_lshrrev_b32_e32 v4, 23, v14
	v_add3_u32 v41, v42, v3, v4
	v_add_u32_e32 v24, 6, v41
	v_and_b32_e32 v3, 0xfffff, v40
	v_add_u32_e32 v34, v3, v14
	v_cmp_ne_u32_e32 vcc, 0, v24
                                        ; implicit-def: $vgpr14_vgpr15
                                        ; implicit-def: $vgpr40
	s_and_saveexec_b64 s[40:41], vcc
	s_xor_b64 s[40:41], exec, s[40:41]
; %bb.5928:                             ;   in Loop: Header=BB2_5702 Depth=3
	v_cmp_lt_u64_e32 vcc, s[94:95], v[34:35]
	v_add_u32_e32 v3, 7, v41
	v_cndmask_b32_e32 v40, v24, v3, vcc
	v_cndmask_b32_e64 v3, 0, 1, vcc
	v_lshrrev_b64 v[14:15], v3, v[34:35]
; %bb.5929:                             ;   in Loop: Header=BB2_5702 Depth=3
	s_andn2_saveexec_b64 s[40:41], s[40:41]
; %bb.5930:                             ;   in Loop: Header=BB2_5702 Depth=3
	v_mov_b32_e32 v14, v34
	v_bfe_u32 v40, v34, 23, 1
	v_mov_b32_e32 v15, v35
; %bb.5931:                             ;   in Loop: Header=BB2_5702 Depth=3
	s_or_b64 exec, exec, s[40:41]
	v_lshrrev_b64 v[14:15], 20, v[14:15]
	v_cmp_gt_i32_e32 vcc, 16, v40
	v_cndmask_b32_e32 v15, 0, v15, vcc
	v_cndmask_b32_e32 v14, 7, v14, vcc
	v_cmp_ne_u64_e32 vcc, 0, v[14:15]
	v_cmp_ne_u32_e64 s[40:41], 0, v40
	s_or_b64 s[40:41], s[40:41], vcc
                                        ; implicit-def: $vgpr24
	s_and_saveexec_b64 vcc, s[40:41]
	s_xor_b64 s[40:41], exec, vcc
; %bb.5932:                             ;   in Loop: Header=BB2_5702 Depth=3
	v_min_i32_e32 v3, 15, v40
	v_lshl_or_b32 v3, v3, 3, v25
	v_and_or_b32 v24, v14, 7, v3
                                        ; implicit-def: $vgpr25
; %bb.5933:                             ;   in Loop: Header=BB2_5702 Depth=3
	s_andn2_saveexec_b64 s[40:41], s[40:41]
; %bb.5934:                             ;   in Loop: Header=BB2_5702 Depth=3
	v_mov_b32_e32 v24, v25
; %bb.5935:                             ;   in Loop: Header=BB2_5702 Depth=3
	s_or_b64 exec, exec, s[40:41]
.LBB2_5936:                             ;   in Loop: Header=BB2_5702 Depth=3
	s_or_b64 exec, exec, s[52:53]
                                        ; implicit-def: $vgpr25
.LBB2_5937:                             ;   in Loop: Header=BB2_5702 Depth=3
	s_andn2_saveexec_b64 s[40:41], s[50:51]
; %bb.5938:                             ;   in Loop: Header=BB2_5702 Depth=3
	v_or_b32_e32 v24, 0x7e, v25
; %bb.5939:                             ;   in Loop: Header=BB2_5702 Depth=3
	s_or_b64 exec, exec, s[40:41]
                                        ; implicit-def: $vgpr15
.LBB2_5940:                             ;   in Loop: Header=BB2_5702 Depth=3
	s_andn2_saveexec_b64 s[40:41], s[48:49]
; %bb.5941:                             ;   in Loop: Header=BB2_5702 Depth=3
	v_or_b32_sdwa v24, v15, s97 dst_sel:DWORD dst_unused:UNUSED_PAD src0_sel:BYTE_3 src1_sel:DWORD
; %bb.5942:                             ;   in Loop: Header=BB2_5702 Depth=3
	s_or_b64 exec, exec, s[40:41]
	v_and_b32_e32 v14, 0xff, v53
	v_cmp_ne_u16_e64 s[40:41], 0, v14
	s_and_b64 vcc, exec, s[28:29]
	s_mov_b64 s[48:49], -1
                                        ; implicit-def: $vgpr15
	s_cbranch_vccnz .LBB2_5956
; %bb.5943:                             ;   in Loop: Header=BB2_5702 Depth=3
	v_mov_b32_e32 v34, 0
	v_mov_b32_e32 v25, 0
	s_and_saveexec_b64 s[48:49], s[40:41]
	s_cbranch_execz .LBB2_5949
; %bb.5944:                             ;   in Loop: Header=BB2_5702 Depth=3
	v_cmp_ne_u16_e32 vcc, s59, v14
	v_bfrev_b32_e32 v25, 1
	s_and_saveexec_b64 s[50:51], vcc
	s_cbranch_execz .LBB2_5948
; %bb.5945:                             ;   in Loop: Header=BB2_5702 Depth=3
	v_and_b32_e32 v15, 0x7f, v53
	v_cmp_ne_u32_e32 vcc, s97, v15
	v_mov_b32_e32 v25, 0x7f800001
	s_and_saveexec_b64 s[52:53], vcc
	s_cbranch_execz .LBB2_5947
; %bb.5946:                             ;   in Loop: Header=BB2_5702 Depth=3
	v_and_b32_e32 v3, 7, v14
	v_lshrrev_b32_e32 v4, 3, v15
	v_cmp_gt_u32_e32 vcc, 8, v15
	v_ffbh_u32_e32 v15, v3
	v_min_u32_e32 v15, 32, v15
	v_subrev_u32_e32 v25, 28, v15
	v_lshlrev_b64 v[40:41], v25, v[14:15]
	v_sub_u32_e32 v15, 29, v15
	v_and_b32_e32 v25, 7, v40
	v_cndmask_b32_e32 v4, v4, v15, vcc
	v_cndmask_b32_e32 v3, v3, v25, vcc
	v_lshlrev_b32_e32 v15, 24, v53
	v_lshlrev_b32_e32 v3, 20, v3
	v_and_b32_e32 v15, 0x80000000, v15
	v_lshl_add_u32 v4, v4, 23, v48
	v_or3_b32 v25, v15, v4, v3
.LBB2_5947:                             ;   in Loop: Header=BB2_5702 Depth=3
	s_or_b64 exec, exec, s[52:53]
.LBB2_5948:                             ;   in Loop: Header=BB2_5702 Depth=3
	s_or_b64 exec, exec, s[50:51]
.LBB2_5949:                             ;   in Loop: Header=BB2_5702 Depth=3
	s_or_b64 exec, exec, s[48:49]
	v_and_b32_e32 v15, 0xff, v1
	v_cmp_ne_u16_e32 vcc, 0, v15
	s_and_saveexec_b64 s[48:49], vcc
	s_cbranch_execz .LBB2_5955
; %bb.5950:                             ;   in Loop: Header=BB2_5702 Depth=3
	v_cmp_ne_u16_e32 vcc, s59, v15
	v_bfrev_b32_e32 v34, 1
	s_and_saveexec_b64 s[50:51], vcc
	s_cbranch_execz .LBB2_5954
; %bb.5951:                             ;   in Loop: Header=BB2_5702 Depth=3
	v_and_b32_e32 v40, 0x7f, v1
	v_cmp_ne_u32_e32 vcc, s97, v40
	v_mov_b32_e32 v34, 0x7f800001
	s_and_saveexec_b64 s[52:53], vcc
	s_cbranch_execz .LBB2_5953
; %bb.5952:                             ;   in Loop: Header=BB2_5702 Depth=3
	v_and_b32_e32 v3, 7, v15
	v_ffbh_u32_e32 v34, v3
	v_min_u32_e32 v34, 32, v34
	v_lshrrev_b32_e32 v4, 3, v40
	v_cmp_gt_u32_e32 vcc, 8, v40
	v_subrev_u32_e32 v40, 28, v34
	v_lshlrev_b64 v[40:41], v40, v[15:16]
	v_sub_u32_e32 v15, 29, v34
	v_and_b32_e32 v34, 7, v40
	v_cndmask_b32_e32 v4, v4, v15, vcc
	v_cndmask_b32_e32 v3, v3, v34, vcc
	v_lshlrev_b32_e32 v15, 24, v1
	v_lshlrev_b32_e32 v3, 20, v3
	v_and_b32_e32 v15, 0x80000000, v15
	v_lshl_add_u32 v4, v4, 23, v48
	v_or3_b32 v34, v15, v4, v3
.LBB2_5953:                             ;   in Loop: Header=BB2_5702 Depth=3
	s_or_b64 exec, exec, s[52:53]
.LBB2_5954:                             ;   in Loop: Header=BB2_5702 Depth=3
	s_or_b64 exec, exec, s[50:51]
.LBB2_5955:                             ;   in Loop: Header=BB2_5702 Depth=3
	s_or_b64 exec, exec, s[48:49]
	v_max_f32_e32 v3, v34, v34
	v_max_f32_e32 v4, v25, v25
	;; [unrolled: 1-line block ×3, first 2 shown]
	s_mov_b64 s[48:49], 0
.LBB2_5956:                             ;   in Loop: Header=BB2_5702 Depth=3
	s_and_b64 vcc, exec, s[48:49]
	s_cbranch_vccz .LBB2_5970
; %bb.5957:                             ;   in Loop: Header=BB2_5702 Depth=3
	v_mov_b32_e32 v25, 0
	v_mov_b32_e32 v15, 0
	s_and_saveexec_b64 s[48:49], s[40:41]
	s_cbranch_execz .LBB2_5963
; %bb.5958:                             ;   in Loop: Header=BB2_5702 Depth=3
	v_cmp_ne_u16_e32 vcc, s59, v14
	v_bfrev_b32_e32 v15, 1
	s_and_saveexec_b64 s[40:41], vcc
	s_cbranch_execz .LBB2_5962
; %bb.5959:                             ;   in Loop: Header=BB2_5702 Depth=3
	v_and_b32_e32 v34, 0x7f, v53
	v_cmp_ne_u32_e32 vcc, s97, v34
	v_mov_b32_e32 v15, 0x7f800001
	s_and_saveexec_b64 s[50:51], vcc
	s_cbranch_execz .LBB2_5961
; %bb.5960:                             ;   in Loop: Header=BB2_5702 Depth=3
	v_and_b32_e32 v3, 7, v14
	v_ffbh_u32_e32 v15, v3
	v_lshrrev_b32_e32 v4, 3, v34
	v_cmp_gt_u32_e32 vcc, 8, v34
	v_min_u32_e32 v34, 32, v15
	v_subrev_u32_e32 v15, 28, v34
	v_lshlrev_b64 v[14:15], v15, v[14:15]
	v_sub_u32_e32 v15, 29, v34
	v_and_b32_e32 v14, 7, v14
	v_cndmask_b32_e32 v4, v4, v15, vcc
	v_cndmask_b32_e32 v3, v3, v14, vcc
	v_lshlrev_b32_e32 v14, 24, v53
	v_lshlrev_b32_e32 v3, 20, v3
	v_and_b32_e32 v14, 0x80000000, v14
	v_lshl_add_u32 v4, v4, 23, v48
	v_or3_b32 v15, v14, v4, v3
.LBB2_5961:                             ;   in Loop: Header=BB2_5702 Depth=3
	s_or_b64 exec, exec, s[50:51]
.LBB2_5962:                             ;   in Loop: Header=BB2_5702 Depth=3
	s_or_b64 exec, exec, s[40:41]
.LBB2_5963:                             ;   in Loop: Header=BB2_5702 Depth=3
	s_or_b64 exec, exec, s[48:49]
	v_and_b32_e32 v14, 0xff, v1
	v_cmp_ne_u16_e32 vcc, 0, v14
	s_and_saveexec_b64 s[40:41], vcc
	s_cbranch_execz .LBB2_5969
; %bb.5964:                             ;   in Loop: Header=BB2_5702 Depth=3
	v_cmp_ne_u16_e32 vcc, s59, v14
	v_bfrev_b32_e32 v25, 1
	s_and_saveexec_b64 s[48:49], vcc
	s_cbranch_execz .LBB2_5968
; %bb.5965:                             ;   in Loop: Header=BB2_5702 Depth=3
	v_and_b32_e32 v34, 0x7f, v1
	v_cmp_ne_u32_e32 vcc, s97, v34
	v_mov_b32_e32 v25, 0x7f800001
	s_and_saveexec_b64 s[50:51], vcc
	s_cbranch_execz .LBB2_5967
; %bb.5966:                             ;   in Loop: Header=BB2_5702 Depth=3
	v_and_b32_e32 v3, 7, v14
	v_ffbh_u32_e32 v25, v3
	v_min_u32_e32 v25, 32, v25
	v_lshrrev_b32_e32 v4, 3, v34
	v_cmp_gt_u32_e32 vcc, 8, v34
	v_subrev_u32_e32 v34, 28, v25
	v_lshlrev_b64 v[40:41], v34, v[14:15]
	v_sub_u32_e32 v14, 29, v25
	v_and_b32_e32 v25, 7, v40
	v_cndmask_b32_e32 v4, v4, v14, vcc
	v_cndmask_b32_e32 v3, v3, v25, vcc
	v_lshlrev_b32_e32 v1, 24, v1
	v_lshlrev_b32_e32 v3, 20, v3
	v_and_b32_e32 v1, 0x80000000, v1
	v_lshl_add_u32 v4, v4, 23, v48
	v_or3_b32 v25, v1, v4, v3
.LBB2_5967:                             ;   in Loop: Header=BB2_5702 Depth=3
	s_or_b64 exec, exec, s[50:51]
.LBB2_5968:                             ;   in Loop: Header=BB2_5702 Depth=3
	s_or_b64 exec, exec, s[48:49]
.LBB2_5969:                             ;   in Loop: Header=BB2_5702 Depth=3
	s_or_b64 exec, exec, s[40:41]
	v_max_f32_e32 v1, v25, v25
	v_max_f32_e32 v3, v15, v15
	v_min_f32_e32 v15, v3, v1
.LBB2_5970:                             ;   in Loop: Header=BB2_5702 Depth=3
	v_and_b32_e32 v34, 0x7f800000, v15
	v_cmp_ne_u64_e32 vcc, s[90:91], v[34:35]
                                        ; implicit-def: $vgpr1
	s_and_saveexec_b64 s[40:41], vcc
	s_xor_b64 s[48:49], exec, s[40:41]
	s_cbranch_execz .LBB2_5988
; %bb.5971:                             ;   in Loop: Header=BB2_5702 Depth=3
	v_and_b32_e32 v34, 0x7fffffff, v15
	v_cmp_gt_u64_e32 vcc, s[92:93], v[34:35]
	v_and_b32_sdwa v25, v15, s59 dst_sel:DWORD dst_unused:UNUSED_PAD src0_sel:BYTE_3 src1_sel:DWORD
                                        ; implicit-def: $vgpr1
	s_and_saveexec_b64 s[40:41], vcc
	s_xor_b64 s[50:51], exec, s[40:41]
	s_cbranch_execz .LBB2_5985
; %bb.5972:                             ;   in Loop: Header=BB2_5702 Depth=3
	v_cmp_ne_u32_e32 vcc, 0, v15
	v_mov_b32_e32 v1, 0
	s_and_saveexec_b64 s[52:53], vcc
	s_cbranch_execz .LBB2_5984
; %bb.5973:                             ;   in Loop: Header=BB2_5702 Depth=3
	v_bfe_u32 v1, v15, 23, 8
	v_cmp_gt_u32_e64 s[40:41], s56, v1
	v_sub_u32_e32 v4, 0x79, v1
	v_and_b32_e32 v3, 0x7fffff, v15
	v_cmp_eq_u32_e32 vcc, 0, v1
	v_cndmask_b32_e64 v4, 0, v4, s[40:41]
	v_mov_b32_e32 v15, 0x78
	v_or_b32_e32 v14, 0x800000, v3
	v_cndmask_b32_e32 v53, v4, v15, vcc
	v_cndmask_b32_e32 v34, v14, v3, vcc
	v_add_u32_e32 v3, 20, v53
	v_lshlrev_b64 v[14:15], v3, -1
	v_add_u32_e32 v3, 19, v53
	v_lshlrev_b64 v[40:41], v3, 1
	v_bfi_b32 v15, v15, 0, 0
	v_bfi_b32 v14, v14, 0, v34
	v_cmp_eq_u64_e64 s[40:41], v[14:15], v[40:41]
	v_lshrrev_b64 v[14:15], v53, v[34:35]
	v_mov_b32_e32 v41, v15
	v_mov_b32_e32 v40, v14
	s_and_saveexec_b64 s[54:55], s[40:41]
; %bb.5974:                             ;   in Loop: Header=BB2_5702 Depth=3
	v_bfe_u32 v3, v14, 20, 1
	v_add_co_u32_e64 v3, s[40:41], v14, v3
	v_add_co_u32_e64 v40, s[40:41], -1, v3
; %bb.5975:                             ;   in Loop: Header=BB2_5702 Depth=3
	s_or_b64 exec, exec, s[54:55]
	v_add_u32_e32 v1, 0xffffff81, v1
	v_cndmask_b32_e32 v1, v1, v52, vcc
	v_lshrrev_b32_e32 v3, 23, v14
	v_add3_u32 v41, v53, v1, v3
	v_add_u32_e32 v1, 6, v41
	v_and_b32_e32 v3, 0xfffff, v40
	v_add_u32_e32 v34, v3, v14
	v_cmp_ne_u32_e32 vcc, 0, v1
                                        ; implicit-def: $vgpr14_vgpr15
                                        ; implicit-def: $vgpr53
	s_and_saveexec_b64 s[40:41], vcc
	s_xor_b64 s[40:41], exec, s[40:41]
; %bb.5976:                             ;   in Loop: Header=BB2_5702 Depth=3
	v_cmp_lt_u64_e32 vcc, s[94:95], v[34:35]
	v_add_u32_e32 v3, 7, v41
	v_cndmask_b32_e32 v53, v1, v3, vcc
	v_cndmask_b32_e64 v1, 0, 1, vcc
	v_lshrrev_b64 v[14:15], v1, v[34:35]
; %bb.5977:                             ;   in Loop: Header=BB2_5702 Depth=3
	s_andn2_saveexec_b64 s[40:41], s[40:41]
; %bb.5978:                             ;   in Loop: Header=BB2_5702 Depth=3
	v_mov_b32_e32 v14, v34
	v_bfe_u32 v53, v34, 23, 1
	v_mov_b32_e32 v15, v35
; %bb.5979:                             ;   in Loop: Header=BB2_5702 Depth=3
	s_or_b64 exec, exec, s[40:41]
	v_lshrrev_b64 v[14:15], 20, v[14:15]
	v_cmp_gt_i32_e32 vcc, 16, v53
	v_cndmask_b32_e32 v15, 0, v15, vcc
	v_cndmask_b32_e32 v14, 7, v14, vcc
	v_cmp_ne_u64_e32 vcc, 0, v[14:15]
	v_cmp_ne_u32_e64 s[40:41], 0, v53
	s_or_b64 s[40:41], s[40:41], vcc
                                        ; implicit-def: $vgpr1
	s_and_saveexec_b64 vcc, s[40:41]
	s_xor_b64 s[40:41], exec, vcc
; %bb.5980:                             ;   in Loop: Header=BB2_5702 Depth=3
	v_min_i32_e32 v1, 15, v53
	v_lshl_or_b32 v1, v1, 3, v25
	v_and_or_b32 v1, v14, 7, v1
                                        ; implicit-def: $vgpr25
; %bb.5981:                             ;   in Loop: Header=BB2_5702 Depth=3
	s_andn2_saveexec_b64 s[40:41], s[40:41]
; %bb.5982:                             ;   in Loop: Header=BB2_5702 Depth=3
	v_mov_b32_e32 v1, v25
; %bb.5983:                             ;   in Loop: Header=BB2_5702 Depth=3
	s_or_b64 exec, exec, s[40:41]
.LBB2_5984:                             ;   in Loop: Header=BB2_5702 Depth=3
	s_or_b64 exec, exec, s[52:53]
                                        ; implicit-def: $vgpr25
.LBB2_5985:                             ;   in Loop: Header=BB2_5702 Depth=3
	s_andn2_saveexec_b64 s[40:41], s[50:51]
; %bb.5986:                             ;   in Loop: Header=BB2_5702 Depth=3
	v_or_b32_e32 v1, 0x7e, v25
; %bb.5987:                             ;   in Loop: Header=BB2_5702 Depth=3
	s_or_b64 exec, exec, s[40:41]
                                        ; implicit-def: $vgpr15
.LBB2_5988:                             ;   in Loop: Header=BB2_5702 Depth=3
	s_andn2_saveexec_b64 s[40:41], s[48:49]
; %bb.5989:                             ;   in Loop: Header=BB2_5702 Depth=3
	v_or_b32_sdwa v1, v15, s97 dst_sel:DWORD dst_unused:UNUSED_PAD src0_sel:BYTE_3 src1_sel:DWORD
; %bb.5990:                             ;   in Loop: Header=BB2_5702 Depth=3
	s_or_b64 exec, exec, s[40:41]
	v_and_b32_e32 v14, 0xff, v38
	v_cmp_ne_u16_e64 s[40:41], 0, v14
	s_and_b64 vcc, exec, s[28:29]
	s_mov_b64 s[48:49], -1
                                        ; implicit-def: $vgpr15
	s_cbranch_vccnz .LBB2_6004
; %bb.5991:                             ;   in Loop: Header=BB2_5702 Depth=3
	v_mov_b32_e32 v34, 0
	v_mov_b32_e32 v25, 0
	s_and_saveexec_b64 s[48:49], s[40:41]
	s_cbranch_execz .LBB2_5997
; %bb.5992:                             ;   in Loop: Header=BB2_5702 Depth=3
	v_cmp_ne_u16_e32 vcc, s59, v14
	v_bfrev_b32_e32 v25, 1
	s_and_saveexec_b64 s[50:51], vcc
	s_cbranch_execz .LBB2_5996
; %bb.5993:                             ;   in Loop: Header=BB2_5702 Depth=3
	v_and_b32_e32 v15, 0x7f, v38
	v_cmp_ne_u32_e32 vcc, s97, v15
	v_mov_b32_e32 v25, 0x7f800001
	s_and_saveexec_b64 s[52:53], vcc
	s_cbranch_execz .LBB2_5995
; %bb.5994:                             ;   in Loop: Header=BB2_5702 Depth=3
	v_and_b32_e32 v3, 7, v14
	v_lshrrev_b32_e32 v4, 3, v15
	v_cmp_gt_u32_e32 vcc, 8, v15
	v_ffbh_u32_e32 v15, v3
	v_min_u32_e32 v15, 32, v15
	v_subrev_u32_e32 v25, 28, v15
	v_lshlrev_b64 v[40:41], v25, v[14:15]
	v_sub_u32_e32 v15, 29, v15
	v_and_b32_e32 v25, 7, v40
	v_cndmask_b32_e32 v4, v4, v15, vcc
	v_cndmask_b32_e32 v3, v3, v25, vcc
	v_lshlrev_b32_e32 v15, 24, v38
	v_lshlrev_b32_e32 v3, 20, v3
	v_and_b32_e32 v15, 0x80000000, v15
	v_lshl_add_u32 v4, v4, 23, v48
	v_or3_b32 v25, v15, v4, v3
.LBB2_5995:                             ;   in Loop: Header=BB2_5702 Depth=3
	s_or_b64 exec, exec, s[52:53]
.LBB2_5996:                             ;   in Loop: Header=BB2_5702 Depth=3
	s_or_b64 exec, exec, s[50:51]
.LBB2_5997:                             ;   in Loop: Header=BB2_5702 Depth=3
	s_or_b64 exec, exec, s[48:49]
	v_and_b32_e32 v15, 0xff, v37
	v_cmp_ne_u16_e32 vcc, 0, v15
	s_and_saveexec_b64 s[48:49], vcc
	s_cbranch_execz .LBB2_6003
; %bb.5998:                             ;   in Loop: Header=BB2_5702 Depth=3
	v_cmp_ne_u16_e32 vcc, s59, v15
	v_bfrev_b32_e32 v34, 1
	s_and_saveexec_b64 s[50:51], vcc
	s_cbranch_execz .LBB2_6002
; %bb.5999:                             ;   in Loop: Header=BB2_5702 Depth=3
	v_and_b32_e32 v53, 0x7f, v37
	v_cmp_ne_u32_e32 vcc, s97, v53
	v_mov_b32_e32 v34, 0x7f800001
	s_and_saveexec_b64 s[52:53], vcc
	s_cbranch_execz .LBB2_6001
; %bb.6000:                             ;   in Loop: Header=BB2_5702 Depth=3
	v_and_b32_e32 v3, 7, v15
	v_ffbh_u32_e32 v34, v3
	v_min_u32_e32 v34, 32, v34
	v_lshrrev_b32_e32 v4, 3, v53
	v_cmp_gt_u32_e32 vcc, 8, v53
	v_subrev_u32_e32 v53, 28, v34
	v_lshlrev_b64 v[40:41], v53, v[15:16]
	v_sub_u32_e32 v15, 29, v34
	v_and_b32_e32 v34, 7, v40
	v_cndmask_b32_e32 v4, v4, v15, vcc
	v_cndmask_b32_e32 v3, v3, v34, vcc
	v_lshlrev_b32_e32 v15, 24, v37
	v_lshlrev_b32_e32 v3, 20, v3
	v_and_b32_e32 v15, 0x80000000, v15
	v_lshl_add_u32 v4, v4, 23, v48
	v_or3_b32 v34, v15, v4, v3
.LBB2_6001:                             ;   in Loop: Header=BB2_5702 Depth=3
	s_or_b64 exec, exec, s[52:53]
.LBB2_6002:                             ;   in Loop: Header=BB2_5702 Depth=3
	s_or_b64 exec, exec, s[50:51]
.LBB2_6003:                             ;   in Loop: Header=BB2_5702 Depth=3
	s_or_b64 exec, exec, s[48:49]
	v_max_f32_e32 v3, v34, v34
	v_max_f32_e32 v4, v25, v25
	;; [unrolled: 1-line block ×3, first 2 shown]
	s_mov_b64 s[48:49], 0
.LBB2_6004:                             ;   in Loop: Header=BB2_5702 Depth=3
	s_and_b64 vcc, exec, s[48:49]
	s_cbranch_vccz .LBB2_6018
; %bb.6005:                             ;   in Loop: Header=BB2_5702 Depth=3
	v_mov_b32_e32 v25, 0
	v_mov_b32_e32 v15, 0
	s_and_saveexec_b64 s[48:49], s[40:41]
	s_cbranch_execz .LBB2_6011
; %bb.6006:                             ;   in Loop: Header=BB2_5702 Depth=3
	v_cmp_ne_u16_e32 vcc, s59, v14
	v_bfrev_b32_e32 v15, 1
	s_and_saveexec_b64 s[40:41], vcc
	s_cbranch_execz .LBB2_6010
; %bb.6007:                             ;   in Loop: Header=BB2_5702 Depth=3
	v_and_b32_e32 v34, 0x7f, v38
	v_cmp_ne_u32_e32 vcc, s97, v34
	v_mov_b32_e32 v15, 0x7f800001
	s_and_saveexec_b64 s[50:51], vcc
	s_cbranch_execz .LBB2_6009
; %bb.6008:                             ;   in Loop: Header=BB2_5702 Depth=3
	v_and_b32_e32 v3, 7, v14
	v_ffbh_u32_e32 v15, v3
	v_lshrrev_b32_e32 v4, 3, v34
	v_cmp_gt_u32_e32 vcc, 8, v34
	v_min_u32_e32 v34, 32, v15
	v_subrev_u32_e32 v15, 28, v34
	v_lshlrev_b64 v[14:15], v15, v[14:15]
	v_sub_u32_e32 v15, 29, v34
	v_and_b32_e32 v14, 7, v14
	v_cndmask_b32_e32 v4, v4, v15, vcc
	v_cndmask_b32_e32 v3, v3, v14, vcc
	v_lshlrev_b32_e32 v14, 24, v38
	v_lshlrev_b32_e32 v3, 20, v3
	v_and_b32_e32 v14, 0x80000000, v14
	v_lshl_add_u32 v4, v4, 23, v48
	v_or3_b32 v15, v14, v4, v3
.LBB2_6009:                             ;   in Loop: Header=BB2_5702 Depth=3
	s_or_b64 exec, exec, s[50:51]
.LBB2_6010:                             ;   in Loop: Header=BB2_5702 Depth=3
	s_or_b64 exec, exec, s[40:41]
.LBB2_6011:                             ;   in Loop: Header=BB2_5702 Depth=3
	s_or_b64 exec, exec, s[48:49]
	v_and_b32_e32 v14, 0xff, v37
	v_cmp_ne_u16_e32 vcc, 0, v14
	s_and_saveexec_b64 s[40:41], vcc
	s_cbranch_execz .LBB2_6017
; %bb.6012:                             ;   in Loop: Header=BB2_5702 Depth=3
	v_cmp_ne_u16_e32 vcc, s59, v14
	v_bfrev_b32_e32 v25, 1
	s_and_saveexec_b64 s[48:49], vcc
	s_cbranch_execz .LBB2_6016
; %bb.6013:                             ;   in Loop: Header=BB2_5702 Depth=3
	v_and_b32_e32 v34, 0x7f, v37
	v_cmp_ne_u32_e32 vcc, s97, v34
	v_mov_b32_e32 v25, 0x7f800001
	s_and_saveexec_b64 s[50:51], vcc
	s_cbranch_execz .LBB2_6015
; %bb.6014:                             ;   in Loop: Header=BB2_5702 Depth=3
	v_and_b32_e32 v3, 7, v14
	v_ffbh_u32_e32 v25, v3
	v_min_u32_e32 v25, 32, v25
	v_lshrrev_b32_e32 v4, 3, v34
	v_cmp_gt_u32_e32 vcc, 8, v34
	v_subrev_u32_e32 v34, 28, v25
	v_lshlrev_b64 v[40:41], v34, v[14:15]
	v_sub_u32_e32 v14, 29, v25
	v_and_b32_e32 v25, 7, v40
	v_cndmask_b32_e32 v4, v4, v14, vcc
	v_cndmask_b32_e32 v3, v3, v25, vcc
	v_lshlrev_b32_e32 v14, 24, v37
	v_lshlrev_b32_e32 v3, 20, v3
	v_and_b32_e32 v14, 0x80000000, v14
	v_lshl_add_u32 v4, v4, 23, v48
	v_or3_b32 v25, v14, v4, v3
.LBB2_6015:                             ;   in Loop: Header=BB2_5702 Depth=3
	s_or_b64 exec, exec, s[50:51]
.LBB2_6016:                             ;   in Loop: Header=BB2_5702 Depth=3
	s_or_b64 exec, exec, s[48:49]
.LBB2_6017:                             ;   in Loop: Header=BB2_5702 Depth=3
	s_or_b64 exec, exec, s[40:41]
	v_max_f32_e32 v3, v25, v25
	v_max_f32_e32 v4, v15, v15
	v_min_f32_e32 v15, v4, v3
.LBB2_6018:                             ;   in Loop: Header=BB2_5702 Depth=3
	v_and_b32_e32 v34, 0x7f800000, v15
	v_cmp_ne_u64_e32 vcc, s[90:91], v[34:35]
                                        ; implicit-def: $vgpr25
	s_and_saveexec_b64 s[40:41], vcc
	s_xor_b64 s[48:49], exec, s[40:41]
	s_cbranch_execz .LBB2_6036
; %bb.6019:                             ;   in Loop: Header=BB2_5702 Depth=3
	v_and_b32_e32 v34, 0x7fffffff, v15
	v_cmp_gt_u64_e32 vcc, s[92:93], v[34:35]
	v_and_b32_sdwa v37, v15, s59 dst_sel:DWORD dst_unused:UNUSED_PAD src0_sel:BYTE_3 src1_sel:DWORD
                                        ; implicit-def: $vgpr25
	s_and_saveexec_b64 s[40:41], vcc
	s_xor_b64 s[50:51], exec, s[40:41]
	s_cbranch_execz .LBB2_6033
; %bb.6020:                             ;   in Loop: Header=BB2_5702 Depth=3
	v_cmp_ne_u32_e32 vcc, 0, v15
	v_mov_b32_e32 v25, 0
	s_and_saveexec_b64 s[52:53], vcc
	s_cbranch_execz .LBB2_6032
; %bb.6021:                             ;   in Loop: Header=BB2_5702 Depth=3
	v_bfe_u32 v25, v15, 23, 8
	v_cmp_gt_u32_e64 s[40:41], s56, v25
	v_sub_u32_e32 v4, 0x79, v25
	v_and_b32_e32 v3, 0x7fffff, v15
	v_cmp_eq_u32_e32 vcc, 0, v25
	v_cndmask_b32_e64 v4, 0, v4, s[40:41]
	v_mov_b32_e32 v15, 0x78
	v_or_b32_e32 v14, 0x800000, v3
	v_cndmask_b32_e32 v38, v4, v15, vcc
	v_cndmask_b32_e32 v34, v14, v3, vcc
	v_add_u32_e32 v3, 20, v38
	v_lshlrev_b64 v[14:15], v3, -1
	v_add_u32_e32 v3, 19, v38
	v_lshlrev_b64 v[40:41], v3, 1
	v_bfi_b32 v15, v15, 0, 0
	v_bfi_b32 v14, v14, 0, v34
	v_cmp_eq_u64_e64 s[40:41], v[14:15], v[40:41]
	v_lshrrev_b64 v[14:15], v38, v[34:35]
	v_mov_b32_e32 v41, v15
	v_mov_b32_e32 v40, v14
	s_and_saveexec_b64 s[54:55], s[40:41]
; %bb.6022:                             ;   in Loop: Header=BB2_5702 Depth=3
	v_bfe_u32 v3, v14, 20, 1
	v_add_co_u32_e64 v3, s[40:41], v14, v3
	v_add_co_u32_e64 v40, s[40:41], -1, v3
; %bb.6023:                             ;   in Loop: Header=BB2_5702 Depth=3
	s_or_b64 exec, exec, s[54:55]
	v_add_u32_e32 v3, 0xffffff81, v25
	v_cndmask_b32_e32 v3, v3, v52, vcc
	v_lshrrev_b32_e32 v4, 23, v14
	v_add3_u32 v53, v38, v3, v4
	v_add_u32_e32 v25, 6, v53
	v_and_b32_e32 v3, 0xfffff, v40
	v_add_u32_e32 v34, v3, v14
	v_cmp_ne_u32_e32 vcc, 0, v25
                                        ; implicit-def: $vgpr14_vgpr15
                                        ; implicit-def: $vgpr38
	s_and_saveexec_b64 s[40:41], vcc
	s_xor_b64 s[40:41], exec, s[40:41]
; %bb.6024:                             ;   in Loop: Header=BB2_5702 Depth=3
	v_cmp_lt_u64_e32 vcc, s[94:95], v[34:35]
	v_add_u32_e32 v3, 7, v53
	v_cndmask_b32_e32 v38, v25, v3, vcc
	v_cndmask_b32_e64 v3, 0, 1, vcc
	v_lshrrev_b64 v[14:15], v3, v[34:35]
; %bb.6025:                             ;   in Loop: Header=BB2_5702 Depth=3
	s_andn2_saveexec_b64 s[40:41], s[40:41]
; %bb.6026:                             ;   in Loop: Header=BB2_5702 Depth=3
	v_mov_b32_e32 v14, v34
	v_bfe_u32 v38, v34, 23, 1
	v_mov_b32_e32 v15, v35
; %bb.6027:                             ;   in Loop: Header=BB2_5702 Depth=3
	s_or_b64 exec, exec, s[40:41]
	v_lshrrev_b64 v[14:15], 20, v[14:15]
	v_cmp_gt_i32_e32 vcc, 16, v38
	v_cndmask_b32_e32 v15, 0, v15, vcc
	v_cndmask_b32_e32 v14, 7, v14, vcc
	v_cmp_ne_u64_e32 vcc, 0, v[14:15]
	v_cmp_ne_u32_e64 s[40:41], 0, v38
	s_or_b64 s[40:41], s[40:41], vcc
                                        ; implicit-def: $vgpr25
	s_and_saveexec_b64 vcc, s[40:41]
	s_xor_b64 s[40:41], exec, vcc
; %bb.6028:                             ;   in Loop: Header=BB2_5702 Depth=3
	v_min_i32_e32 v3, 15, v38
	v_lshl_or_b32 v3, v3, 3, v37
	v_and_or_b32 v25, v14, 7, v3
                                        ; implicit-def: $vgpr37
; %bb.6029:                             ;   in Loop: Header=BB2_5702 Depth=3
	s_andn2_saveexec_b64 s[40:41], s[40:41]
; %bb.6030:                             ;   in Loop: Header=BB2_5702 Depth=3
	v_mov_b32_e32 v25, v37
; %bb.6031:                             ;   in Loop: Header=BB2_5702 Depth=3
	s_or_b64 exec, exec, s[40:41]
.LBB2_6032:                             ;   in Loop: Header=BB2_5702 Depth=3
	s_or_b64 exec, exec, s[52:53]
                                        ; implicit-def: $vgpr37
.LBB2_6033:                             ;   in Loop: Header=BB2_5702 Depth=3
	s_andn2_saveexec_b64 s[40:41], s[50:51]
; %bb.6034:                             ;   in Loop: Header=BB2_5702 Depth=3
	v_or_b32_e32 v25, 0x7e, v37
; %bb.6035:                             ;   in Loop: Header=BB2_5702 Depth=3
	s_or_b64 exec, exec, s[40:41]
                                        ; implicit-def: $vgpr15
.LBB2_6036:                             ;   in Loop: Header=BB2_5702 Depth=3
	s_andn2_saveexec_b64 s[40:41], s[48:49]
; %bb.6037:                             ;   in Loop: Header=BB2_5702 Depth=3
	v_or_b32_sdwa v25, v15, s97 dst_sel:DWORD dst_unused:UNUSED_PAD src0_sel:BYTE_3 src1_sel:DWORD
; %bb.6038:                             ;   in Loop: Header=BB2_5702 Depth=3
	s_or_b64 exec, exec, s[40:41]
	v_and_b32_e32 v14, 0xff, v31
	v_cmp_ne_u16_e64 s[40:41], 0, v14
	s_and_b64 vcc, exec, s[28:29]
	s_mov_b64 s[28:29], -1
                                        ; implicit-def: $vgpr37
	s_cbranch_vccnz .LBB2_6052
; %bb.6039:                             ;   in Loop: Header=BB2_5702 Depth=3
	v_mov_b32_e32 v37, 0
	v_mov_b32_e32 v34, 0
	s_and_saveexec_b64 s[28:29], s[40:41]
	s_cbranch_execz .LBB2_6045
; %bb.6040:                             ;   in Loop: Header=BB2_5702 Depth=3
	v_cmp_ne_u16_e32 vcc, s59, v14
	v_bfrev_b32_e32 v34, 1
	s_and_saveexec_b64 s[48:49], vcc
	s_cbranch_execz .LBB2_6044
; %bb.6041:                             ;   in Loop: Header=BB2_5702 Depth=3
	v_and_b32_e32 v15, 0x7f, v31
	v_cmp_ne_u32_e32 vcc, s97, v15
	v_mov_b32_e32 v34, 0x7f800001
	s_and_saveexec_b64 s[50:51], vcc
	s_cbranch_execz .LBB2_6043
; %bb.6042:                             ;   in Loop: Header=BB2_5702 Depth=3
	v_and_b32_e32 v3, 7, v14
	v_lshrrev_b32_e32 v4, 3, v15
	v_cmp_gt_u32_e32 vcc, 8, v15
	v_ffbh_u32_e32 v15, v3
	v_min_u32_e32 v15, 32, v15
	v_subrev_u32_e32 v34, 28, v15
	v_lshlrev_b64 v[40:41], v34, v[14:15]
	v_sub_u32_e32 v15, 29, v15
	v_and_b32_e32 v34, 7, v40
	v_cndmask_b32_e32 v4, v4, v15, vcc
	v_cndmask_b32_e32 v3, v3, v34, vcc
	v_lshlrev_b32_e32 v15, 24, v31
	v_lshlrev_b32_e32 v3, 20, v3
	v_and_b32_e32 v15, 0x80000000, v15
	v_lshl_add_u32 v4, v4, 23, v48
	v_or3_b32 v34, v15, v4, v3
.LBB2_6043:                             ;   in Loop: Header=BB2_5702 Depth=3
	s_or_b64 exec, exec, s[50:51]
.LBB2_6044:                             ;   in Loop: Header=BB2_5702 Depth=3
	s_or_b64 exec, exec, s[48:49]
.LBB2_6045:                             ;   in Loop: Header=BB2_5702 Depth=3
	s_or_b64 exec, exec, s[28:29]
	v_and_b32_e32 v15, 0xff, v30
	v_cmp_ne_u16_e32 vcc, 0, v15
	s_and_saveexec_b64 s[28:29], vcc
	s_cbranch_execz .LBB2_6051
; %bb.6046:                             ;   in Loop: Header=BB2_5702 Depth=3
	v_cmp_ne_u16_e32 vcc, s59, v15
	v_bfrev_b32_e32 v37, 1
	s_and_saveexec_b64 s[48:49], vcc
	s_cbranch_execz .LBB2_6050
; %bb.6047:                             ;   in Loop: Header=BB2_5702 Depth=3
	v_and_b32_e32 v38, 0x7f, v30
	v_cmp_ne_u32_e32 vcc, s97, v38
	v_mov_b32_e32 v37, 0x7f800001
	s_and_saveexec_b64 s[50:51], vcc
	s_cbranch_execz .LBB2_6049
; %bb.6048:                             ;   in Loop: Header=BB2_5702 Depth=3
	v_and_b32_e32 v3, 7, v15
	v_ffbh_u32_e32 v37, v3
	v_min_u32_e32 v53, 32, v37
	v_subrev_u32_e32 v37, 28, v53
	v_lshrrev_b32_e32 v4, 3, v38
	v_cmp_gt_u32_e32 vcc, 8, v38
	v_lshlrev_b64 v[37:38], v37, v[15:16]
	v_sub_u32_e32 v15, 29, v53
	v_and_b32_e32 v37, 7, v37
	v_cndmask_b32_e32 v4, v4, v15, vcc
	v_cndmask_b32_e32 v3, v3, v37, vcc
	v_lshlrev_b32_e32 v15, 24, v30
	v_lshlrev_b32_e32 v3, 20, v3
	v_and_b32_e32 v15, 0x80000000, v15
	v_lshl_add_u32 v4, v4, 23, v48
	v_or3_b32 v37, v15, v4, v3
.LBB2_6049:                             ;   in Loop: Header=BB2_5702 Depth=3
	s_or_b64 exec, exec, s[50:51]
.LBB2_6050:                             ;   in Loop: Header=BB2_5702 Depth=3
	s_or_b64 exec, exec, s[48:49]
.LBB2_6051:                             ;   in Loop: Header=BB2_5702 Depth=3
	s_or_b64 exec, exec, s[28:29]
	v_max_f32_e32 v3, v37, v37
	v_max_f32_e32 v4, v34, v34
	;; [unrolled: 1-line block ×3, first 2 shown]
	s_mov_b64 s[28:29], 0
.LBB2_6052:                             ;   in Loop: Header=BB2_5702 Depth=3
	s_and_b64 vcc, exec, s[28:29]
	s_cbranch_vccz .LBB2_6066
; %bb.6053:                             ;   in Loop: Header=BB2_5702 Depth=3
	v_mov_b32_e32 v34, 0
	v_mov_b32_e32 v15, 0
	s_and_saveexec_b64 s[28:29], s[40:41]
	s_cbranch_execz .LBB2_6059
; %bb.6054:                             ;   in Loop: Header=BB2_5702 Depth=3
	v_cmp_ne_u16_e32 vcc, s59, v14
	v_bfrev_b32_e32 v15, 1
	s_and_saveexec_b64 s[40:41], vcc
	s_cbranch_execz .LBB2_6058
; %bb.6055:                             ;   in Loop: Header=BB2_5702 Depth=3
	v_and_b32_e32 v37, 0x7f, v31
	v_cmp_ne_u32_e32 vcc, s97, v37
	v_mov_b32_e32 v15, 0x7f800001
	s_and_saveexec_b64 s[48:49], vcc
	s_cbranch_execz .LBB2_6057
; %bb.6056:                             ;   in Loop: Header=BB2_5702 Depth=3
	v_and_b32_e32 v3, 7, v14
	v_ffbh_u32_e32 v15, v3
	v_lshrrev_b32_e32 v4, 3, v37
	v_cmp_gt_u32_e32 vcc, 8, v37
	v_min_u32_e32 v37, 32, v15
	v_subrev_u32_e32 v15, 28, v37
	v_lshlrev_b64 v[14:15], v15, v[14:15]
	v_sub_u32_e32 v15, 29, v37
	v_and_b32_e32 v14, 7, v14
	v_cndmask_b32_e32 v4, v4, v15, vcc
	v_cndmask_b32_e32 v3, v3, v14, vcc
	v_lshlrev_b32_e32 v14, 24, v31
	v_lshlrev_b32_e32 v3, 20, v3
	v_and_b32_e32 v14, 0x80000000, v14
	v_lshl_add_u32 v4, v4, 23, v48
	v_or3_b32 v15, v14, v4, v3
.LBB2_6057:                             ;   in Loop: Header=BB2_5702 Depth=3
	s_or_b64 exec, exec, s[48:49]
.LBB2_6058:                             ;   in Loop: Header=BB2_5702 Depth=3
	s_or_b64 exec, exec, s[40:41]
.LBB2_6059:                             ;   in Loop: Header=BB2_5702 Depth=3
	s_or_b64 exec, exec, s[28:29]
	v_and_b32_e32 v14, 0xff, v30
	v_cmp_ne_u16_e32 vcc, 0, v14
	s_and_saveexec_b64 s[28:29], vcc
	s_cbranch_execz .LBB2_6065
; %bb.6060:                             ;   in Loop: Header=BB2_5702 Depth=3
	v_cmp_ne_u16_e32 vcc, s59, v14
	v_bfrev_b32_e32 v34, 1
	s_and_saveexec_b64 s[40:41], vcc
	s_cbranch_execz .LBB2_6064
; %bb.6061:                             ;   in Loop: Header=BB2_5702 Depth=3
	v_and_b32_e32 v31, 0x7f, v30
	v_cmp_ne_u32_e32 vcc, s97, v31
	v_mov_b32_e32 v34, 0x7f800001
	s_and_saveexec_b64 s[48:49], vcc
	s_cbranch_execz .LBB2_6063
; %bb.6062:                             ;   in Loop: Header=BB2_5702 Depth=3
	v_and_b32_e32 v3, 7, v14
	v_lshrrev_b32_e32 v4, 3, v31
	v_cmp_gt_u32_e32 vcc, 8, v31
	v_ffbh_u32_e32 v31, v3
	v_min_u32_e32 v31, 32, v31
	v_subrev_u32_e32 v34, 28, v31
	v_lshlrev_b64 v[37:38], v34, v[14:15]
	v_sub_u32_e32 v14, 29, v31
	v_and_b32_e32 v31, 7, v37
	v_cndmask_b32_e32 v4, v4, v14, vcc
	v_cndmask_b32_e32 v3, v3, v31, vcc
	v_lshlrev_b32_e32 v14, 24, v30
	v_lshlrev_b32_e32 v3, 20, v3
	v_and_b32_e32 v14, 0x80000000, v14
	v_lshl_add_u32 v4, v4, 23, v48
	v_or3_b32 v34, v14, v4, v3
.LBB2_6063:                             ;   in Loop: Header=BB2_5702 Depth=3
	s_or_b64 exec, exec, s[48:49]
.LBB2_6064:                             ;   in Loop: Header=BB2_5702 Depth=3
	s_or_b64 exec, exec, s[40:41]
.LBB2_6065:                             ;   in Loop: Header=BB2_5702 Depth=3
	s_or_b64 exec, exec, s[28:29]
	v_max_f32_e32 v3, v34, v34
	v_max_f32_e32 v4, v15, v15
	v_min_f32_e32 v37, v4, v3
.LBB2_6066:                             ;   in Loop: Header=BB2_5702 Depth=3
	v_and_b32_e32 v34, 0x7f800000, v37
	v_cmp_ne_u64_e32 vcc, s[90:91], v[34:35]
                                        ; implicit-def: $vgpr15
	s_and_saveexec_b64 s[28:29], vcc
	s_xor_b64 s[40:41], exec, s[28:29]
	s_cbranch_execz .LBB2_6084
; %bb.6067:                             ;   in Loop: Header=BB2_5702 Depth=3
	v_and_b32_e32 v34, 0x7fffffff, v37
	v_cmp_gt_u64_e32 vcc, s[92:93], v[34:35]
	v_and_b32_sdwa v30, v37, s59 dst_sel:DWORD dst_unused:UNUSED_PAD src0_sel:BYTE_3 src1_sel:DWORD
                                        ; implicit-def: $vgpr15
	s_and_saveexec_b64 s[28:29], vcc
	s_xor_b64 s[48:49], exec, s[28:29]
	s_cbranch_execz .LBB2_6081
; %bb.6068:                             ;   in Loop: Header=BB2_5702 Depth=3
	v_cmp_ne_u32_e32 vcc, 0, v37
	v_mov_b32_e32 v15, 0
	s_and_saveexec_b64 s[50:51], vcc
	s_cbranch_execz .LBB2_6080
; %bb.6069:                             ;   in Loop: Header=BB2_5702 Depth=3
	v_bfe_u32 v31, v37, 23, 8
	v_cmp_gt_u32_e64 s[28:29], s56, v31
	v_sub_u32_e32 v4, 0x79, v31
	v_and_b32_e32 v3, 0x7fffff, v37
	v_cmp_eq_u32_e32 vcc, 0, v31
	v_cndmask_b32_e64 v4, 0, v4, s[28:29]
	v_mov_b32_e32 v15, 0x78
	v_or_b32_e32 v14, 0x800000, v3
	v_cndmask_b32_e32 v37, v4, v15, vcc
	v_cndmask_b32_e32 v34, v14, v3, vcc
	v_add_u32_e32 v3, 20, v37
	v_lshlrev_b64 v[14:15], v3, -1
	v_add_u32_e32 v3, 19, v37
	v_lshlrev_b64 v[40:41], v3, 1
	v_bfi_b32 v15, v15, 0, 0
	v_bfi_b32 v14, v14, 0, v34
	v_cmp_eq_u64_e64 s[28:29], v[14:15], v[40:41]
	v_lshrrev_b64 v[14:15], v37, v[34:35]
	v_mov_b32_e32 v41, v15
	v_mov_b32_e32 v40, v14
	s_and_saveexec_b64 s[52:53], s[28:29]
; %bb.6070:                             ;   in Loop: Header=BB2_5702 Depth=3
	v_bfe_u32 v3, v14, 20, 1
	v_add_co_u32_e64 v3, s[28:29], v14, v3
	v_add_co_u32_e64 v40, s[28:29], -1, v3
; %bb.6071:                             ;   in Loop: Header=BB2_5702 Depth=3
	s_or_b64 exec, exec, s[52:53]
	v_add_u32_e32 v3, 0xffffff81, v31
	v_cndmask_b32_e32 v3, v3, v52, vcc
	v_lshrrev_b32_e32 v4, 23, v14
	v_add3_u32 v38, v37, v3, v4
	v_add_u32_e32 v37, 6, v38
	v_and_b32_e32 v3, 0xfffff, v40
	v_add_u32_e32 v34, v3, v14
	v_cmp_ne_u32_e32 vcc, 0, v37
                                        ; implicit-def: $vgpr14_vgpr15
                                        ; implicit-def: $vgpr31
	s_and_saveexec_b64 s[28:29], vcc
	s_xor_b64 s[28:29], exec, s[28:29]
; %bb.6072:                             ;   in Loop: Header=BB2_5702 Depth=3
	v_cmp_lt_u64_e32 vcc, s[94:95], v[34:35]
	v_add_u32_e32 v3, 7, v38
	v_cndmask_b32_e32 v31, v37, v3, vcc
	v_cndmask_b32_e64 v3, 0, 1, vcc
	v_lshrrev_b64 v[14:15], v3, v[34:35]
; %bb.6073:                             ;   in Loop: Header=BB2_5702 Depth=3
	s_andn2_saveexec_b64 s[28:29], s[28:29]
; %bb.6074:                             ;   in Loop: Header=BB2_5702 Depth=3
	v_mov_b32_e32 v14, v34
	v_bfe_u32 v31, v34, 23, 1
	v_mov_b32_e32 v15, v35
; %bb.6075:                             ;   in Loop: Header=BB2_5702 Depth=3
	s_or_b64 exec, exec, s[28:29]
	v_lshrrev_b64 v[14:15], 20, v[14:15]
	v_cmp_gt_i32_e32 vcc, 16, v31
	v_cndmask_b32_e32 v15, 0, v15, vcc
	v_cndmask_b32_e32 v14, 7, v14, vcc
	v_cmp_ne_u64_e32 vcc, 0, v[14:15]
	v_cmp_ne_u32_e64 s[28:29], 0, v31
	s_or_b64 s[28:29], s[28:29], vcc
                                        ; implicit-def: $vgpr15
	s_and_saveexec_b64 vcc, s[28:29]
	s_xor_b64 s[28:29], exec, vcc
; %bb.6076:                             ;   in Loop: Header=BB2_5702 Depth=3
	v_min_i32_e32 v3, 15, v31
	v_lshl_or_b32 v3, v3, 3, v30
	v_and_or_b32 v15, v14, 7, v3
                                        ; implicit-def: $vgpr30
; %bb.6077:                             ;   in Loop: Header=BB2_5702 Depth=3
	s_andn2_saveexec_b64 s[28:29], s[28:29]
; %bb.6078:                             ;   in Loop: Header=BB2_5702 Depth=3
	v_mov_b32_e32 v15, v30
; %bb.6079:                             ;   in Loop: Header=BB2_5702 Depth=3
	s_or_b64 exec, exec, s[28:29]
.LBB2_6080:                             ;   in Loop: Header=BB2_5702 Depth=3
	s_or_b64 exec, exec, s[50:51]
                                        ; implicit-def: $vgpr30
.LBB2_6081:                             ;   in Loop: Header=BB2_5702 Depth=3
	s_andn2_saveexec_b64 s[28:29], s[48:49]
; %bb.6082:                             ;   in Loop: Header=BB2_5702 Depth=3
	v_or_b32_e32 v15, 0x7e, v30
; %bb.6083:                             ;   in Loop: Header=BB2_5702 Depth=3
	s_or_b64 exec, exec, s[28:29]
                                        ; implicit-def: $vgpr37
.LBB2_6084:                             ;   in Loop: Header=BB2_5702 Depth=3
	s_andn2_saveexec_b64 s[28:29], s[40:41]
	s_cbranch_execz .LBB2_5701
; %bb.6085:                             ;   in Loop: Header=BB2_5702 Depth=3
	v_or_b32_sdwa v15, v37, s97 dst_sel:DWORD dst_unused:UNUSED_PAD src0_sel:BYTE_3 src1_sel:DWORD
	s_branch .LBB2_5701
.LBB2_6086:                             ;   in Loop: Header=BB2_2331 Depth=2
	s_or_b64 exec, exec, s[38:39]
.LBB2_6087:                             ;   in Loop: Header=BB2_2331 Depth=2
	s_or_b64 exec, exec, s[42:43]
	v_lshlrev_b32_e32 v1, 9, v27
	v_cmp_ne_u32_e32 vcc, v7, v1
	s_and_b64 exec, exec, vcc
	s_cbranch_execz .LBB2_6139
; %bb.6088:                             ;   in Loop: Header=BB2_2331 Depth=2
	v_lshlrev_b32_e32 v3, 6, v16
	v_sub_u32_e32 v3, v21, v3
	v_lshlrev_b32_e32 v4, 6, v26
	v_sub_u32_e32 v3, v3, v4
	v_add_u32_e32 v8, v1, v3
	v_sub_u32_e32 v1, v7, v8
	v_cmp_lt_i32_e32 vcc, 0, v1
	s_and_b64 exec, exec, vcc
	s_cbranch_execz .LBB2_6139
; %bb.6089:                             ;   in Loop: Header=BB2_2331 Depth=2
	v_add_u32_e32 v3, v8, v6
	s_trap 2
	ds_read_b128 v[8:11], v0
	ds_read_b64 v[6:7], v0
	v_ashrrev_i32_e32 v4, 31, v3
	s_bitcmp1_b32 s70, 0
	s_mov_b64 s[46:47], 0
	s_waitcnt lgkmcnt(0)
	v_add_co_u32_e32 v8, vcc, v8, v3
	v_addc_co_u32_e32 v9, vcc, v9, v4, vcc
	v_add_co_u32_e32 v10, vcc, v10, v3
	v_addc_co_u32_e32 v11, vcc, v11, v4, vcc
	;; [unrolled: 2-line block ×3, first 2 shown]
	s_cselect_b64 s[38:39], -1, 0
	s_branch .LBB2_6091
.LBB2_6090:                             ;   in Loop: Header=BB2_6091 Depth=3
	s_or_b64 exec, exec, s[28:29]
	s_waitcnt vmcnt(0)
	v_add_co_u32_e32 v8, vcc, v8, v26
	v_addc_co_u32_e32 v9, vcc, 0, v9, vcc
	v_add_co_u32_e32 v10, vcc, v10, v26
	v_addc_co_u32_e32 v11, vcc, 0, v11, vcc
	v_sub_u32_e32 v1, v1, v26
	v_cmp_gt_i32_e32 vcc, 1, v1
	flat_store_byte v[12:13], v7 glc slc
	s_or_b64 s[46:47], vcc, s[46:47]
	v_add_co_u32_e32 v12, vcc, v12, v26
	v_addc_co_u32_e32 v13, vcc, 0, v13, vcc
	s_andn2_b64 exec, exec, s[46:47]
	s_cbranch_execz .LBB2_6139
.LBB2_6091:                             ;   Parent Loop BB2_47 Depth=1
                                        ;     Parent Loop BB2_2331 Depth=2
                                        ; =>    This Inner Loop Header: Depth=3
	flat_load_ubyte v7, v[10:11] glc slc
	flat_load_ubyte v15, v[8:9] glc slc
	s_mov_b64 s[48:49], -1
	s_and_b64 vcc, exec, s[38:39]
                                        ; implicit-def: $vgpr14
	s_waitcnt vmcnt(0) lgkmcnt(0)
	v_cmp_ne_u16_e64 s[40:41], 0, v7
	v_cmp_ne_u16_e64 s[28:29], s59, v7
	v_and_b32_sdwa v6, sext(v7), s58 dst_sel:DWORD dst_unused:UNUSED_PAD src0_sel:BYTE_0 src1_sel:DWORD
	v_cmp_ne_u16_e64 s[42:43], 0, v15
	s_cbranch_vccz .LBB2_6105
; %bb.6092:                             ;   in Loop: Header=BB2_6091 Depth=3
	v_mov_b32_e32 v16, 0
	v_mov_b32_e32 v21, 0
	s_and_saveexec_b64 s[48:49], s[42:43]
	s_cbranch_execz .LBB2_6098
; %bb.6093:                             ;   in Loop: Header=BB2_6091 Depth=3
	v_cmp_ne_u16_e32 vcc, s59, v15
	v_bfrev_b32_e32 v21, 1
	s_and_saveexec_b64 s[50:51], vcc
	s_cbranch_execz .LBB2_6097
; %bb.6094:                             ;   in Loop: Header=BB2_6091 Depth=3
	v_and_b32_e32 v14, 0xffff, v15
	v_and_b32_e32 v24, 0x7f, v14
	v_cmp_ne_u32_e32 vcc, s97, v24
	v_mov_b32_e32 v21, 0x7f800001
	s_and_saveexec_b64 s[52:53], vcc
	s_cbranch_execz .LBB2_6096
; %bb.6095:                             ;   in Loop: Header=BB2_6091 Depth=3
	v_and_b32_e32 v3, 7, v14
	v_ffbh_u32_e32 v21, v3
	v_min_u32_e32 v21, 32, v21
	v_lshrrev_b32_e32 v4, 3, v24
	v_cmp_gt_u32_e32 vcc, 8, v24
	v_subrev_u32_e32 v24, 28, v21
	v_lshlrev_b64 v[24:25], v24, v[14:15]
	v_sub_u32_e32 v14, 29, v21
	v_and_b32_e32 v21, 7, v24
	v_cndmask_b32_e32 v4, v4, v14, vcc
	v_cndmask_b32_e32 v3, v3, v21, vcc
	v_lshlrev_b32_e32 v14, 24, v15
	v_lshlrev_b32_e32 v3, 20, v3
	v_and_b32_e32 v14, 0x80000000, v14
	v_lshl_add_u32 v4, v4, 23, v48
	v_or3_b32 v21, v14, v4, v3
.LBB2_6096:                             ;   in Loop: Header=BB2_6091 Depth=3
	s_or_b64 exec, exec, s[52:53]
.LBB2_6097:                             ;   in Loop: Header=BB2_6091 Depth=3
	s_or_b64 exec, exec, s[50:51]
.LBB2_6098:                             ;   in Loop: Header=BB2_6091 Depth=3
	s_or_b64 exec, exec, s[48:49]
	s_and_saveexec_b64 s[48:49], s[40:41]
	s_cbranch_execz .LBB2_6104
; %bb.6099:                             ;   in Loop: Header=BB2_6091 Depth=3
	v_bfrev_b32_e32 v16, 1
	s_and_saveexec_b64 s[50:51], s[28:29]
	s_cbranch_execz .LBB2_6103
; %bb.6100:                             ;   in Loop: Header=BB2_6091 Depth=3
	v_and_b32_e32 v14, 0xffff, v7
	v_and_b32_e32 v24, 0x7f, v14
	v_cmp_ne_u32_e32 vcc, s97, v24
	v_mov_b32_e32 v16, 0x7f800001
	s_and_saveexec_b64 s[52:53], vcc
	s_cbranch_execz .LBB2_6102
; %bb.6101:                             ;   in Loop: Header=BB2_6091 Depth=3
	v_and_b32_e32 v3, 7, v14
	v_ffbh_u32_e32 v16, v3
	v_min_u32_e32 v16, 32, v16
	v_lshrrev_b32_e32 v4, 3, v24
	v_cmp_gt_u32_e32 vcc, 8, v24
	v_subrev_u32_e32 v24, 28, v16
	v_lshlrev_b64 v[24:25], v24, v[14:15]
	v_sub_u32_e32 v14, 29, v16
	v_and_b32_e32 v16, 7, v24
	v_cndmask_b32_e32 v3, v3, v16, vcc
	v_cndmask_b32_e32 v4, v4, v14, vcc
	v_lshlrev_b32_e32 v3, 20, v3
	v_lshl_or_b32 v3, v4, 23, v3
	v_add_u32_e32 v3, 0x3c000000, v3
	v_or_b32_e32 v16, v3, v6
.LBB2_6102:                             ;   in Loop: Header=BB2_6091 Depth=3
	s_or_b64 exec, exec, s[52:53]
.LBB2_6103:                             ;   in Loop: Header=BB2_6091 Depth=3
	s_or_b64 exec, exec, s[50:51]
.LBB2_6104:                             ;   in Loop: Header=BB2_6091 Depth=3
	s_or_b64 exec, exec, s[48:49]
	v_max_f32_e32 v3, v16, v16
	v_max_f32_e32 v4, v21, v21
	;; [unrolled: 1-line block ×3, first 2 shown]
	s_mov_b64 s[48:49], 0
.LBB2_6105:                             ;   in Loop: Header=BB2_6091 Depth=3
	s_and_b64 vcc, exec, s[48:49]
	s_cbranch_vccz .LBB2_6119
; %bb.6106:                             ;   in Loop: Header=BB2_6091 Depth=3
	v_mov_b32_e32 v16, 0
	v_mov_b32_e32 v21, 0
	s_and_saveexec_b64 s[48:49], s[42:43]
	s_cbranch_execz .LBB2_6112
; %bb.6107:                             ;   in Loop: Header=BB2_6091 Depth=3
	v_cmp_ne_u16_e32 vcc, s59, v15
	v_bfrev_b32_e32 v21, 1
	s_and_saveexec_b64 s[42:43], vcc
	s_cbranch_execz .LBB2_6111
; %bb.6108:                             ;   in Loop: Header=BB2_6091 Depth=3
	v_and_b32_e32 v14, 0xffff, v15
	v_and_b32_e32 v24, 0x7f, v14
	v_cmp_ne_u32_e32 vcc, s97, v24
	v_mov_b32_e32 v21, 0x7f800001
	s_and_saveexec_b64 s[50:51], vcc
	s_cbranch_execz .LBB2_6110
; %bb.6109:                             ;   in Loop: Header=BB2_6091 Depth=3
	v_and_b32_e32 v3, 7, v14
	v_ffbh_u32_e32 v21, v3
	v_min_u32_e32 v21, 32, v21
	v_lshrrev_b32_e32 v4, 3, v24
	v_cmp_gt_u32_e32 vcc, 8, v24
	v_subrev_u32_e32 v24, 28, v21
	v_lshlrev_b64 v[24:25], v24, v[14:15]
	v_sub_u32_e32 v14, 29, v21
	v_and_b32_e32 v21, 7, v24
	v_cndmask_b32_e32 v4, v4, v14, vcc
	v_cndmask_b32_e32 v3, v3, v21, vcc
	v_lshlrev_b32_e32 v14, 24, v15
	v_lshlrev_b32_e32 v3, 20, v3
	v_and_b32_e32 v14, 0x80000000, v14
	v_lshl_add_u32 v4, v4, 23, v48
	v_or3_b32 v21, v14, v4, v3
.LBB2_6110:                             ;   in Loop: Header=BB2_6091 Depth=3
	s_or_b64 exec, exec, s[50:51]
.LBB2_6111:                             ;   in Loop: Header=BB2_6091 Depth=3
	s_or_b64 exec, exec, s[42:43]
.LBB2_6112:                             ;   in Loop: Header=BB2_6091 Depth=3
	s_or_b64 exec, exec, s[48:49]
	s_and_saveexec_b64 s[42:43], s[40:41]
	s_cbranch_execz .LBB2_6118
; %bb.6113:                             ;   in Loop: Header=BB2_6091 Depth=3
	v_bfrev_b32_e32 v16, 1
	s_and_saveexec_b64 s[40:41], s[28:29]
	s_cbranch_execz .LBB2_6117
; %bb.6114:                             ;   in Loop: Header=BB2_6091 Depth=3
	v_and_b32_e32 v14, 0xffff, v7
	v_and_b32_e32 v7, 0x7f, v14
	v_cmp_ne_u32_e32 vcc, s97, v7
	v_mov_b32_e32 v16, 0x7f800001
	s_and_saveexec_b64 s[28:29], vcc
	s_cbranch_execz .LBB2_6116
; %bb.6115:                             ;   in Loop: Header=BB2_6091 Depth=3
	v_and_b32_e32 v3, 7, v14
	v_lshrrev_b32_e32 v4, 3, v7
	v_cmp_gt_u32_e32 vcc, 8, v7
	v_ffbh_u32_e32 v7, v3
	v_min_u32_e32 v7, 32, v7
	v_subrev_u32_e32 v15, 28, v7
	v_lshlrev_b64 v[14:15], v15, v[14:15]
	v_sub_u32_e32 v7, 29, v7
	v_and_b32_e32 v14, 7, v14
	v_cndmask_b32_e32 v3, v3, v14, vcc
	v_cndmask_b32_e32 v4, v4, v7, vcc
	v_lshlrev_b32_e32 v3, 20, v3
	v_lshl_or_b32 v3, v4, 23, v3
	v_add_u32_e32 v3, 0x3c000000, v3
	v_or_b32_e32 v16, v3, v6
.LBB2_6116:                             ;   in Loop: Header=BB2_6091 Depth=3
	s_or_b64 exec, exec, s[28:29]
.LBB2_6117:                             ;   in Loop: Header=BB2_6091 Depth=3
	s_or_b64 exec, exec, s[40:41]
.LBB2_6118:                             ;   in Loop: Header=BB2_6091 Depth=3
	s_or_b64 exec, exec, s[42:43]
	v_max_f32_e32 v3, v16, v16
	v_max_f32_e32 v4, v21, v21
	v_min_f32_e32 v14, v4, v3
.LBB2_6119:                             ;   in Loop: Header=BB2_6091 Depth=3
	v_and_b32_e32 v34, 0x7f800000, v14
	v_cmp_ne_u64_e32 vcc, s[90:91], v[34:35]
                                        ; implicit-def: $vgpr7
	s_mov_b64 s[28:29], exec
	buffer_load_dword v26, off, s[0:3], s33 offset:56 ; 4-byte Folded Reload
	s_and_b64 s[42:43], s[28:29], vcc
	s_xor_b64 s[40:41], s[42:43], s[28:29]
	s_mov_b64 exec, s[42:43]
	s_cbranch_execz .LBB2_6137
; %bb.6120:                             ;   in Loop: Header=BB2_6091 Depth=3
	v_and_b32_e32 v34, 0x7fffffff, v14
	v_cmp_gt_u64_e32 vcc, s[92:93], v[34:35]
	v_and_b32_sdwa v6, v14, s59 dst_sel:DWORD dst_unused:UNUSED_PAD src0_sel:BYTE_3 src1_sel:DWORD
                                        ; implicit-def: $vgpr7
	s_and_saveexec_b64 s[28:29], vcc
	s_xor_b64 s[42:43], exec, s[28:29]
	s_cbranch_execz .LBB2_6134
; %bb.6121:                             ;   in Loop: Header=BB2_6091 Depth=3
	v_cmp_ne_u32_e32 vcc, 0, v14
	v_mov_b32_e32 v7, 0
	s_and_saveexec_b64 s[48:49], vcc
	s_cbranch_execz .LBB2_6133
; %bb.6122:                             ;   in Loop: Header=BB2_6091 Depth=3
	v_bfe_u32 v7, v14, 23, 8
	v_cmp_gt_u32_e64 s[28:29], s56, v7
	v_sub_u32_e32 v4, 0x79, v7
	v_and_b32_e32 v3, 0x7fffff, v14
	v_cmp_eq_u32_e32 vcc, 0, v7
	v_cndmask_b32_e64 v4, 0, v4, s[28:29]
	v_mov_b32_e32 v15, 0x78
	v_or_b32_e32 v14, 0x800000, v3
	v_cndmask_b32_e32 v16, v4, v15, vcc
	v_cndmask_b32_e32 v34, v14, v3, vcc
	v_add_u32_e32 v3, 20, v16
	v_lshlrev_b64 v[14:15], v3, -1
	v_add_u32_e32 v3, 19, v16
	v_lshlrev_b64 v[24:25], v3, 1
	v_bfi_b32 v15, v15, 0, 0
	v_bfi_b32 v14, v14, 0, v34
	v_cmp_eq_u64_e64 s[28:29], v[14:15], v[24:25]
	v_lshrrev_b64 v[14:15], v16, v[34:35]
	v_mov_b32_e32 v41, v15
	v_mov_b32_e32 v40, v14
	s_and_saveexec_b64 s[50:51], s[28:29]
; %bb.6123:                             ;   in Loop: Header=BB2_6091 Depth=3
	v_bfe_u32 v3, v14, 20, 1
	v_add_co_u32_e64 v3, s[28:29], v14, v3
	v_add_co_u32_e64 v40, s[28:29], -1, v3
; %bb.6124:                             ;   in Loop: Header=BB2_6091 Depth=3
	s_or_b64 exec, exec, s[50:51]
	v_add_u32_e32 v3, 0xffffff81, v7
	v_cndmask_b32_e32 v3, v3, v52, vcc
	v_lshrrev_b32_e32 v4, 23, v14
	v_add3_u32 v21, v16, v3, v4
	v_add_u32_e32 v7, 6, v21
	v_and_b32_e32 v3, 0xfffff, v40
	v_add_u32_e32 v34, v3, v14
	v_cmp_ne_u32_e32 vcc, 0, v7
                                        ; implicit-def: $vgpr14_vgpr15
                                        ; implicit-def: $vgpr16
	s_and_saveexec_b64 s[28:29], vcc
	s_xor_b64 s[28:29], exec, s[28:29]
; %bb.6125:                             ;   in Loop: Header=BB2_6091 Depth=3
	v_cmp_lt_u64_e32 vcc, s[94:95], v[34:35]
	v_add_u32_e32 v3, 7, v21
	v_cndmask_b32_e32 v16, v7, v3, vcc
	v_cndmask_b32_e64 v3, 0, 1, vcc
	v_lshrrev_b64 v[14:15], v3, v[34:35]
; %bb.6126:                             ;   in Loop: Header=BB2_6091 Depth=3
	s_andn2_saveexec_b64 s[28:29], s[28:29]
; %bb.6127:                             ;   in Loop: Header=BB2_6091 Depth=3
	v_mov_b32_e32 v14, v34
	v_bfe_u32 v16, v34, 23, 1
	v_mov_b32_e32 v15, v35
; %bb.6128:                             ;   in Loop: Header=BB2_6091 Depth=3
	s_or_b64 exec, exec, s[28:29]
	v_lshrrev_b64 v[14:15], 20, v[14:15]
	v_cmp_gt_i32_e32 vcc, 16, v16
	v_cndmask_b32_e32 v15, 0, v15, vcc
	v_cndmask_b32_e32 v14, 7, v14, vcc
	v_cmp_ne_u64_e32 vcc, 0, v[14:15]
	v_cmp_ne_u32_e64 s[28:29], 0, v16
	s_or_b64 s[28:29], s[28:29], vcc
                                        ; implicit-def: $vgpr7
	s_and_saveexec_b64 vcc, s[28:29]
	s_xor_b64 s[28:29], exec, vcc
; %bb.6129:                             ;   in Loop: Header=BB2_6091 Depth=3
	v_min_i32_e32 v3, 15, v16
	v_lshl_or_b32 v3, v3, 3, v6
	v_and_or_b32 v7, v14, 7, v3
                                        ; implicit-def: $vgpr6
; %bb.6130:                             ;   in Loop: Header=BB2_6091 Depth=3
	s_andn2_saveexec_b64 s[28:29], s[28:29]
; %bb.6131:                             ;   in Loop: Header=BB2_6091 Depth=3
	v_mov_b32_e32 v7, v6
; %bb.6132:                             ;   in Loop: Header=BB2_6091 Depth=3
	s_or_b64 exec, exec, s[28:29]
.LBB2_6133:                             ;   in Loop: Header=BB2_6091 Depth=3
	s_or_b64 exec, exec, s[48:49]
                                        ; implicit-def: $vgpr6
.LBB2_6134:                             ;   in Loop: Header=BB2_6091 Depth=3
	s_andn2_saveexec_b64 s[28:29], s[42:43]
; %bb.6135:                             ;   in Loop: Header=BB2_6091 Depth=3
	v_or_b32_e32 v7, 0x7e, v6
; %bb.6136:                             ;   in Loop: Header=BB2_6091 Depth=3
	s_or_b64 exec, exec, s[28:29]
                                        ; implicit-def: $vgpr14
.LBB2_6137:                             ;   in Loop: Header=BB2_6091 Depth=3
	s_andn2_saveexec_b64 s[28:29], s[40:41]
	s_cbranch_execz .LBB2_6090
; %bb.6138:                             ;   in Loop: Header=BB2_6091 Depth=3
	v_or_b32_sdwa v7, v14, s97 dst_sel:DWORD dst_unused:UNUSED_PAD src0_sel:BYTE_3 src1_sel:DWORD
	s_branch .LBB2_6090
.LBB2_6139:                             ;   in Loop: Header=BB2_2331 Depth=2
	s_or_b64 exec, exec, s[44:45]
.LBB2_6140:                             ;   in Loop: Header=BB2_2331 Depth=2
	buffer_load_dword v1, off, s[0:3], s33 offset:152 ; 4-byte Folded Reload
	buffer_load_dword v26, off, s[0:3], s33 offset:56 ; 4-byte Folded Reload
	s_waitcnt vmcnt(0)
	v_cmp_lt_i32_e64 s[28:29], 0, v1
	s_and_saveexec_b64 s[40:41], s[12:13]
	s_cbranch_execz .LBB2_6159
.LBB2_6141:                             ;   in Loop: Header=BB2_2331 Depth=2
	s_and_saveexec_b64 s[42:43], s[72:73]
	s_xor_b64 s[42:43], exec, s[42:43]
	s_cbranch_execz .LBB2_6156
; %bb.6142:                             ;   in Loop: Header=BB2_2331 Depth=2
	s_and_saveexec_b64 s[44:45], s[6:7]
	s_cbranch_execz .LBB2_6155
; %bb.6143:                             ;   in Loop: Header=BB2_2331 Depth=2
	s_mov_b64 s[38:39], exec
	v_mbcnt_lo_u32_b32 v1, s38, 0
	v_mbcnt_hi_u32_b32 v1, s39, v1
	v_cmp_eq_u32_e32 vcc, 0, v1
	s_waitcnt vmcnt(0) lgkmcnt(0)
	buffer_wbinvl1_vol
	s_and_saveexec_b64 s[46:47], vcc
	s_cbranch_execz .LBB2_6145
; %bb.6144:                             ;   in Loop: Header=BB2_2331 Depth=2
	s_bcnt1_i32_b64 s9, s[38:39]
	v_mov_b32_e32 v34, s9
	ds_add_u64 v0, v[34:35]
	s_trap 2
.LBB2_6145:                             ;   in Loop: Header=BB2_2331 Depth=2
	s_or_b64 exec, exec, s[46:47]
	s_trap 2
	ds_read_b64 v[6:7], v0
	s_waitcnt lgkmcnt(0)
	v_add_co_u32_e32 v32, vcc, v32, v17
	v_addc_co_u32_e32 v33, vcc, 0, v33, vcc
	v_cmp_lt_u64_e32 vcc, v[6:7], v[32:33]
	s_and_saveexec_b64 s[46:47], vcc
	s_cbranch_execz .LBB2_6154
; %bb.6146:                             ;   in Loop: Header=BB2_2331 Depth=2
	s_mov_b32 s9, 0
	s_mov_b64 s[38:39], 0
                                        ; implicit-def: $sgpr48_sgpr49
                                        ; implicit-def: $sgpr50_sgpr51
	s_branch .LBB2_6148
.LBB2_6147:                             ;   in Loop: Header=BB2_6148 Depth=3
	s_or_b64 exec, exec, s[54:55]
	s_and_b64 vcc, exec, vcc
	s_or_b64 s[38:39], vcc, s[38:39]
	s_andn2_b64 vcc, s[48:49], exec
	s_and_b64 s[48:49], s[50:51], exec
	s_or_b64 s[48:49], vcc, s[48:49]
	s_andn2_b64 exec, exec, s[38:39]
	s_cbranch_execz .LBB2_6152
.LBB2_6148:                             ;   Parent Loop BB2_47 Depth=1
                                        ;     Parent Loop BB2_2331 Depth=2
                                        ; =>    This Inner Loop Header: Depth=3
	s_add_i32 s9, s9, 1
	s_cmpk_lg_i32 s9, 0x2710
	s_cselect_b64 s[52:53], -1, 0
	s_and_b64 vcc, exec, s[52:53]
	s_cbranch_vccz .LBB2_6150
; %bb.6149:                             ;   in Loop: Header=BB2_6148 Depth=3
	s_mov_b64 vcc, -1
	s_or_b64 s[50:51], s[50:51], exec
	s_and_saveexec_b64 s[54:55], s[52:53]
	s_cbranch_execz .LBB2_6147
	s_branch .LBB2_6151
.LBB2_6150:                             ;   in Loop: Header=BB2_6148 Depth=3
	s_trap 2
	ds_read_b64 v[6:7], v0
	s_andn2_b64 s[52:53], s[52:53], exec
	s_mov_b32 s9, 0
	s_waitcnt lgkmcnt(0)
	flat_load_dword v1, v[6:7] glc
	s_waitcnt vmcnt(0) lgkmcnt(0)
	buffer_wbinvl1_vol
	v_cmp_eq_u32_e32 vcc, 0, v1
	s_and_b64 vcc, vcc, exec
	s_or_b64 s[52:53], s[52:53], vcc
	s_mov_b64 vcc, -1
	s_or_b64 s[50:51], s[50:51], exec
	s_and_saveexec_b64 s[54:55], s[52:53]
	s_cbranch_execz .LBB2_6147
.LBB2_6151:                             ;   in Loop: Header=BB2_6148 Depth=3
	s_sleep 1
	s_trap 2
	ds_read_b64 v[6:7], v0
	s_waitcnt lgkmcnt(0)
	s_andn2_b64 s[50:51], s[50:51], exec
	v_cmp_ge_u64_e32 vcc, v[6:7], v[32:33]
	s_orn2_b64 vcc, vcc, exec
	s_branch .LBB2_6147
.LBB2_6152:                             ;   in Loop: Header=BB2_2331 Depth=2
	s_or_b64 exec, exec, s[38:39]
	s_and_saveexec_b64 vcc, s[48:49]
	s_xor_b64 vcc, exec, vcc
	s_cbranch_execz .LBB2_6154
; %bb.6153:                             ;   in Loop: Header=BB2_2331 Depth=2
	v_mov_b32_e32 v1, 1
	ds_write_b32 v0, v1
	s_trap 2
.LBB2_6154:                             ;   in Loop: Header=BB2_2331 Depth=2
	s_or_b64 exec, exec, s[46:47]
	;;#ASMSTART
	s_wakeup
	;;#ASMEND
.LBB2_6155:                             ;   in Loop: Header=BB2_2331 Depth=2
	s_or_b64 exec, exec, s[44:45]
.LBB2_6156:                             ;   in Loop: Header=BB2_2331 Depth=2
	s_andn2_saveexec_b64 s[42:43], s[42:43]
	s_cbranch_execz .LBB2_6158
; %bb.6157:                             ;   in Loop: Header=BB2_2331 Depth=2
	s_waitcnt vmcnt(0) lgkmcnt(0)
	buffer_wbinvl1_vol
	s_barrier
.LBB2_6158:                             ;   in Loop: Header=BB2_2331 Depth=2
	s_or_b64 exec, exec, s[42:43]
.LBB2_6159:                             ;   in Loop: Header=BB2_2331 Depth=2
	s_or_b64 exec, exec, s[40:41]
	v_and_b32_e32 v1, 16, v20
	s_and_saveexec_b64 s[40:41], s[18:19]
	s_xor_b64 s[40:41], exec, s[40:41]
	s_cbranch_execz .LBB2_6163
; %bb.6160:                             ;   in Loop: Header=BB2_2331 Depth=2
	v_and_b32_e32 v3, 16, v20
	v_cmp_ne_u32_e32 vcc, 0, v3
	v_and_b32_e32 v1, 16, v20
	s_and_b64 s[42:43], vcc, s[28:29]
	s_and_saveexec_b64 s[28:29], s[42:43]
	s_cbranch_execz .LBB2_6162
; %bb.6161:                             ;   in Loop: Header=BB2_2331 Depth=2
	v_mov_b32_e32 v1, 1
	s_waitcnt vmcnt(0) lgkmcnt(0)
	buffer_wbinvl1_vol
.LBB2_6162:                             ;   in Loop: Header=BB2_2331 Depth=2
	s_or_b64 exec, exec, s[28:29]
.LBB2_6163:                             ;   in Loop: Header=BB2_2331 Depth=2
	s_andn2_saveexec_b64 s[28:29], s[40:41]
	s_cbranch_execz .LBB2_6182
; %bb.6164:                             ;   in Loop: Header=BB2_2331 Depth=2
	s_and_saveexec_b64 s[40:41], s[72:73]
	s_xor_b64 s[40:41], exec, s[40:41]
	s_cbranch_execz .LBB2_6179
; %bb.6165:                             ;   in Loop: Header=BB2_2331 Depth=2
	s_and_saveexec_b64 s[42:43], s[6:7]
	s_cbranch_execz .LBB2_6178
; %bb.6166:                             ;   in Loop: Header=BB2_2331 Depth=2
	s_mov_b64 s[46:47], exec
	v_mbcnt_lo_u32_b32 v3, s46, 0
	v_mbcnt_hi_u32_b32 v3, s47, v3
	v_cmp_eq_u32_e32 vcc, 0, v3
	;;#ASMSTART
	s_waitcnt lgkmcnt(0) vmcnt(0)
	;;#ASMEND
	s_and_saveexec_b64 s[44:45], vcc
	s_cbranch_execz .LBB2_6168
; %bb.6167:                             ;   in Loop: Header=BB2_2331 Depth=2
	s_bcnt1_i32_b64 s9, s[46:47]
	v_mov_b32_e32 v34, s9
	s_waitcnt lgkmcnt(0)
	ds_add_u64 v0, v[34:35]
	s_trap 2
.LBB2_6168:                             ;   in Loop: Header=BB2_2331 Depth=2
	s_or_b64 exec, exec, s[44:45]
	s_trap 2
	ds_read_b64 v[6:7], v0
	s_waitcnt lgkmcnt(0)
	v_add_co_u32_e32 v32, vcc, v32, v17
	v_addc_co_u32_e32 v33, vcc, 0, v33, vcc
	v_cmp_lt_u64_e32 vcc, v[6:7], v[32:33]
	s_and_saveexec_b64 s[44:45], vcc
	s_cbranch_execz .LBB2_6177
; %bb.6169:                             ;   in Loop: Header=BB2_2331 Depth=2
	s_mov_b32 s9, 0
	s_mov_b64 s[46:47], 0
                                        ; implicit-def: $sgpr38_sgpr39
                                        ; implicit-def: $sgpr48_sgpr49
	s_branch .LBB2_6171
.LBB2_6170:                             ;   in Loop: Header=BB2_6171 Depth=3
	s_or_b64 exec, exec, s[52:53]
	s_and_b64 vcc, exec, vcc
	s_or_b64 s[46:47], vcc, s[46:47]
	s_andn2_b64 vcc, s[38:39], exec
	s_and_b64 s[38:39], s[48:49], exec
	s_or_b64 s[38:39], vcc, s[38:39]
	s_andn2_b64 exec, exec, s[46:47]
	s_cbranch_execz .LBB2_6175
.LBB2_6171:                             ;   Parent Loop BB2_47 Depth=1
                                        ;     Parent Loop BB2_2331 Depth=2
                                        ; =>    This Inner Loop Header: Depth=3
	s_add_i32 s9, s9, 1
	s_cmpk_lg_i32 s9, 0x2710
	s_cselect_b64 s[50:51], -1, 0
	s_and_b64 vcc, exec, s[50:51]
	s_cbranch_vccz .LBB2_6173
; %bb.6172:                             ;   in Loop: Header=BB2_6171 Depth=3
	s_mov_b64 vcc, -1
	s_or_b64 s[48:49], s[48:49], exec
	s_and_saveexec_b64 s[52:53], s[50:51]
	s_cbranch_execz .LBB2_6170
	s_branch .LBB2_6174
.LBB2_6173:                             ;   in Loop: Header=BB2_6171 Depth=3
	s_trap 2
	ds_read_b64 v[6:7], v0
	s_andn2_b64 s[50:51], s[50:51], exec
	s_mov_b32 s9, 0
	s_waitcnt vmcnt(0) lgkmcnt(0)
	flat_load_dword v3, v[6:7] glc
	s_waitcnt vmcnt(0) lgkmcnt(0)
	buffer_wbinvl1_vol
	v_cmp_eq_u32_e32 vcc, 0, v3
	s_and_b64 vcc, vcc, exec
	s_or_b64 s[50:51], s[50:51], vcc
	s_mov_b64 vcc, -1
	s_or_b64 s[48:49], s[48:49], exec
	s_and_saveexec_b64 s[52:53], s[50:51]
	s_cbranch_execz .LBB2_6170
.LBB2_6174:                             ;   in Loop: Header=BB2_6171 Depth=3
	s_sleep 1
	s_trap 2
	ds_read_b64 v[6:7], v0
	s_waitcnt lgkmcnt(0)
	s_andn2_b64 s[48:49], s[48:49], exec
	v_cmp_ge_u64_e32 vcc, v[6:7], v[32:33]
	s_orn2_b64 vcc, vcc, exec
	s_branch .LBB2_6170
.LBB2_6175:                             ;   in Loop: Header=BB2_2331 Depth=2
	s_or_b64 exec, exec, s[46:47]
	s_and_saveexec_b64 s[46:47], s[38:39]
	s_xor_b64 s[46:47], exec, s[46:47]
	s_cbranch_execz .LBB2_6177
; %bb.6176:                             ;   in Loop: Header=BB2_2331 Depth=2
	v_mov_b32_e32 v3, 1
	ds_write_b32 v0, v3
	s_trap 2
.LBB2_6177:                             ;   in Loop: Header=BB2_2331 Depth=2
	s_or_b64 exec, exec, s[44:45]
	;;#ASMSTART
	s_wakeup
	;;#ASMEND
.LBB2_6178:                             ;   in Loop: Header=BB2_2331 Depth=2
	s_or_b64 exec, exec, s[42:43]
.LBB2_6179:                             ;   in Loop: Header=BB2_2331 Depth=2
	s_andn2_saveexec_b64 s[40:41], s[40:41]
	s_cbranch_execz .LBB2_6181
; %bb.6180:                             ;   in Loop: Header=BB2_2331 Depth=2
	;;#ASMSTART
	s_waitcnt lgkmcnt(0) vmcnt(0)
	;;#ASMEND
	s_waitcnt vmcnt(0) lgkmcnt(0)
	s_barrier
.LBB2_6181:                             ;   in Loop: Header=BB2_2331 Depth=2
	s_or_b64 exec, exec, s[40:41]
.LBB2_6182:                             ;   in Loop: Header=BB2_2331 Depth=2
	s_or_b64 exec, exec, s[28:29]
	v_cmp_ne_u32_e32 vcc, 0, v1
	s_xor_b64 s[28:29], s[20:21], -1
	s_and_b64 s[40:41], vcc, s[28:29]
	s_and_saveexec_b64 s[28:29], s[40:41]
	s_cbranch_execz .LBB2_6184
; %bb.6183:                             ;   in Loop: Header=BB2_2331 Depth=2
	buffer_load_dword v3, off, s[0:3], s33 offset:96 ; 4-byte Folded Reload
	buffer_load_dword v4, off, s[0:3], s33 offset:100 ; 4-byte Folded Reload
	v_mov_b32_e32 v1, 1
	s_waitcnt vmcnt(0)
	flat_store_dword v[3:4], v1
.LBB2_6184:                             ;   in Loop: Header=BB2_2331 Depth=2
	s_or_b64 exec, exec, s[28:29]
	v_and_b32_e32 v1, 48, v20
	v_cmp_ne_u32_e32 vcc, 0, v1
	s_and_saveexec_b64 s[28:29], vcc
	s_cbranch_execz .LBB2_2330
; %bb.6185:                             ;   in Loop: Header=BB2_2331 Depth=2
	v_add_co_u32_e32 v50, vcc, 2, v50
	v_addc_co_u32_e32 v51, vcc, 0, v51, vcc
	flat_store_dwordx2 v[22:23], v[50:51]
	s_branch .LBB2_2330
.LBB2_6186:                             ;   in Loop: Header=BB2_47 Depth=1
	s_or_b64 exec, exec, s[30:31]
	v_cmp_gt_i32_e32 vcc, 2, v1
	s_and_saveexec_b64 s[40:41], vcc
	s_cbranch_execz .LBB2_6262
.LBB2_6187:                             ;   in Loop: Header=BB2_47 Depth=1
	v_cmp_eq_u32_e64 s[44:45], 0, v1
	s_mov_b64 s[42:43], 0
	s_branch .LBB2_6189
.LBB2_6188:                             ;   in Loop: Header=BB2_6189 Depth=2
	s_or_b64 exec, exec, s[28:29]
	v_add_u32_e32 v19, v54, v19
	s_mov_b64 s[44:45], 0
	s_andn2_b64 exec, exec, s[42:43]
	s_cbranch_execz .LBB2_6263
.LBB2_6189:                             ;   Parent Loop BB2_47 Depth=1
                                        ; =>  This Loop Header: Depth=2
                                        ;       Child Loop BB2_6195 Depth 3
                                        ;       Child Loop BB2_6223 Depth 3
	;; [unrolled: 1-line block ×3, first 2 shown]
	v_sub_u32_e32 v1, v18, v19
	v_min_i32_e32 v54, v54, v1
	v_and_b32_e32 v1, 12, v20
	v_cmp_ne_u32_e32 vcc, 0, v1
	s_and_saveexec_b64 s[46:47], vcc
	s_cbranch_execz .LBB2_6215
; %bb.6190:                             ;   in Loop: Header=BB2_6189 Depth=2
	v_and_b32_e32 v1, 8, v20
	s_waitcnt lgkmcnt(0)
	v_add_co_u32_e32 v6, vcc, v28, v1
	v_addc_co_u32_e32 v7, vcc, 0, v29, vcc
	v_add_co_u32_e32 v8, vcc, 2, v50
	v_addc_co_u32_e32 v9, vcc, 0, v51, vcc
	v_cmp_lt_u64_e32 vcc, v[6:7], v[8:9]
	s_and_saveexec_b64 s[30:31], vcc
	s_cbranch_execz .LBB2_6202
; %bb.6191:                             ;   in Loop: Header=BB2_6189 Depth=2
	v_and_b32_e32 v3, 64, v20
	s_mov_b32 s9, 0
	v_cmp_eq_u32_e32 vcc, 0, v3
	s_mov_b64 s[34:35], 0
                                        ; implicit-def: $sgpr36_sgpr37
                                        ; implicit-def: $sgpr38_sgpr39
                                        ; implicit-def: $sgpr48_sgpr49
	s_branch .LBB2_6195
.LBB2_6192:                             ;   in Loop: Header=BB2_6195 Depth=3
	s_waitcnt vmcnt(0) lgkmcnt(0)
	v_add_co_u32_e64 v10, s[28:29], v28, v1
	v_addc_co_u32_e64 v11, s[28:29], 0, v29, s[28:29]
	v_cmp_ge_u64_e64 s[28:29], v[10:11], v[8:9]
	s_or_b64 s[54:55], s[54:55], exec
	s_orn2_b64 s[52:53], s[28:29], exec
.LBB2_6193:                             ;   in Loop: Header=BB2_6195 Depth=3
	s_or_b64 exec, exec, s[66:67]
	s_andn2_b64 s[28:29], s[48:49], exec
	s_and_b64 s[48:49], s[54:55], exec
	s_or_b64 s[48:49], s[28:29], s[48:49]
	s_andn2_b64 s[28:29], s[38:39], exec
	s_and_b64 s[38:39], s[52:53], exec
	s_or_b64 s[38:39], s[28:29], s[38:39]
.LBB2_6194:                             ;   in Loop: Header=BB2_6195 Depth=3
	s_or_b64 exec, exec, s[50:51]
	s_and_b64 s[28:29], exec, s[38:39]
	s_or_b64 s[34:35], s[28:29], s[34:35]
	s_andn2_b64 s[28:29], s[36:37], exec
	s_and_b64 s[36:37], s[48:49], exec
	s_or_b64 s[36:37], s[28:29], s[36:37]
	s_andn2_b64 exec, exec, s[34:35]
	s_cbranch_execz .LBB2_6199
.LBB2_6195:                             ;   Parent Loop BB2_47 Depth=1
                                        ;     Parent Loop BB2_6189 Depth=2
                                        ; =>    This Inner Loop Header: Depth=3
	s_sleep 1
	s_waitcnt vmcnt(0) lgkmcnt(0)
	flat_load_dwordx2 v[28:29], v[22:23] glc
	s_or_b64 s[48:49], s[48:49], exec
	s_or_b64 s[38:39], s[38:39], exec
                                        ; implicit-def: $vgpr6
	s_and_saveexec_b64 s[50:51], vcc
	s_cbranch_execz .LBB2_6194
; %bb.6196:                             ;   in Loop: Header=BB2_6195 Depth=3
	s_cmpk_lt_i32 s9, 0x270f
	s_cselect_b64 s[64:65], -1, 0
	s_cmpk_gt_i32 s9, 0x270e
	s_mov_b64 s[52:53], -1
	s_cbranch_scc0 .LBB2_6198
; %bb.6197:                             ;   in Loop: Header=BB2_6195 Depth=3
	s_trap 2
	ds_read_b64 v[6:7], v0
	s_andn2_b64 s[64:65], s[64:65], exec
	s_mov_b32 s9, 0
	s_mov_b64 s[54:55], 0
	s_waitcnt vmcnt(0) lgkmcnt(0)
	flat_load_dword v6, v[6:7] glc
	s_waitcnt vmcnt(0) lgkmcnt(0)
	buffer_wbinvl1_vol
	v_cmp_eq_u32_e64 s[28:29], 0, v6
	s_and_b64 s[28:29], s[28:29], exec
	s_or_b64 s[64:65], s[64:65], s[28:29]
	s_and_saveexec_b64 s[66:67], s[64:65]
	s_cbranch_execz .LBB2_6193
	s_branch .LBB2_6192
.LBB2_6198:                             ;   in Loop: Header=BB2_6195 Depth=3
	s_add_i32 s9, s9, 1
	s_mov_b64 s[54:55], -1
                                        ; implicit-def: $vgpr6
	s_and_saveexec_b64 s[66:67], s[64:65]
	s_cbranch_execz .LBB2_6193
	s_branch .LBB2_6192
.LBB2_6199:                             ;   in Loop: Header=BB2_6189 Depth=2
	s_or_b64 exec, exec, s[34:35]
	s_xor_b64 s[28:29], s[36:37], -1
	s_and_saveexec_b64 vcc, s[28:29]
	s_xor_b64 s[28:29], exec, vcc
	s_cbranch_execz .LBB2_6201
; %bb.6200:                             ;   in Loop: Header=BB2_6189 Depth=2
	v_or_b32_e32 v20, 64, v20
	s_waitcnt lgkmcnt(0)
	ds_write_b32 v0, v6
	s_trap 2
.LBB2_6201:                             ;   in Loop: Header=BB2_6189 Depth=2
	s_or_b64 exec, exec, s[28:29]
.LBB2_6202:                             ;   in Loop: Header=BB2_6189 Depth=2
	s_or_b64 exec, exec, s[30:31]
	v_and_b32_e32 v3, 0x108, v20
	v_cmp_ne_u32_e32 vcc, s96, v3
	;;#ASMSTART
	s_wakeup
	;;#ASMEND
	s_and_saveexec_b64 s[28:29], vcc
	s_xor_b64 s[28:29], exec, s[28:29]
                                        ; implicit-def: $vgpr6
; %bb.6203:                             ;   in Loop: Header=BB2_6189 Depth=2
	v_and_b32_e32 v6, 7, v50
                                        ; implicit-def: $vgpr50_vgpr51
; %bb.6204:                             ;   in Loop: Header=BB2_6189 Depth=2
	s_andn2_saveexec_b64 s[28:29], s[28:29]
	s_cbranch_execz .LBB2_6206
; %bb.6205:                             ;   in Loop: Header=BB2_6189 Depth=2
	buffer_load_dword v10, off, s[0:3], s33 offset:80 ; 4-byte Folded Reload
	buffer_load_dword v11, off, s[0:3], s33 offset:84 ; 4-byte Folded Reload
	;; [unrolled: 1-line block ×4, first 2 shown]
	v_and_b32_e32 v6, 7, v50
	v_ashrrev_i32_e32 v55, 31, v54
	s_waitcnt vmcnt(0)
	v_mad_u64_u32 v[10:11], vcc, v6, 24, v[10:11]
	flat_store_dwordx2 v[10:11], v[54:55] offset:8
.LBB2_6206:                             ;   in Loop: Header=BB2_6189 Depth=2
	s_or_b64 exec, exec, s[28:29]
	v_and_b32_e32 v3, 0x100, v20
	v_cmp_ne_u32_e32 vcc, 0, v3
	s_mov_b64 s[28:29], -1
                                        ; implicit-def: $vgpr10_vgpr11
	s_and_saveexec_b64 s[30:31], vcc
	s_cbranch_execz .LBB2_6210
; %bb.6207:                             ;   in Loop: Header=BB2_6189 Depth=2
	buffer_load_dword v10, off, s[0:3], s33 offset:80 ; 4-byte Folded Reload
	buffer_load_dword v11, off, s[0:3], s33 offset:84 ; 4-byte Folded Reload
	;; [unrolled: 1-line block ×4, first 2 shown]
	s_waitcnt vmcnt(0)
	v_mad_u64_u32 v[12:13], s[28:29], v6, 24, v[10:11]
	v_mov_b32_e32 v7, v13
	v_mad_u64_u32 v[10:11], s[28:29], v35, 24, v[7:8]
	v_mov_b32_e32 v13, v10
	flat_load_dword v3, v[12:13]
                                        ; implicit-def: $vgpr10_vgpr11
	s_waitcnt vmcnt(0) lgkmcnt(0)
	v_cmp_ne_u32_e32 vcc, 1, v3
	v_cmp_eq_u32_e64 s[28:29], 1, v3
	s_and_saveexec_b64 s[34:35], s[28:29]
	s_cbranch_execz .LBB2_6209
; %bb.6208:                             ;   in Loop: Header=BB2_6189 Depth=2
	flat_load_dword v10, v[12:13] offset:4 glc
	s_waitcnt vmcnt(0) lgkmcnt(0)
	v_ashrrev_i32_e32 v11, 31, v10
.LBB2_6209:                             ;   in Loop: Header=BB2_6189 Depth=2
	s_or_b64 exec, exec, s[34:35]
	s_orn2_b64 s[28:29], vcc, exec
.LBB2_6210:                             ;   in Loop: Header=BB2_6189 Depth=2
	s_or_b64 exec, exec, s[30:31]
	s_and_saveexec_b64 vcc, s[28:29]
	s_cbranch_execz .LBB2_6212
; %bb.6211:                             ;   in Loop: Header=BB2_6189 Depth=2
	buffer_load_dword v7, off, s[0:3], s33 offset:104 ; 4-byte Folded Reload
	buffer_load_dword v4, off, s[0:3], s33 offset:124 ; 4-byte Folded Reload
	s_waitcnt vmcnt(0)
	v_mul_lo_u32 v3, v35, v7
	v_mul_lo_u32 v4, v6, v4
	v_mad_u64_u32 v[10:11], s[28:29], v6, v7, 0
	v_add3_u32 v11, v11, v4, v3
.LBB2_6212:                             ;   in Loop: Header=BB2_6189 Depth=2
	s_or_b64 exec, exec, vcc
	v_cmp_eq_u32_e32 vcc, 0, v1
	v_mov_b32_e32 v1, 0x90
	v_mov_b32_e32 v3, 0xd0
	v_cndmask_b32_e32 v1, v3, v1, vcc
	buffer_load_dword v3, off, s[0:3], s33 offset:72 ; 4-byte Folded Reload
	buffer_load_dword v4, off, s[0:3], s33 offset:76 ; 4-byte Folded Reload
	v_add_u32_e32 v1, v0, v1
	s_waitcnt vmcnt(0)
	v_add_co_u32_e32 v6, vcc, v3, v10
	v_addc_co_u32_e32 v7, vcc, v4, v11, vcc
	ds_write_b64 v1, v[6:7] offset:584
	v_and_b32_e32 v1, 0x2000, v20
	v_cmp_ne_u32_e32 vcc, 0, v1
	s_and_saveexec_b64 s[28:29], vcc
	s_cbranch_execz .LBB2_6214
; %bb.6213:                             ;   in Loop: Header=BB2_6189 Depth=2
	ds_read_b64 v[6:7], v0 offset:872
	s_waitcnt lgkmcnt(0)
	v_add_co_u32_e32 v6, vcc, 1, v6
	v_addc_co_u32_e32 v7, vcc, 0, v7, vcc
	ds_write_b64 v0, v[6:7] offset:872
.LBB2_6214:                             ;   in Loop: Header=BB2_6189 Depth=2
	s_or_b64 exec, exec, s[28:29]
	v_mov_b32_e32 v51, v9
	v_mov_b32_e32 v50, v8
.LBB2_6215:                             ;   in Loop: Header=BB2_6189 Depth=2
	s_or_b64 exec, exec, s[46:47]
	s_xor_b64 s[28:29], s[44:45], -1
	s_and_b64 s[28:29], exec, s[28:29]
	s_or_b64 s[42:43], s[28:29], s[42:43]
	s_and_saveexec_b64 s[28:29], s[12:13]
	s_cbranch_execz .LBB2_6234
; %bb.6216:                             ;   in Loop: Header=BB2_6189 Depth=2
	s_and_saveexec_b64 s[44:45], s[72:73]
	s_xor_b64 s[44:45], exec, s[44:45]
	s_cbranch_execz .LBB2_6231
; %bb.6217:                             ;   in Loop: Header=BB2_6189 Depth=2
	s_and_saveexec_b64 s[46:47], s[6:7]
	s_cbranch_execz .LBB2_6230
; %bb.6218:                             ;   in Loop: Header=BB2_6189 Depth=2
	s_mov_b64 s[34:35], exec
	v_mbcnt_lo_u32_b32 v1, s34, 0
	v_mbcnt_hi_u32_b32 v1, s35, v1
	v_cmp_eq_u32_e32 vcc, 0, v1
	s_waitcnt vmcnt(0) lgkmcnt(0)
	buffer_wbinvl1_vol
	s_and_saveexec_b64 s[30:31], vcc
	s_cbranch_execz .LBB2_6220
; %bb.6219:                             ;   in Loop: Header=BB2_6189 Depth=2
	s_bcnt1_i32_b64 s9, s[34:35]
	v_mov_b32_e32 v34, s9
	ds_add_u64 v0, v[34:35]
	s_trap 2
.LBB2_6220:                             ;   in Loop: Header=BB2_6189 Depth=2
	s_or_b64 exec, exec, s[30:31]
	s_trap 2
	ds_read_b64 v[6:7], v0
	s_waitcnt lgkmcnt(0)
	v_add_co_u32_e32 v32, vcc, v32, v17
	v_addc_co_u32_e32 v33, vcc, 0, v33, vcc
	v_cmp_lt_u64_e32 vcc, v[6:7], v[32:33]
	s_and_saveexec_b64 s[30:31], vcc
	s_cbranch_execz .LBB2_6229
; %bb.6221:                             ;   in Loop: Header=BB2_6189 Depth=2
	s_mov_b32 s9, 0
	s_mov_b64 s[34:35], 0
                                        ; implicit-def: $sgpr36_sgpr37
                                        ; implicit-def: $sgpr38_sgpr39
	s_branch .LBB2_6223
.LBB2_6222:                             ;   in Loop: Header=BB2_6223 Depth=3
	s_or_b64 exec, exec, s[50:51]
	s_and_b64 vcc, exec, vcc
	s_or_b64 s[34:35], vcc, s[34:35]
	s_andn2_b64 vcc, s[36:37], exec
	s_and_b64 s[36:37], s[38:39], exec
	s_or_b64 s[36:37], vcc, s[36:37]
	s_andn2_b64 exec, exec, s[34:35]
	s_cbranch_execz .LBB2_6227
.LBB2_6223:                             ;   Parent Loop BB2_47 Depth=1
                                        ;     Parent Loop BB2_6189 Depth=2
                                        ; =>    This Inner Loop Header: Depth=3
	s_add_i32 s9, s9, 1
	s_cmpk_lg_i32 s9, 0x2710
	s_cselect_b64 s[48:49], -1, 0
	s_and_b64 vcc, exec, s[48:49]
	s_cbranch_vccz .LBB2_6225
; %bb.6224:                             ;   in Loop: Header=BB2_6223 Depth=3
	s_mov_b64 vcc, -1
	s_or_b64 s[38:39], s[38:39], exec
	s_and_saveexec_b64 s[50:51], s[48:49]
	s_cbranch_execz .LBB2_6222
	s_branch .LBB2_6226
.LBB2_6225:                             ;   in Loop: Header=BB2_6223 Depth=3
	s_trap 2
	ds_read_b64 v[6:7], v0
	s_andn2_b64 s[48:49], s[48:49], exec
	s_mov_b32 s9, 0
	s_waitcnt lgkmcnt(0)
	flat_load_dword v1, v[6:7] glc
	s_waitcnt vmcnt(0) lgkmcnt(0)
	buffer_wbinvl1_vol
	v_cmp_eq_u32_e32 vcc, 0, v1
	s_and_b64 vcc, vcc, exec
	s_or_b64 s[48:49], s[48:49], vcc
	s_mov_b64 vcc, -1
	s_or_b64 s[38:39], s[38:39], exec
	s_and_saveexec_b64 s[50:51], s[48:49]
	s_cbranch_execz .LBB2_6222
.LBB2_6226:                             ;   in Loop: Header=BB2_6223 Depth=3
	s_sleep 1
	s_trap 2
	ds_read_b64 v[6:7], v0
	s_waitcnt lgkmcnt(0)
	s_andn2_b64 s[38:39], s[38:39], exec
	v_cmp_ge_u64_e32 vcc, v[6:7], v[32:33]
	s_orn2_b64 vcc, vcc, exec
	s_branch .LBB2_6222
.LBB2_6227:                             ;   in Loop: Header=BB2_6189 Depth=2
	s_or_b64 exec, exec, s[34:35]
	s_and_saveexec_b64 vcc, s[36:37]
	s_xor_b64 vcc, exec, vcc
	s_cbranch_execz .LBB2_6229
; %bb.6228:                             ;   in Loop: Header=BB2_6189 Depth=2
	v_mov_b32_e32 v1, 1
	ds_write_b32 v0, v1
	s_trap 2
.LBB2_6229:                             ;   in Loop: Header=BB2_6189 Depth=2
	s_or_b64 exec, exec, s[30:31]
	;;#ASMSTART
	s_wakeup
	;;#ASMEND
.LBB2_6230:                             ;   in Loop: Header=BB2_6189 Depth=2
	s_or_b64 exec, exec, s[46:47]
.LBB2_6231:                             ;   in Loop: Header=BB2_6189 Depth=2
	s_andn2_saveexec_b64 s[44:45], s[44:45]
	s_cbranch_execz .LBB2_6233
; %bb.6232:                             ;   in Loop: Header=BB2_6189 Depth=2
	s_waitcnt vmcnt(0) lgkmcnt(0)
	buffer_wbinvl1_vol
	s_barrier
.LBB2_6233:                             ;   in Loop: Header=BB2_6189 Depth=2
	s_or_b64 exec, exec, s[44:45]
.LBB2_6234:                             ;   in Loop: Header=BB2_6189 Depth=2
	s_or_b64 exec, exec, s[28:29]
	v_and_b32_e32 v1, 16, v20
	s_and_saveexec_b64 s[28:29], s[18:19]
	s_xor_b64 s[28:29], exec, s[28:29]
	s_cbranch_execz .LBB2_6238
; %bb.6235:                             ;   in Loop: Header=BB2_6189 Depth=2
	s_trap 2
	ds_read_b32 v1, v0
	v_cmp_lt_i32_e32 vcc, 0, v54
	v_and_b32_e32 v3, 16, v20
	s_waitcnt lgkmcnt(0)
	v_readfirstlane_b32 s9, v1
	s_cmp_eq_u32 s9, 0
	s_cselect_b64 s[44:45], -1, 0
	s_and_b64 s[44:45], vcc, s[44:45]
	v_cmp_ne_u32_e32 vcc, 0, v3
	v_and_b32_e32 v1, 16, v20
	s_and_b64 s[46:47], vcc, s[44:45]
	s_and_saveexec_b64 s[44:45], s[46:47]
	s_cbranch_execz .LBB2_6237
; %bb.6236:                             ;   in Loop: Header=BB2_6189 Depth=2
	v_mov_b32_e32 v1, 1
	s_waitcnt vmcnt(0)
	buffer_wbinvl1_vol
.LBB2_6237:                             ;   in Loop: Header=BB2_6189 Depth=2
	s_or_b64 exec, exec, s[44:45]
.LBB2_6238:                             ;   in Loop: Header=BB2_6189 Depth=2
	s_andn2_saveexec_b64 s[28:29], s[28:29]
	s_cbranch_execz .LBB2_6257
; %bb.6239:                             ;   in Loop: Header=BB2_6189 Depth=2
	s_and_saveexec_b64 s[44:45], s[72:73]
	s_xor_b64 s[44:45], exec, s[44:45]
	s_cbranch_execz .LBB2_6254
; %bb.6240:                             ;   in Loop: Header=BB2_6189 Depth=2
	s_and_saveexec_b64 s[46:47], s[6:7]
	s_cbranch_execz .LBB2_6253
; %bb.6241:                             ;   in Loop: Header=BB2_6189 Depth=2
	s_mov_b64 s[34:35], exec
	v_mbcnt_lo_u32_b32 v3, s34, 0
	v_mbcnt_hi_u32_b32 v3, s35, v3
	v_cmp_eq_u32_e32 vcc, 0, v3
	;;#ASMSTART
	s_waitcnt lgkmcnt(0) vmcnt(0)
	;;#ASMEND
	s_and_saveexec_b64 s[30:31], vcc
	s_cbranch_execz .LBB2_6243
; %bb.6242:                             ;   in Loop: Header=BB2_6189 Depth=2
	s_bcnt1_i32_b64 s9, s[34:35]
	v_mov_b32_e32 v34, s9
	s_waitcnt lgkmcnt(0)
	ds_add_u64 v0, v[34:35]
	s_trap 2
.LBB2_6243:                             ;   in Loop: Header=BB2_6189 Depth=2
	s_or_b64 exec, exec, s[30:31]
	s_trap 2
	ds_read_b64 v[6:7], v0
	s_waitcnt lgkmcnt(0)
	v_add_co_u32_e32 v32, vcc, v32, v17
	v_addc_co_u32_e32 v33, vcc, 0, v33, vcc
	v_cmp_lt_u64_e32 vcc, v[6:7], v[32:33]
	s_and_saveexec_b64 s[30:31], vcc
	s_cbranch_execz .LBB2_6252
; %bb.6244:                             ;   in Loop: Header=BB2_6189 Depth=2
	s_mov_b32 s9, 0
	s_mov_b64 s[34:35], 0
                                        ; implicit-def: $sgpr36_sgpr37
                                        ; implicit-def: $sgpr38_sgpr39
	s_branch .LBB2_6246
.LBB2_6245:                             ;   in Loop: Header=BB2_6246 Depth=3
	s_or_b64 exec, exec, s[50:51]
	s_and_b64 vcc, exec, vcc
	s_or_b64 s[34:35], vcc, s[34:35]
	s_andn2_b64 vcc, s[36:37], exec
	s_and_b64 s[36:37], s[38:39], exec
	s_or_b64 s[36:37], vcc, s[36:37]
	s_andn2_b64 exec, exec, s[34:35]
	s_cbranch_execz .LBB2_6250
.LBB2_6246:                             ;   Parent Loop BB2_47 Depth=1
                                        ;     Parent Loop BB2_6189 Depth=2
                                        ; =>    This Inner Loop Header: Depth=3
	s_add_i32 s9, s9, 1
	s_cmpk_lg_i32 s9, 0x2710
	s_cselect_b64 s[48:49], -1, 0
	s_and_b64 vcc, exec, s[48:49]
	s_cbranch_vccz .LBB2_6248
; %bb.6247:                             ;   in Loop: Header=BB2_6246 Depth=3
	s_mov_b64 vcc, -1
	s_or_b64 s[38:39], s[38:39], exec
	s_and_saveexec_b64 s[50:51], s[48:49]
	s_cbranch_execz .LBB2_6245
	s_branch .LBB2_6249
.LBB2_6248:                             ;   in Loop: Header=BB2_6246 Depth=3
	s_trap 2
	ds_read_b64 v[6:7], v0
	s_andn2_b64 s[48:49], s[48:49], exec
	s_mov_b32 s9, 0
	s_waitcnt vmcnt(0) lgkmcnt(0)
	flat_load_dword v3, v[6:7] glc
	s_waitcnt vmcnt(0) lgkmcnt(0)
	buffer_wbinvl1_vol
	v_cmp_eq_u32_e32 vcc, 0, v3
	s_and_b64 vcc, vcc, exec
	s_or_b64 s[48:49], s[48:49], vcc
	s_mov_b64 vcc, -1
	s_or_b64 s[38:39], s[38:39], exec
	s_and_saveexec_b64 s[50:51], s[48:49]
	s_cbranch_execz .LBB2_6245
.LBB2_6249:                             ;   in Loop: Header=BB2_6246 Depth=3
	s_sleep 1
	s_trap 2
	ds_read_b64 v[6:7], v0
	s_waitcnt lgkmcnt(0)
	s_andn2_b64 s[38:39], s[38:39], exec
	v_cmp_ge_u64_e32 vcc, v[6:7], v[32:33]
	s_orn2_b64 vcc, vcc, exec
	s_branch .LBB2_6245
.LBB2_6250:                             ;   in Loop: Header=BB2_6189 Depth=2
	s_or_b64 exec, exec, s[34:35]
	s_and_saveexec_b64 vcc, s[36:37]
	s_xor_b64 vcc, exec, vcc
	s_cbranch_execz .LBB2_6252
; %bb.6251:                             ;   in Loop: Header=BB2_6189 Depth=2
	v_mov_b32_e32 v3, 1
	ds_write_b32 v0, v3
	s_trap 2
.LBB2_6252:                             ;   in Loop: Header=BB2_6189 Depth=2
	s_or_b64 exec, exec, s[30:31]
	;;#ASMSTART
	s_wakeup
	;;#ASMEND
.LBB2_6253:                             ;   in Loop: Header=BB2_6189 Depth=2
	s_or_b64 exec, exec, s[46:47]
.LBB2_6254:                             ;   in Loop: Header=BB2_6189 Depth=2
	s_andn2_saveexec_b64 s[44:45], s[44:45]
	s_cbranch_execz .LBB2_6256
; %bb.6255:                             ;   in Loop: Header=BB2_6189 Depth=2
	;;#ASMSTART
	s_waitcnt lgkmcnt(0) vmcnt(0)
	;;#ASMEND
	s_waitcnt vmcnt(0) lgkmcnt(0)
	s_barrier
.LBB2_6256:                             ;   in Loop: Header=BB2_6189 Depth=2
	s_or_b64 exec, exec, s[44:45]
.LBB2_6257:                             ;   in Loop: Header=BB2_6189 Depth=2
	s_or_b64 exec, exec, s[28:29]
	v_cmp_ne_u32_e32 vcc, 0, v1
	s_xor_b64 s[28:29], s[20:21], -1
	s_and_b64 s[44:45], vcc, s[28:29]
	s_and_saveexec_b64 s[28:29], s[44:45]
	s_cbranch_execz .LBB2_6259
; %bb.6258:                             ;   in Loop: Header=BB2_6189 Depth=2
	buffer_load_dword v3, off, s[0:3], s33 offset:96 ; 4-byte Folded Reload
	buffer_load_dword v4, off, s[0:3], s33 offset:100 ; 4-byte Folded Reload
	v_mov_b32_e32 v1, 1
	s_waitcnt vmcnt(0)
	flat_store_dword v[3:4], v1
.LBB2_6259:                             ;   in Loop: Header=BB2_6189 Depth=2
	s_or_b64 exec, exec, s[28:29]
	v_and_b32_e32 v1, 48, v20
	v_cmp_ne_u32_e32 vcc, 0, v1
	s_and_saveexec_b64 s[28:29], vcc
	s_cbranch_execz .LBB2_6188
; %bb.6260:                             ;   in Loop: Header=BB2_6189 Depth=2
	v_add_co_u32_e32 v50, vcc, 2, v50
	v_addc_co_u32_e32 v51, vcc, 0, v51, vcc
	flat_store_dwordx2 v[22:23], v[50:51]
	s_branch .LBB2_6188
.LBB2_6261:                             ;   in Loop: Header=BB2_47 Depth=1
	s_or_b64 exec, exec, s[34:35]
	s_or_b64 exec, exec, s[30:31]
	v_cmp_gt_i32_e32 vcc, 2, v1
	s_and_saveexec_b64 s[40:41], vcc
	s_cbranch_execnz .LBB2_6187
.LBB2_6262:                             ;   in Loop: Header=BB2_47 Depth=1
	s_or_b64 exec, exec, s[40:41]
	s_and_b64 vcc, exec, s[26:27]
	s_cbranch_vccz .LBB2_6264
	s_branch .LBB2_6522
.LBB2_6263:                             ;   in Loop: Header=BB2_47 Depth=1
	s_or_b64 exec, exec, s[42:43]
	s_or_b64 exec, exec, s[40:41]
	s_and_b64 vcc, exec, s[26:27]
	s_cbranch_vccnz .LBB2_6522
.LBB2_6264:                             ;   in Loop: Header=BB2_47 Depth=1
	s_mov_b32 s9, 1
.LBB2_6265:                             ;   Parent Loop BB2_47 Depth=1
                                        ; =>  This Loop Header: Depth=2
                                        ;       Child Loop BB2_6268 Depth 3
                                        ;         Child Loop BB2_6276 Depth 4
                                        ;         Child Loop BB2_6304 Depth 4
	;; [unrolled: 1-line block ×4, first 2 shown]
                                        ;           Child Loop BB2_6347 Depth 5
                                        ;         Child Loop BB2_6353 Depth 4
                                        ;           Child Loop BB2_6354 Depth 5
                                        ;         Child Loop BB2_6361 Depth 4
                                        ;         Child Loop BB2_6366 Depth 4
                                        ;           Child Loop BB2_6367 Depth 5
                                        ;         Child Loop BB2_6379 Depth 4
                                        ;         Child Loop BB2_6384 Depth 4
	;; [unrolled: 1-line block ×6, first 2 shown]
                                        ;       Child Loop BB2_6446 Depth 3
                                        ;         Child Loop BB2_6452 Depth 4
                                        ;         Child Loop BB2_6480 Depth 4
	;; [unrolled: 1-line block ×3, first 2 shown]
	buffer_load_dword v6, off, s[0:3], s33 offset:180 ; 4-byte Folded Reload
	buffer_load_dword v7, off, s[0:3], s33 offset:184 ; 4-byte Folded Reload
	s_sub_i32 s26, s80, s9
	s_cmp_ge_i32 s26, s68
	s_cselect_b32 s27, s68, 0
	s_sub_i32 s26, s26, s27
	s_ashr_i32 s28, s26, 31
	v_mov_b32_e32 v10, 0
	s_waitcnt vmcnt(0)
	v_mul_lo_u32 v3, v6, s28
	v_mul_lo_u32 v1, v7, s26
	v_mad_u64_u32 v[8:9], s[26:27], v6, s26, 0
	v_add3_u32 v9, v9, v3, v1
	buffer_load_dword v3, off, s[0:3], s33 offset:164 ; 4-byte Folded Reload
	buffer_load_dword v4, off, s[0:3], s33 offset:168 ; 4-byte Folded Reload
	s_waitcnt vmcnt(0)
	v_sub_co_u32_e32 v3, vcc, v3, v8
	v_subb_co_u32_e32 v4, vcc, v4, v9, vcc
	v_cmp_lt_i64_e32 vcc, v[6:7], v[3:4]
	v_mov_b32_e32 v7, 0
	v_cndmask_b32_e32 v1, v3, v6, vcc
	v_max_i32_e32 v6, 0, v1
	v_add_u32_e32 v3, 31, v6
	v_lshrrev_b32_e32 v3, 1, v3
	v_and_b32_e32 v3, 0x3ffffff0, v3
	v_cmp_lt_i32_e32 vcc, 0, v1
	v_max_i32_e32 v12, s83, v3
	s_and_b64 s[26:27], s[88:89], vcc
	s_and_saveexec_b64 s[42:43], s[26:27]
	s_cbranch_execz .LBB2_6443
; %bb.6266:                             ;   in Loop: Header=BB2_6265 Depth=2
	buffer_load_dword v1, off, s[0:3], s33 offset:132 ; 4-byte Folded Reload
	buffer_load_dword v3, off, s[0:3], s33 offset:136 ; 4-byte Folded Reload
	s_mov_b32 s57, 1
	s_mov_b64 s[46:47], -1
	v_mov_b32_e32 v7, 0
	s_mov_b64 s[44:45], 0
	s_waitcnt vmcnt(0)
	v_add_co_u32_e32 v1, vcc, v8, v1
	v_addc_co_u32_e32 v15, vcc, v9, v3, vcc
	s_branch .LBB2_6268
.LBB2_6267:                             ;   in Loop: Header=BB2_6268 Depth=3
	s_or_b64 exec, exec, s[26:27]
	v_add_u32_e32 v7, v12, v7
	v_cmp_ge_i32_e32 vcc, v7, v6
	s_xor_b64 s[26:27], s[46:47], -1
	s_or_b64 s[26:27], s[26:27], vcc
	s_and_b64 s[26:27], exec, s[26:27]
	s_or_b64 s[44:45], s[26:27], s[44:45]
	s_mov_b64 s[46:47], 0
	s_waitcnt vmcnt(0)
	v_mov_b32_e32 v10, s57
	s_mov_b32 s57, 2
	s_andn2_b64 exec, exec, s[44:45]
	s_cbranch_execz .LBB2_6518
.LBB2_6268:                             ;   Parent Loop BB2_47 Depth=1
                                        ;     Parent Loop BB2_6265 Depth=2
                                        ; =>    This Loop Header: Depth=3
                                        ;         Child Loop BB2_6276 Depth 4
                                        ;         Child Loop BB2_6304 Depth 4
	;; [unrolled: 1-line block ×4, first 2 shown]
                                        ;           Child Loop BB2_6347 Depth 5
                                        ;         Child Loop BB2_6353 Depth 4
                                        ;           Child Loop BB2_6354 Depth 5
                                        ;         Child Loop BB2_6361 Depth 4
                                        ;         Child Loop BB2_6366 Depth 4
                                        ;           Child Loop BB2_6367 Depth 5
                                        ;         Child Loop BB2_6379 Depth 4
                                        ;         Child Loop BB2_6384 Depth 4
	;; [unrolled: 1-line block ×6, first 2 shown]
	s_and_saveexec_b64 s[26:27], s[4:5]
	s_cbranch_execz .LBB2_6270
; %bb.6269:                             ;   in Loop: Header=BB2_6268 Depth=3
	s_trap 2
	ds_read_b128 v[8:11], v0
	s_waitcnt lgkmcnt(0)
	v_add_co_u32_e32 v3, vcc, v8, v1
	v_addc_co_u32_e32 v4, vcc, v9, v15, vcc
	v_ashrrev_i32_e32 v8, 31, v7
	v_add_co_u32_e32 v3, vcc, v3, v7
	v_addc_co_u32_e32 v4, vcc, v4, v8, vcc
	ds_write_b64 v0, v[3:4]
	v_add_co_u32_e32 v3, vcc, v10, v1
	v_addc_co_u32_e32 v4, vcc, v11, v15, vcc
	v_add_co_u32_e32 v3, vcc, v3, v7
	v_addc_co_u32_e32 v4, vcc, v4, v8, vcc
	v_cmp_ne_u64_e32 vcc, 0, v[10:11]
	v_cndmask_b32_e32 v4, 0, v4, vcc
	v_cndmask_b32_e32 v3, 0, v3, vcc
	ds_write_b64 v0, v[3:4]
.LBB2_6270:                             ;   in Loop: Header=BB2_6268 Depth=3
	s_or_b64 exec, exec, s[26:27]
	v_sub_u32_e32 v3, v6, v7
	v_min_i32_e32 v12, v12, v3
	v_and_b32_e32 v3, 12, v20
	v_cmp_ne_u32_e32 vcc, 0, v3
	s_and_saveexec_b64 s[28:29], vcc
	s_cbranch_execz .LBB2_6296
; %bb.6271:                             ;   in Loop: Header=BB2_6268 Depth=3
	v_and_b32_e32 v16, 8, v20
	s_waitcnt lgkmcnt(0)
	v_add_co_u32_e32 v3, vcc, v28, v16
	v_addc_co_u32_e32 v4, vcc, 0, v29, vcc
	v_add_co_u32_e32 v8, vcc, 2, v50
	v_addc_co_u32_e32 v9, vcc, 0, v51, vcc
	v_cmp_lt_u64_e32 vcc, v[3:4], v[8:9]
	s_and_saveexec_b64 s[40:41], vcc
	s_cbranch_execz .LBB2_6283
; %bb.6272:                             ;   in Loop: Header=BB2_6268 Depth=3
	v_and_b32_e32 v3, 64, v20
	s_mov_b32 s66, 0
	v_cmp_eq_u32_e32 vcc, 0, v3
	s_mov_b64 s[30:31], 0
                                        ; implicit-def: $sgpr34_sgpr35
                                        ; implicit-def: $sgpr36_sgpr37
                                        ; implicit-def: $sgpr38_sgpr39
	s_branch .LBB2_6276
.LBB2_6273:                             ;   in Loop: Header=BB2_6276 Depth=4
	s_waitcnt vmcnt(0) lgkmcnt(0)
	v_add_co_u32_e64 v3, s[26:27], v28, v16
	v_addc_co_u32_e64 v4, s[26:27], 0, v29, s[26:27]
	v_cmp_ge_u64_e64 s[26:27], v[3:4], v[8:9]
	s_or_b64 s[52:53], s[52:53], exec
	s_orn2_b64 s[50:51], s[26:27], exec
.LBB2_6274:                             ;   in Loop: Header=BB2_6276 Depth=4
	s_or_b64 exec, exec, s[64:65]
	s_andn2_b64 s[26:27], s[38:39], exec
	s_and_b64 s[38:39], s[52:53], exec
	s_or_b64 s[38:39], s[26:27], s[38:39]
	s_andn2_b64 s[26:27], s[36:37], exec
	s_and_b64 s[36:37], s[50:51], exec
	s_or_b64 s[36:37], s[26:27], s[36:37]
.LBB2_6275:                             ;   in Loop: Header=BB2_6276 Depth=4
	s_or_b64 exec, exec, s[48:49]
	s_and_b64 s[26:27], exec, s[36:37]
	s_or_b64 s[30:31], s[26:27], s[30:31]
	s_andn2_b64 s[26:27], s[34:35], exec
	s_and_b64 s[34:35], s[38:39], exec
	s_or_b64 s[34:35], s[26:27], s[34:35]
	s_andn2_b64 exec, exec, s[30:31]
	s_cbranch_execz .LBB2_6280
.LBB2_6276:                             ;   Parent Loop BB2_47 Depth=1
                                        ;     Parent Loop BB2_6265 Depth=2
                                        ;       Parent Loop BB2_6268 Depth=3
                                        ; =>      This Inner Loop Header: Depth=4
	s_sleep 1
	s_waitcnt vmcnt(0) lgkmcnt(0)
	flat_load_dwordx2 v[28:29], v[22:23] glc
	s_or_b64 s[38:39], s[38:39], exec
	s_or_b64 s[36:37], s[36:37], exec
                                        ; implicit-def: $vgpr10
	s_and_saveexec_b64 s[48:49], vcc
	s_cbranch_execz .LBB2_6275
; %bb.6277:                             ;   in Loop: Header=BB2_6276 Depth=4
	s_cmpk_lt_i32 s66, 0x270f
	s_cselect_b64 s[54:55], -1, 0
	s_cmpk_gt_i32 s66, 0x270e
	s_mov_b64 s[50:51], -1
	s_cbranch_scc0 .LBB2_6279
; %bb.6278:                             ;   in Loop: Header=BB2_6276 Depth=4
	s_trap 2
	ds_read_b64 v[3:4], v0
	s_andn2_b64 s[54:55], s[54:55], exec
	s_mov_b32 s66, 0
	s_mov_b64 s[52:53], 0
	s_waitcnt vmcnt(0) lgkmcnt(0)
	flat_load_dword v10, v[3:4] glc
	s_waitcnt vmcnt(0) lgkmcnt(0)
	buffer_wbinvl1_vol
	v_cmp_eq_u32_e64 s[26:27], 0, v10
	s_and_b64 s[26:27], s[26:27], exec
	s_or_b64 s[54:55], s[54:55], s[26:27]
	s_and_saveexec_b64 s[64:65], s[54:55]
	s_cbranch_execz .LBB2_6274
	s_branch .LBB2_6273
.LBB2_6279:                             ;   in Loop: Header=BB2_6276 Depth=4
	s_add_i32 s66, s66, 1
	s_mov_b64 s[52:53], -1
                                        ; implicit-def: $vgpr10
	s_and_saveexec_b64 s[64:65], s[54:55]
	s_cbranch_execz .LBB2_6274
	s_branch .LBB2_6273
.LBB2_6280:                             ;   in Loop: Header=BB2_6268 Depth=3
	s_or_b64 exec, exec, s[30:31]
	s_xor_b64 s[26:27], s[34:35], -1
	s_and_saveexec_b64 vcc, s[26:27]
	s_xor_b64 s[26:27], exec, vcc
	s_cbranch_execz .LBB2_6282
; %bb.6281:                             ;   in Loop: Header=BB2_6268 Depth=3
	v_or_b32_e32 v20, 64, v20
	s_waitcnt lgkmcnt(0)
	ds_write_b32 v0, v10
	s_trap 2
.LBB2_6282:                             ;   in Loop: Header=BB2_6268 Depth=3
	s_or_b64 exec, exec, s[26:27]
.LBB2_6283:                             ;   in Loop: Header=BB2_6268 Depth=3
	s_or_b64 exec, exec, s[40:41]
	v_and_b32_e32 v3, 0x108, v20
	v_cmp_ne_u32_e32 vcc, s96, v3
	;;#ASMSTART
	s_wakeup
	;;#ASMEND
	s_and_saveexec_b64 s[26:27], vcc
	s_xor_b64 s[26:27], exec, s[26:27]
                                        ; implicit-def: $vgpr18
; %bb.6284:                             ;   in Loop: Header=BB2_6268 Depth=3
	v_and_b32_e32 v18, 7, v50
                                        ; implicit-def: $vgpr50_vgpr51
; %bb.6285:                             ;   in Loop: Header=BB2_6268 Depth=3
	s_andn2_saveexec_b64 s[26:27], s[26:27]
	s_cbranch_execz .LBB2_6287
; %bb.6286:                             ;   in Loop: Header=BB2_6268 Depth=3
	buffer_load_dword v24, off, s[0:3], s33 offset:80 ; 4-byte Folded Reload
	buffer_load_dword v25, off, s[0:3], s33 offset:84 ; 4-byte Folded Reload
	;; [unrolled: 1-line block ×5, first 2 shown]
	v_and_b32_e32 v18, 7, v50
	v_ashrrev_i32_e32 v13, 31, v12
	s_waitcnt vmcnt(0)
	v_mad_u64_u32 v[3:4], s[40:41], v18, 24, v[24:25]
	flat_store_dwordx2 v[3:4], v[12:13] offset:8
.LBB2_6287:                             ;   in Loop: Header=BB2_6268 Depth=3
	s_or_b64 exec, exec, s[26:27]
	v_and_b32_e32 v3, 0x100, v20
	v_cmp_ne_u32_e32 vcc, 0, v3
	s_mov_b64 s[26:27], -1
                                        ; implicit-def: $vgpr10_vgpr11
	s_and_saveexec_b64 s[40:41], vcc
	s_cbranch_execz .LBB2_6291
; %bb.6288:                             ;   in Loop: Header=BB2_6268 Depth=3
	buffer_load_dword v24, off, s[0:3], s33 offset:80 ; 4-byte Folded Reload
	buffer_load_dword v25, off, s[0:3], s33 offset:84 ; 4-byte Folded Reload
	buffer_load_dword v26, off, s[0:3], s33 offset:88 ; 4-byte Folded Reload
	buffer_load_dword v27, off, s[0:3], s33 offset:92 ; 4-byte Folded Reload
                                        ; implicit-def: $vgpr10_vgpr11
	s_waitcnt vmcnt(0)
	v_mad_u64_u32 v[13:14], s[26:27], v18, 24, v[24:25]
	v_mov_b32_e32 v3, v14
	v_mad_u64_u32 v[3:4], s[26:27], v35, 24, v[3:4]
	v_mov_b32_e32 v14, v3
	flat_load_dword v3, v[13:14]
	s_waitcnt vmcnt(0) lgkmcnt(0)
	v_cmp_ne_u32_e32 vcc, 1, v3
	v_cmp_eq_u32_e64 s[26:27], 1, v3
	s_and_saveexec_b64 s[30:31], s[26:27]
	s_cbranch_execz .LBB2_6290
; %bb.6289:                             ;   in Loop: Header=BB2_6268 Depth=3
	flat_load_dword v10, v[13:14] offset:4 glc
	s_waitcnt vmcnt(0) lgkmcnt(0)
	v_ashrrev_i32_e32 v11, 31, v10
.LBB2_6290:                             ;   in Loop: Header=BB2_6268 Depth=3
	s_or_b64 exec, exec, s[30:31]
	buffer_load_dword v26, off, s[0:3], s33 offset:56 ; 4-byte Folded Reload
	s_orn2_b64 s[26:27], vcc, exec
.LBB2_6291:                             ;   in Loop: Header=BB2_6268 Depth=3
	s_or_b64 exec, exec, s[40:41]
	s_and_saveexec_b64 s[40:41], s[26:27]
	s_cbranch_execz .LBB2_6293
; %bb.6292:                             ;   in Loop: Header=BB2_6268 Depth=3
	buffer_load_dword v10, off, s[0:3], s33 offset:104 ; 4-byte Folded Reload
	buffer_load_dword v4, off, s[0:3], s33 offset:124 ; 4-byte Folded Reload
	s_waitcnt vmcnt(0)
	v_mul_lo_u32 v3, v35, v10
	v_mul_lo_u32 v4, v18, v4
	v_mad_u64_u32 v[10:11], s[26:27], v18, v10, 0
	v_add3_u32 v11, v11, v4, v3
.LBB2_6293:                             ;   in Loop: Header=BB2_6268 Depth=3
	s_or_b64 exec, exec, s[40:41]
	v_cmp_eq_u32_e32 vcc, 0, v16
	v_mov_b32_e32 v3, 0xd0
	v_mov_b32_e32 v4, 0x88
	v_cndmask_b32_e32 v13, v3, v4, vcc
	buffer_load_dword v3, off, s[0:3], s33 offset:72 ; 4-byte Folded Reload
	buffer_load_dword v4, off, s[0:3], s33 offset:76 ; 4-byte Folded Reload
	s_waitcnt vmcnt(0)
	v_add_co_u32_e32 v3, vcc, v3, v10
	v_addc_co_u32_e32 v4, vcc, v4, v11, vcc
	v_add_u32_e32 v10, v0, v13
	ds_write_b64 v10, v[3:4] offset:584
	v_and_b32_e32 v3, 0x2000, v20
	v_cmp_ne_u32_e32 vcc, 0, v3
	s_and_saveexec_b64 s[26:27], vcc
	s_cbranch_execz .LBB2_6295
; %bb.6294:                             ;   in Loop: Header=BB2_6268 Depth=3
	ds_read_b64 v[3:4], v0 offset:872
	s_waitcnt lgkmcnt(0)
	v_add_co_u32_e32 v3, vcc, 1, v3
	v_addc_co_u32_e32 v4, vcc, 0, v4, vcc
	ds_write_b64 v0, v[3:4] offset:872
.LBB2_6295:                             ;   in Loop: Header=BB2_6268 Depth=3
	s_or_b64 exec, exec, s[26:27]
	v_mov_b32_e32 v51, v9
	v_mov_b32_e32 v50, v8
.LBB2_6296:                             ;   in Loop: Header=BB2_6268 Depth=3
	s_or_b64 exec, exec, s[28:29]
	s_and_saveexec_b64 s[26:27], s[12:13]
	s_cbranch_execz .LBB2_6315
; %bb.6297:                             ;   in Loop: Header=BB2_6268 Depth=3
	s_and_saveexec_b64 s[28:29], s[72:73]
	s_xor_b64 s[28:29], exec, s[28:29]
	s_cbranch_execz .LBB2_6312
; %bb.6298:                             ;   in Loop: Header=BB2_6268 Depth=3
	s_and_saveexec_b64 s[40:41], s[6:7]
	s_cbranch_execz .LBB2_6311
; %bb.6299:                             ;   in Loop: Header=BB2_6268 Depth=3
	s_mov_b64 s[34:35], exec
	v_mbcnt_lo_u32_b32 v3, s34, 0
	v_mbcnt_hi_u32_b32 v3, s35, v3
	v_cmp_eq_u32_e32 vcc, 0, v3
	s_waitcnt lgkmcnt(0)
	buffer_wbinvl1_vol
	s_and_saveexec_b64 s[30:31], vcc
	s_cbranch_execz .LBB2_6301
; %bb.6300:                             ;   in Loop: Header=BB2_6268 Depth=3
	s_bcnt1_i32_b64 vcc_lo, s[34:35]
	v_mov_b32_e32 v34, vcc_lo
	ds_add_u64 v0, v[34:35]
	s_trap 2
.LBB2_6301:                             ;   in Loop: Header=BB2_6268 Depth=3
	s_or_b64 exec, exec, s[30:31]
	s_trap 2
	ds_read_b64 v[3:4], v0
	s_waitcnt lgkmcnt(0)
	v_add_co_u32_e32 v32, vcc, v32, v17
	v_addc_co_u32_e32 v33, vcc, 0, v33, vcc
	v_cmp_lt_u64_e32 vcc, v[3:4], v[32:33]
	s_and_saveexec_b64 s[30:31], vcc
	s_cbranch_execz .LBB2_6310
; %bb.6302:                             ;   in Loop: Header=BB2_6268 Depth=3
	s_mov_b32 s52, 0
	s_mov_b64 s[34:35], 0
                                        ; implicit-def: $sgpr36_sgpr37
                                        ; implicit-def: $sgpr38_sgpr39
	s_branch .LBB2_6304
.LBB2_6303:                             ;   in Loop: Header=BB2_6304 Depth=4
	s_or_b64 exec, exec, s[50:51]
	s_and_b64 vcc, exec, vcc
	s_or_b64 s[34:35], vcc, s[34:35]
	s_andn2_b64 vcc, s[36:37], exec
	s_and_b64 s[36:37], s[38:39], exec
	s_or_b64 s[36:37], vcc, s[36:37]
	s_andn2_b64 exec, exec, s[34:35]
	s_cbranch_execz .LBB2_6308
.LBB2_6304:                             ;   Parent Loop BB2_47 Depth=1
                                        ;     Parent Loop BB2_6265 Depth=2
                                        ;       Parent Loop BB2_6268 Depth=3
                                        ; =>      This Inner Loop Header: Depth=4
	s_add_i32 s52, s52, 1
	s_cmpk_lg_i32 s52, 0x2710
	s_cselect_b64 s[48:49], -1, 0
	s_and_b64 vcc, exec, s[48:49]
	s_cbranch_vccz .LBB2_6306
; %bb.6305:                             ;   in Loop: Header=BB2_6304 Depth=4
	s_mov_b64 vcc, -1
	s_or_b64 s[38:39], s[38:39], exec
	s_and_saveexec_b64 s[50:51], s[48:49]
	s_cbranch_execz .LBB2_6303
	s_branch .LBB2_6307
.LBB2_6306:                             ;   in Loop: Header=BB2_6304 Depth=4
	s_trap 2
	ds_read_b64 v[3:4], v0
	s_andn2_b64 s[48:49], s[48:49], exec
	s_mov_b32 s52, 0
	s_waitcnt lgkmcnt(0)
	flat_load_dword v3, v[3:4] glc
	s_waitcnt vmcnt(0) lgkmcnt(0)
	buffer_wbinvl1_vol
	v_cmp_eq_u32_e32 vcc, 0, v3
	s_and_b64 vcc, vcc, exec
	s_or_b64 s[48:49], s[48:49], vcc
	s_mov_b64 vcc, -1
	s_or_b64 s[38:39], s[38:39], exec
	s_and_saveexec_b64 s[50:51], s[48:49]
	s_cbranch_execz .LBB2_6303
.LBB2_6307:                             ;   in Loop: Header=BB2_6304 Depth=4
	s_sleep 1
	s_trap 2
	ds_read_b64 v[3:4], v0
	s_waitcnt lgkmcnt(0)
	s_andn2_b64 s[38:39], s[38:39], exec
	v_cmp_ge_u64_e32 vcc, v[3:4], v[32:33]
	s_orn2_b64 vcc, vcc, exec
	s_branch .LBB2_6303
.LBB2_6308:                             ;   in Loop: Header=BB2_6268 Depth=3
	s_or_b64 exec, exec, s[34:35]
	s_and_saveexec_b64 vcc, s[36:37]
	s_xor_b64 vcc, exec, vcc
	s_cbranch_execz .LBB2_6310
; %bb.6309:                             ;   in Loop: Header=BB2_6268 Depth=3
	v_mov_b32_e32 v3, 1
	ds_write_b32 v0, v3
	s_trap 2
.LBB2_6310:                             ;   in Loop: Header=BB2_6268 Depth=3
	s_or_b64 exec, exec, s[30:31]
	;;#ASMSTART
	s_wakeup
	;;#ASMEND
.LBB2_6311:                             ;   in Loop: Header=BB2_6268 Depth=3
	s_or_b64 exec, exec, s[40:41]
.LBB2_6312:                             ;   in Loop: Header=BB2_6268 Depth=3
	s_andn2_saveexec_b64 s[28:29], s[28:29]
	s_cbranch_execz .LBB2_6314
; %bb.6313:                             ;   in Loop: Header=BB2_6268 Depth=3
	s_waitcnt lgkmcnt(0)
	buffer_wbinvl1_vol
	s_barrier
.LBB2_6314:                             ;   in Loop: Header=BB2_6268 Depth=3
	s_or_b64 exec, exec, s[28:29]
.LBB2_6315:                             ;   in Loop: Header=BB2_6268 Depth=3
	s_or_b64 exec, exec, s[26:27]
	s_trap 2
	ds_read_b32 v8, v0
	v_and_b32_e32 v3, 0x4000, v20
	v_cmp_ne_u32_e32 vcc, 0, v3
	s_xor_b64 s[26:27], s[10:11], -1
	s_and_b64 s[28:29], s[26:27], vcc
	s_and_saveexec_b64 s[26:27], s[28:29]
	s_cbranch_execz .LBB2_6334
; %bb.6316:                             ;   in Loop: Header=BB2_6268 Depth=3
	s_and_saveexec_b64 s[28:29], s[72:73]
	s_xor_b64 s[28:29], exec, s[28:29]
	s_cbranch_execz .LBB2_6331
; %bb.6317:                             ;   in Loop: Header=BB2_6268 Depth=3
	s_and_saveexec_b64 s[40:41], s[6:7]
	s_cbranch_execz .LBB2_6330
; %bb.6318:                             ;   in Loop: Header=BB2_6268 Depth=3
	s_mov_b64 s[34:35], exec
	v_mbcnt_lo_u32_b32 v3, s34, 0
	v_mbcnt_hi_u32_b32 v3, s35, v3
	v_cmp_eq_u32_e32 vcc, 0, v3
	s_waitcnt lgkmcnt(0)
	buffer_wbinvl1_vol
	s_and_saveexec_b64 s[30:31], vcc
	s_cbranch_execz .LBB2_6320
; %bb.6319:                             ;   in Loop: Header=BB2_6268 Depth=3
	s_bcnt1_i32_b64 vcc_lo, s[34:35]
	v_mov_b32_e32 v34, vcc_lo
	ds_add_u64 v0, v[34:35]
	s_trap 2
.LBB2_6320:                             ;   in Loop: Header=BB2_6268 Depth=3
	s_or_b64 exec, exec, s[30:31]
	s_trap 2
	ds_read_b64 v[3:4], v0
	s_waitcnt lgkmcnt(0)
	v_add_co_u32_e32 v32, vcc, v32, v17
	v_addc_co_u32_e32 v33, vcc, 0, v33, vcc
	v_cmp_lt_u64_e32 vcc, v[3:4], v[32:33]
	s_and_saveexec_b64 s[30:31], vcc
	s_cbranch_execz .LBB2_6329
; %bb.6321:                             ;   in Loop: Header=BB2_6268 Depth=3
	s_mov_b32 s52, 0
	s_mov_b64 s[34:35], 0
                                        ; implicit-def: $sgpr36_sgpr37
                                        ; implicit-def: $sgpr38_sgpr39
	s_branch .LBB2_6323
.LBB2_6322:                             ;   in Loop: Header=BB2_6323 Depth=4
	s_or_b64 exec, exec, s[50:51]
	s_and_b64 vcc, exec, vcc
	s_or_b64 s[34:35], vcc, s[34:35]
	s_andn2_b64 vcc, s[36:37], exec
	s_and_b64 s[36:37], s[38:39], exec
	s_or_b64 s[36:37], vcc, s[36:37]
	s_andn2_b64 exec, exec, s[34:35]
	s_cbranch_execz .LBB2_6327
.LBB2_6323:                             ;   Parent Loop BB2_47 Depth=1
                                        ;     Parent Loop BB2_6265 Depth=2
                                        ;       Parent Loop BB2_6268 Depth=3
                                        ; =>      This Inner Loop Header: Depth=4
	s_add_i32 s52, s52, 1
	s_cmpk_lg_i32 s52, 0x2710
	s_cselect_b64 s[48:49], -1, 0
	s_and_b64 vcc, exec, s[48:49]
	s_cbranch_vccz .LBB2_6325
; %bb.6324:                             ;   in Loop: Header=BB2_6323 Depth=4
	s_mov_b64 vcc, -1
	s_or_b64 s[38:39], s[38:39], exec
	s_and_saveexec_b64 s[50:51], s[48:49]
	s_cbranch_execz .LBB2_6322
	s_branch .LBB2_6326
.LBB2_6325:                             ;   in Loop: Header=BB2_6323 Depth=4
	s_trap 2
	ds_read_b64 v[3:4], v0
	s_andn2_b64 s[48:49], s[48:49], exec
	s_mov_b32 s52, 0
	s_waitcnt lgkmcnt(0)
	flat_load_dword v3, v[3:4] glc
	s_waitcnt vmcnt(0) lgkmcnt(0)
	buffer_wbinvl1_vol
	v_cmp_eq_u32_e32 vcc, 0, v3
	s_and_b64 vcc, vcc, exec
	s_or_b64 s[48:49], s[48:49], vcc
	s_mov_b64 vcc, -1
	s_or_b64 s[38:39], s[38:39], exec
	s_and_saveexec_b64 s[50:51], s[48:49]
	s_cbranch_execz .LBB2_6322
.LBB2_6326:                             ;   in Loop: Header=BB2_6323 Depth=4
	s_sleep 1
	s_trap 2
	ds_read_b64 v[3:4], v0
	s_waitcnt lgkmcnt(0)
	s_andn2_b64 s[38:39], s[38:39], exec
	v_cmp_ge_u64_e32 vcc, v[3:4], v[32:33]
	s_orn2_b64 vcc, vcc, exec
	s_branch .LBB2_6322
.LBB2_6327:                             ;   in Loop: Header=BB2_6268 Depth=3
	s_or_b64 exec, exec, s[34:35]
	s_and_saveexec_b64 vcc, s[36:37]
	s_xor_b64 vcc, exec, vcc
	s_cbranch_execz .LBB2_6329
; %bb.6328:                             ;   in Loop: Header=BB2_6268 Depth=3
	v_mov_b32_e32 v3, 1
	ds_write_b32 v0, v3
	s_trap 2
.LBB2_6329:                             ;   in Loop: Header=BB2_6268 Depth=3
	s_or_b64 exec, exec, s[30:31]
	;;#ASMSTART
	s_wakeup
	;;#ASMEND
.LBB2_6330:                             ;   in Loop: Header=BB2_6268 Depth=3
	s_or_b64 exec, exec, s[40:41]
.LBB2_6331:                             ;   in Loop: Header=BB2_6268 Depth=3
	s_andn2_saveexec_b64 s[28:29], s[28:29]
	s_cbranch_execz .LBB2_6333
; %bb.6332:                             ;   in Loop: Header=BB2_6268 Depth=3
	s_waitcnt lgkmcnt(0)
	buffer_wbinvl1_vol
	s_barrier
.LBB2_6333:                             ;   in Loop: Header=BB2_6268 Depth=3
	s_or_b64 exec, exec, s[28:29]
.LBB2_6334:                             ;   in Loop: Header=BB2_6268 Depth=3
	s_or_b64 exec, exec, s[26:27]
	s_trap 2
	ds_read_b64 v[13:14], v0
	s_waitcnt lgkmcnt(0)
	v_cmp_eq_u64_e32 vcc, 0, v[13:14]
	s_cbranch_vccnz .LBB2_6343
; %bb.6335:                             ;   in Loop: Header=BB2_6268 Depth=3
	s_trap 2
	ds_read_b64 v[54:55], v0
	s_waitcnt lgkmcnt(0)
	v_cmp_eq_u64_e32 vcc, 0, v[54:55]
	s_cbranch_vccnz .LBB2_6343
; %bb.6336:                             ;   in Loop: Header=BB2_6268 Depth=3
	s_trap 2
	ds_read_b64 v[40:41], v0
	v_cmp_eq_u32_e64 s[26:27], 0, v8
	v_cndmask_b32_e64 v16, 0, v12, s[26:27]
	s_mov_b64 s[26:27], -1
	s_waitcnt lgkmcnt(0)
	v_cmp_ne_u64_e32 vcc, 0, v[40:41]
	s_cbranch_vccz .LBB2_6370
; %bb.6337:                             ;   in Loop: Header=BB2_6268 Depth=3
	s_and_saveexec_b64 s[28:29], s[16:17]
	s_cbranch_execz .LBB2_6339
; %bb.6338:                             ;   in Loop: Header=BB2_6268 Depth=3
	ds_read_b32 v3, v0 offset:720
	s_waitcnt lgkmcnt(0)
	v_and_b32_e32 v3, 15, v3
	v_cmp_eq_u32_e32 vcc, 0, v3
	s_orn2_b64 s[26:27], vcc, exec
.LBB2_6339:                             ;   in Loop: Header=BB2_6268 Depth=3
	s_or_b64 exec, exec, s[28:29]
	s_and_saveexec_b64 s[28:29], s[24:25]
	s_cbranch_execz .LBB2_6341
; %bb.6340:                             ;   in Loop: Header=BB2_6268 Depth=3
	ds_read_b32 v3, v0 offset:784
	s_waitcnt lgkmcnt(0)
	v_and_b32_e32 v3, 15, v3
	v_cmp_eq_u32_e32 vcc, 0, v3
	s_and_b64 s[40:41], s[26:27], vcc
	s_andn2_b64 s[26:27], s[26:27], exec
	s_and_b64 s[40:41], s[40:41], exec
	s_or_b64 s[26:27], s[26:27], s[40:41]
.LBB2_6341:                             ;   in Loop: Header=BB2_6268 Depth=3
	s_or_b64 exec, exec, s[28:29]
	buffer_load_dword v21, off, s[0:3], s33 offset:128 ; 4-byte Folded Reload
	s_xor_b64 s[26:27], s[26:27], -1
	v_cndmask_b32_e64 v3, 0, 1, s[26:27]
	s_mov_b64 s[28:29], -1
	v_mov_b32_e32 v18, 0
	v_cmp_ne_u32_e32 vcc, 0, v3
	v_mov_b32_e32 v19, v16
	s_cbranch_vccz .LBB2_6344
; %bb.6342:                             ;   in Loop: Header=BB2_6268 Depth=3
	s_and_saveexec_b64 s[40:41], s[28:29]
	s_cbranch_execnz .LBB2_6359
	s_branch .LBB2_6369
.LBB2_6343:                             ;   in Loop: Header=BB2_6268 Depth=3
	s_mov_b64 s[26:27], 0
	s_and_saveexec_b64 s[28:29], s[12:13]
	s_cbranch_execnz .LBB2_6398
	s_branch .LBB2_6416
.LBB2_6344:                             ;   in Loop: Header=BB2_6268 Depth=3
	buffer_load_dword v3, off, s[0:3], s33 offset:140 ; 4-byte Folded Reload
	s_waitcnt vmcnt(0)
	v_sub_u32_e32 v18, v16, v3
	v_ashrrev_i32_e32 v3, 31, v16
	v_lshrrev_b32_e32 v3, 22, v3
	v_add_u32_e32 v3, v16, v3
	v_ashrrev_i32_e32 v4, 10, v3
	v_and_b32_e32 v25, 0xfffffc00, v3
	buffer_load_dword v3, off, s[0:3], s33 offset:144 ; 4-byte Folded Reload
	v_sub_u32_e32 v27, v16, v25
	v_cmp_lt_i32_e64 s[26:27], 15, v27
	s_waitcnt vmcnt(0)
	v_sub_u32_e32 v3, v4, v3
	v_addc_co_u32_e64 v26, vcc, 0, v3, s[26:27]
	v_cmp_lt_i32_e32 vcc, 15, v18
	s_and_saveexec_b64 s[30:31], vcc
	s_cbranch_execz .LBB2_6350
; %bb.6345:                             ;   in Loop: Header=BB2_6268 Depth=3
	buffer_load_dword v3, off, s[0:3], s33 offset:140 ; 4-byte Folded Reload
	s_mov_b64 s[34:35], 0
	s_waitcnt vmcnt(0)
	v_add_co_u32_e32 v42, vcc, v13, v3
	v_addc_co_u32_e32 v43, vcc, 0, v14, vcc
	v_add_co_u32_e32 v19, vcc, v54, v3
	v_addc_co_u32_e32 v21, vcc, 0, v55, vcc
	;; [unrolled: 2-line block ×3, first 2 shown]
.LBB2_6346:                             ;   Parent Loop BB2_47 Depth=1
                                        ;     Parent Loop BB2_6265 Depth=2
                                        ;       Parent Loop BB2_6268 Depth=3
                                        ; =>      This Loop Header: Depth=4
                                        ;           Child Loop BB2_6347 Depth 5
	global_load_dwordx4 v[8:11], v[42:43], off glc slc
	s_mov_b64 s[36:37], -1
	s_mov_b64 s[38:39], 0
	s_waitcnt vmcnt(0)
.LBB2_6347:                             ;   Parent Loop BB2_47 Depth=1
                                        ;     Parent Loop BB2_6265 Depth=2
                                        ;       Parent Loop BB2_6268 Depth=3
                                        ;         Parent Loop BB2_6346 Depth=4
                                        ; =>        This Inner Loop Header: Depth=5
	s_cmp_eq_u32 s38, 1
	s_cselect_b64 s[28:29], -1, 0
	v_cndmask_b32_e64 v4, v21, v30, s[28:29]
	v_cndmask_b32_e64 v3, v19, v24, s[28:29]
	global_store_dwordx4 v[3:4], v[8:11], off glc slc
	v_add_co_u32_e32 v3, vcc, 0x400, v3
	s_cmp_eq_u32 s38, 0
	v_addc_co_u32_e32 v4, vcc, 0, v4, vcc
	s_cselect_b64 vcc, -1, 0
	s_and_b64 s[40:41], exec, s[36:37]
	s_mov_b64 s[38:39], 1
	v_cndmask_b32_e64 v24, v24, v3, s[28:29]
	s_mov_b64 s[36:37], 0
	v_cndmask_b32_e64 v30, v30, v4, s[28:29]
	v_cndmask_b32_e32 v21, v21, v4, vcc
	v_cndmask_b32_e32 v19, v19, v3, vcc
	s_mov_b64 vcc, s[40:41]
	s_cbranch_vccnz .LBB2_6347
; %bb.6348:                             ;   in Loop: Header=BB2_6346 Depth=4
	buffer_load_dword v4, off, s[0:3], s33 offset:60 ; 4-byte Folded Reload
	v_add_u32_e32 v3, 0xfffffc00, v5
	v_add_co_u32_e32 v19, vcc, v19, v3
	v_sub_u32_e32 v18, v18, v5
	v_sub_u32_e32 v26, v26, v17
	s_waitcnt vmcnt(0)
	v_addc_co_u32_e32 v21, vcc, v21, v4, vcc
	v_add_co_u32_e32 v24, vcc, v24, v3
	buffer_load_dword v3, off, s[0:3], s33 offset:64 ; 4-byte Folded Reload
	v_addc_co_u32_e32 v30, vcc, v30, v4, vcc
	s_waitcnt vmcnt(0)
	v_add_co_u32_e32 v42, vcc, v3, v42
	buffer_load_dword v3, off, s[0:3], s33 offset:68 ; 4-byte Folded Reload
	s_waitcnt vmcnt(0)
	v_addc_co_u32_e32 v43, vcc, v3, v43, vcc
	v_cmp_gt_i32_e32 vcc, 16, v18
	s_or_b64 s[34:35], vcc, s[34:35]
	s_andn2_b64 exec, exec, s[34:35]
	s_cbranch_execnz .LBB2_6346
; %bb.6349:                             ;   in Loop: Header=BB2_6268 Depth=3
	s_or_b64 exec, exec, s[34:35]
.LBB2_6350:                             ;   in Loop: Header=BB2_6268 Depth=3
	s_or_b64 exec, exec, s[30:31]
	v_and_b32_e32 v8, 15, v16
	v_cndmask_b32_e64 v24, v27, v8, s[26:27]
	v_mov_b32_e32 v18, 0
	v_cmp_ne_u32_e32 vcc, 0, v24
	s_mov_b64 s[28:29], 0
                                        ; implicit-def: $vgpr19
                                        ; implicit-def: $vgpr21
	s_and_saveexec_b64 s[30:31], vcc
	s_cbranch_execz .LBB2_6358
; %bb.6351:                             ;   in Loop: Header=BB2_6268 Depth=3
	buffer_load_dword v4, off, s[0:3], s33 offset:148 ; 4-byte Folded Reload
	v_sub_u32_e32 v3, v27, v8
	v_cndmask_b32_e64 v3, 0, v3, s[26:27]
	v_cmp_lt_i32_e32 vcc, 0, v26
	v_add_u32_e32 v18, v3, v25
	v_cndmask_b32_e32 v3, 0, v17, vcc
	v_sub_u32_e32 v3, v3, v26
	s_waitcnt vmcnt(0)
	v_lshl_or_b32 v3, v3, 6, v4
	v_ashrrev_i32_e32 v4, 31, v3
	v_lshrrev_b32_e32 v4, 26, v4
	v_add_u32_e32 v4, v3, v4
	v_ashrrev_i32_e32 v9, 6, v4
	v_and_b32_e32 v4, 0xffffffc0, v4
	v_sub_u32_e32 v21, v3, v4
	v_lshlrev_b32_e32 v3, 4, v21
	v_lshl_add_u32 v8, v9, 10, v3
	v_ashrrev_i32_e32 v3, 31, v24
	v_lshrrev_b32_e32 v3, 22, v3
	v_add_u32_e32 v3, v24, v3
	v_and_b32_e32 v19, 0xfffffc00, v3
	v_sub_u32_e32 v25, v24, v19
	v_ashrrev_i32_e32 v4, 10, v3
	v_cmp_lt_i32_e64 s[26:27], 15, v25
	v_sub_u32_e32 v27, v24, v8
	v_addc_co_u32_e64 v3, vcc, 0, v4, s[26:27]
	v_sub_u32_e32 v26, v3, v9
	v_cmp_lt_i32_e32 vcc, 15, v27
	s_and_saveexec_b64 s[34:35], vcc
	s_cbranch_execz .LBB2_6357
; %bb.6352:                             ;   in Loop: Header=BB2_6268 Depth=3
	v_add_u32_e32 v3, v8, v18
	v_ashrrev_i32_e32 v4, 31, v3
	v_add_co_u32_e32 v42, vcc, v3, v13
	v_addc_co_u32_e32 v43, vcc, v4, v14, vcc
	v_add_co_u32_e32 v30, vcc, v3, v54
	v_addc_co_u32_e32 v31, vcc, v4, v55, vcc
	v_add_co_u32_e32 v34, vcc, v3, v40
	v_addc_co_u32_e32 v36, vcc, v4, v41, vcc
	s_mov_b64 s[36:37], 0
.LBB2_6353:                             ;   Parent Loop BB2_47 Depth=1
                                        ;     Parent Loop BB2_6265 Depth=2
                                        ;       Parent Loop BB2_6268 Depth=3
                                        ; =>      This Loop Header: Depth=4
                                        ;           Child Loop BB2_6354 Depth 5
	global_load_dwordx4 v[8:11], v[42:43], off glc slc
	s_mov_b64 s[38:39], -1
	s_mov_b64 s[48:49], 0
	s_waitcnt vmcnt(0)
.LBB2_6354:                             ;   Parent Loop BB2_47 Depth=1
                                        ;     Parent Loop BB2_6265 Depth=2
                                        ;       Parent Loop BB2_6268 Depth=3
                                        ;         Parent Loop BB2_6353 Depth=4
                                        ; =>        This Inner Loop Header: Depth=5
	s_cmp_eq_u32 s48, 1
	s_cselect_b64 s[28:29], -1, 0
	v_cndmask_b32_e64 v4, v31, v36, s[28:29]
	v_cndmask_b32_e64 v3, v30, v34, s[28:29]
	global_store_dwordx4 v[3:4], v[8:11], off glc slc
	v_add_co_u32_e32 v3, vcc, 0x400, v3
	s_cmp_eq_u32 s48, 0
	v_addc_co_u32_e32 v4, vcc, 0, v4, vcc
	s_cselect_b64 vcc, -1, 0
	s_and_b64 s[40:41], exec, s[38:39]
	s_mov_b64 s[48:49], 1
	v_cndmask_b32_e64 v34, v34, v3, s[28:29]
	s_mov_b64 s[38:39], 0
	v_cndmask_b32_e64 v36, v36, v4, s[28:29]
	v_cndmask_b32_e32 v31, v31, v4, vcc
	v_cndmask_b32_e32 v30, v30, v3, vcc
	s_mov_b64 vcc, s[40:41]
	s_cbranch_vccnz .LBB2_6354
; %bb.6355:                             ;   in Loop: Header=BB2_6353 Depth=4
	buffer_load_dword v4, off, s[0:3], s33 offset:60 ; 4-byte Folded Reload
	v_add_u32_e32 v3, 0xfffffc00, v5
	v_add_co_u32_e32 v30, vcc, v30, v3
	v_sub_u32_e32 v27, v27, v5
	v_sub_u32_e32 v26, v26, v17
	s_waitcnt vmcnt(0)
	v_addc_co_u32_e32 v31, vcc, v31, v4, vcc
	v_add_co_u32_e32 v34, vcc, v34, v3
	buffer_load_dword v3, off, s[0:3], s33 offset:64 ; 4-byte Folded Reload
	v_addc_co_u32_e32 v36, vcc, v36, v4, vcc
	s_waitcnt vmcnt(0)
	v_add_co_u32_e32 v42, vcc, v3, v42
	buffer_load_dword v3, off, s[0:3], s33 offset:68 ; 4-byte Folded Reload
	s_waitcnt vmcnt(0)
	v_addc_co_u32_e32 v43, vcc, v3, v43, vcc
	v_cmp_gt_i32_e32 vcc, 16, v27
	s_or_b64 s[36:37], vcc, s[36:37]
	s_andn2_b64 exec, exec, s[36:37]
	s_cbranch_execnz .LBB2_6353
; %bb.6356:                             ;   in Loop: Header=BB2_6268 Depth=3
	s_or_b64 exec, exec, s[36:37]
.LBB2_6357:                             ;   in Loop: Header=BB2_6268 Depth=3
	s_or_b64 exec, exec, s[34:35]
	v_and_b32_e32 v3, 15, v24
	v_sub_u32_e32 v4, v25, v3
	v_cndmask_b32_e64 v4, 0, v4, s[26:27]
	v_cmp_lt_i32_e32 vcc, 0, v26
	v_add3_u32 v18, v19, v18, v4
	v_cndmask_b32_e64 v19, v25, v3, s[26:27]
	v_cndmask_b32_e32 v3, 0, v17, vcc
	v_sub_u32_e32 v3, v3, v26
	v_cmp_ne_u32_e32 vcc, 0, v19
	v_lshl_add_u32 v21, v3, 6, v21
	s_and_b64 s[28:29], vcc, exec
.LBB2_6358:                             ;   in Loop: Header=BB2_6268 Depth=3
	s_or_b64 exec, exec, s[30:31]
	buffer_load_dword v26, off, s[0:3], s33 offset:56 ; 4-byte Folded Reload
	s_and_saveexec_b64 s[40:41], s[28:29]
	s_cbranch_execz .LBB2_6369
.LBB2_6359:                             ;   in Loop: Header=BB2_6268 Depth=3
	s_waitcnt vmcnt(0)
	v_ashrrev_i32_e32 v3, 31, v21
	v_lshrrev_b32_e32 v3, 26, v3
	v_add_u32_e32 v8, v21, v3
	v_ashrrev_i32_e32 v3, 31, v19
	v_lshrrev_b32_e32 v3, 23, v3
	v_add_u32_e32 v3, v19, v3
	v_ashrrev_i32_e32 v24, 6, v8
	v_ashrrev_i32_e32 v26, 9, v3
	v_sub_u32_e32 v25, v26, v24
	v_cmp_lt_i32_e32 vcc, 0, v25
	s_and_saveexec_b64 s[26:27], vcc
	s_cbranch_execz .LBB2_6363
; %bb.6360:                             ;   in Loop: Header=BB2_6268 Depth=3
	v_and_b32_e32 v3, 0xffffffc0, v8
	v_sub_u32_e32 v3, v21, v3
	v_lshlrev_b32_e32 v4, 9, v24
	v_add3_u32 v3, v18, v3, v4
	v_ashrrev_i32_e32 v4, 31, v3
	v_add_co_u32_e32 v8, vcc, v3, v54
	v_addc_co_u32_e32 v9, vcc, v4, v55, vcc
	v_add_co_u32_e32 v10, vcc, v3, v40
	v_addc_co_u32_e32 v11, vcc, v4, v41, vcc
	;; [unrolled: 2-line block ×4, first 2 shown]
	s_mov_b64 s[28:29], 0
.LBB2_6361:                             ;   Parent Loop BB2_47 Depth=1
                                        ;     Parent Loop BB2_6265 Depth=2
                                        ;       Parent Loop BB2_6268 Depth=3
                                        ; =>      This Inner Loop Header: Depth=4
	v_add_co_u32_e32 v3, vcc, 0xfffffe40, v40
	v_addc_co_u32_e32 v4, vcc, -1, v41, vcc
	flat_load_ubyte v27, v[3:4] glc slc
	v_add_co_u32_e32 v3, vcc, 0xfffffe80, v40
	v_addc_co_u32_e32 v4, vcc, -1, v41, vcc
	flat_load_ubyte v30, v[3:4] glc slc
	;; [unrolled: 3-line block ×7, first 2 shown]
	s_nop 0
	flat_load_ubyte v4, v[40:41] glc slc
	v_sub_u32_e32 v25, v25, v17
	s_waitcnt vmcnt(0) lgkmcnt(0)
	flat_store_byte v[8:9], v27 glc slc
	flat_store_byte v[8:9], v30 offset:64 glc slc
	flat_store_byte v[8:9], v31 offset:128 glc slc
	;; [unrolled: 1-line block ×7, first 2 shown]
	flat_store_byte v[10:11], v27 glc slc
	flat_store_byte v[10:11], v30 offset:64 glc slc
	flat_store_byte v[10:11], v31 offset:128 glc slc
	;; [unrolled: 1-line block ×7, first 2 shown]
	v_add_co_u32_e32 v8, vcc, v8, v2
	v_addc_co_u32_e32 v9, vcc, 0, v9, vcc
	v_add_co_u32_e32 v10, vcc, v10, v2
	v_addc_co_u32_e32 v11, vcc, 0, v11, vcc
	;; [unrolled: 2-line block ×3, first 2 shown]
	v_cmp_gt_i32_e32 vcc, 1, v25
	s_or_b64 s[28:29], vcc, s[28:29]
	s_andn2_b64 exec, exec, s[28:29]
	s_cbranch_execnz .LBB2_6361
; %bb.6362:                             ;   in Loop: Header=BB2_6268 Depth=3
	s_or_b64 exec, exec, s[28:29]
.LBB2_6363:                             ;   in Loop: Header=BB2_6268 Depth=3
	s_or_b64 exec, exec, s[26:27]
	v_lshlrev_b32_e32 v8, 9, v26
	buffer_load_dword v26, off, s[0:3], s33 offset:56 ; 4-byte Folded Reload
	v_cmp_ne_u32_e32 vcc, v19, v8
	s_and_b64 s[26:27], exec, vcc
	s_mov_b64 exec, s[26:27]
	s_cbranch_execz .LBB2_6369
; %bb.6364:                             ;   in Loop: Header=BB2_6268 Depth=3
	v_lshlrev_b32_e32 v3, 6, v24
	v_sub_u32_e32 v3, v21, v3
	v_lshlrev_b32_e32 v4, 6, v25
	v_sub_u32_e32 v3, v3, v4
	v_add_u32_e32 v8, v8, v3
	v_sub_u32_e32 v10, v19, v8
	v_cmp_lt_i32_e32 vcc, 0, v10
	s_and_b64 exec, exec, vcc
	s_cbranch_execz .LBB2_6369
; %bb.6365:                             ;   in Loop: Header=BB2_6268 Depth=3
	s_trap 2
	ds_read_b64 v[3:4], v0
	s_waitcnt vmcnt(0)
	ds_read_b128 v[24:27], v0
	v_add_u32_e32 v19, v8, v18
	v_ashrrev_i32_e32 v21, 31, v19
	s_mov_b64 s[30:31], 0
	s_waitcnt lgkmcnt(0)
	v_add_co_u32_e32 v8, vcc, v3, v19
	v_addc_co_u32_e32 v9, vcc, v4, v21, vcc
	v_add_co_u32_e32 v11, vcc, v24, v19
	v_addc_co_u32_e32 v18, vcc, v25, v21, vcc
	v_add_co_u32_e32 v19, vcc, v26, v19
	buffer_load_dword v26, off, s[0:3], s33 offset:56 ; 4-byte Folded Reload
	v_addc_co_u32_e32 v21, vcc, v27, v21, vcc
.LBB2_6366:                             ;   Parent Loop BB2_47 Depth=1
                                        ;     Parent Loop BB2_6265 Depth=2
                                        ;       Parent Loop BB2_6268 Depth=3
                                        ; =>      This Loop Header: Depth=4
                                        ;           Child Loop BB2_6367 Depth 5
	flat_load_ubyte v24, v[8:9] glc slc
	s_mov_b64 s[34:35], -1
	s_mov_b64 s[36:37], 0
	s_waitcnt vmcnt(0)
.LBB2_6367:                             ;   Parent Loop BB2_47 Depth=1
                                        ;     Parent Loop BB2_6265 Depth=2
                                        ;       Parent Loop BB2_6268 Depth=3
                                        ;         Parent Loop BB2_6366 Depth=4
                                        ; =>        This Inner Loop Header: Depth=5
	s_cmp_eq_u32 s36, 1
	s_cselect_b64 vcc, -1, 0
	v_cndmask_b32_e32 v4, v18, v21, vcc
	v_cndmask_b32_e32 v3, v11, v19, vcc
	s_waitcnt lgkmcnt(0)
	flat_store_byte v[3:4], v24 glc slc
	v_add_co_u32_e64 v3, s[26:27], 64, v3
	s_cmp_eq_u32 s36, 0
	v_addc_co_u32_e64 v4, s[26:27], 0, v4, s[26:27]
	s_cselect_b64 s[26:27], -1, 0
	s_and_b64 s[28:29], exec, s[34:35]
	s_mov_b64 s[36:37], 1
	s_mov_b64 s[34:35], 0
	v_cndmask_b32_e32 v21, v21, v4, vcc
	v_cndmask_b32_e32 v19, v19, v3, vcc
	v_cndmask_b32_e64 v18, v18, v4, s[26:27]
	v_cndmask_b32_e64 v11, v11, v3, s[26:27]
	s_mov_b64 vcc, s[28:29]
	s_cbranch_vccnz .LBB2_6367
; %bb.6368:                             ;   in Loop: Header=BB2_6366 Depth=4
	buffer_load_dword v3, off, s[0:3], s33 offset:108 ; 4-byte Folded Reload
	buffer_load_dword v4, off, s[0:3], s33 offset:112 ; 4-byte Folded Reload
	v_sub_u32_e32 v10, v10, v26
	s_waitcnt vmcnt(0)
	v_add_co_u32_e32 v11, vcc, v11, v3
	v_addc_co_u32_e32 v18, vcc, v18, v4, vcc
	v_add_co_u32_e32 v19, vcc, v19, v3
	buffer_load_dword v3, off, s[0:3], s33 offset:116 ; 4-byte Folded Reload
	v_addc_co_u32_e32 v21, vcc, v21, v4, vcc
	v_cmp_gt_i32_e32 vcc, 1, v10
	s_or_b64 s[30:31], vcc, s[30:31]
	s_waitcnt vmcnt(0)
	v_add_co_u32_e32 v8, vcc, v3, v8
	buffer_load_dword v3, off, s[0:3], s33 offset:120 ; 4-byte Folded Reload
	s_waitcnt vmcnt(0)
	v_addc_co_u32_e32 v9, vcc, v3, v9, vcc
	s_andn2_b64 exec, exec, s[30:31]
	s_cbranch_execnz .LBB2_6366
.LBB2_6369:                             ;   in Loop: Header=BB2_6268 Depth=3
	s_or_b64 exec, exec, s[40:41]
	s_mov_b64 s[26:27], 0
.LBB2_6370:                             ;   in Loop: Header=BB2_6268 Depth=3
	s_and_b64 vcc, exec, s[26:27]
	s_cbranch_vccz .LBB2_6397
; %bb.6371:                             ;   in Loop: Header=BB2_6268 Depth=3
	s_mov_b64 s[26:27], -1
	s_and_saveexec_b64 s[28:29], s[16:17]
	s_cbranch_execz .LBB2_6373
; %bb.6372:                             ;   in Loop: Header=BB2_6268 Depth=3
	ds_read_b32 v3, v0 offset:720
	s_waitcnt lgkmcnt(0)
	v_and_b32_e32 v3, 15, v3
	v_cmp_eq_u32_e32 vcc, 0, v3
	s_orn2_b64 s[26:27], vcc, exec
.LBB2_6373:                             ;   in Loop: Header=BB2_6268 Depth=3
	s_or_b64 exec, exec, s[28:29]
	s_and_saveexec_b64 s[28:29], s[14:15]
	s_cbranch_execz .LBB2_6375
; %bb.6374:                             ;   in Loop: Header=BB2_6268 Depth=3
	ds_read_b32 v3, v0 offset:784
	s_waitcnt lgkmcnt(0)
	v_and_b32_e32 v3, 15, v3
	v_cmp_eq_u32_e32 vcc, 0, v3
	s_and_b64 s[40:41], s[26:27], vcc
	s_andn2_b64 s[26:27], s[26:27], exec
	s_and_b64 s[40:41], s[40:41], exec
	s_or_b64 s[26:27], s[26:27], s[40:41]
.LBB2_6375:                             ;   in Loop: Header=BB2_6268 Depth=3
	s_or_b64 exec, exec, s[28:29]
	buffer_load_dword v10, off, s[0:3], s33 offset:128 ; 4-byte Folded Reload
	s_xor_b64 s[26:27], s[26:27], -1
	v_cndmask_b32_e64 v3, 0, 1, s[26:27]
	s_mov_b64 s[40:41], -1
	v_mov_b32_e32 v8, 0
	v_cmp_ne_u32_e32 vcc, 0, v3
	v_mov_b32_e32 v9, v16
	s_cbranch_vccz .LBB2_6377
; %bb.6376:                             ;   in Loop: Header=BB2_6268 Depth=3
	s_and_saveexec_b64 s[26:27], s[40:41]
	s_cbranch_execnz .LBB2_6388
	s_branch .LBB2_6396
.LBB2_6377:                             ;   in Loop: Header=BB2_6268 Depth=3
	v_ashrrev_i32_e32 v3, 31, v16
	v_lshrrev_b32_e32 v3, 21, v3
	v_add_u32_e32 v3, v16, v3
	s_waitcnt vmcnt(0)
	v_ashrrev_i32_e32 v10, 11, v3
	buffer_load_dword v3, off, s[0:3], s33 offset:144 ; 4-byte Folded Reload
	s_waitcnt vmcnt(0)
	v_sub_u32_e32 v18, v10, v3
	v_cmp_lt_i32_e32 vcc, 0, v18
	s_mov_b64 s[26:27], exec
	s_and_b64 s[28:29], s[26:27], vcc
	v_lshlrev_b32_e32 v11, 11, v17
	s_mov_b64 exec, s[28:29]
	s_cbranch_execz .LBB2_6381
; %bb.6378:                             ;   in Loop: Header=BB2_6268 Depth=3
	buffer_load_dword v8, off, s[0:3], s33 offset:196 ; 4-byte Folded Reload
	buffer_load_dword v9, off, s[0:3], s33 offset:200 ; 4-byte Folded Reload
	s_mov_b64 s[28:29], 0
.LBB2_6379:                             ;   Parent Loop BB2_47 Depth=1
                                        ;     Parent Loop BB2_6265 Depth=2
                                        ;       Parent Loop BB2_6268 Depth=3
                                        ; =>      This Inner Loop Header: Depth=4
	s_waitcnt vmcnt(0)
	v_add_co_u32_e32 v3, vcc, v13, v8
	v_addc_co_u32_e32 v4, vcc, v14, v9, vcc
	global_load_dwordx4 v[24:27], v[3:4], off glc slc
	global_load_dwordx4 v[36:39], v[3:4], off offset:1024 glc slc
	v_add_co_u32_e32 v3, vcc, v54, v8
	v_addc_co_u32_e32 v4, vcc, v55, v9, vcc
	v_add_co_u32_e32 v8, vcc, v8, v11
	v_sub_u32_e32 v18, v18, v17
	v_addc_co_u32_e32 v9, vcc, 0, v9, vcc
	v_cmp_gt_i32_e32 vcc, 1, v18
	s_or_b64 s[28:29], vcc, s[28:29]
	s_waitcnt vmcnt(0)
	global_store_dwordx4 v[3:4], v[24:27], off glc slc
	global_store_dwordx4 v[3:4], v[36:39], off offset:1024 glc slc
	s_andn2_b64 exec, exec, s[28:29]
	s_cbranch_execnz .LBB2_6379
; %bb.6380:                             ;   in Loop: Header=BB2_6268 Depth=3
	s_or_b64 exec, exec, s[28:29]
	buffer_load_dword v26, off, s[0:3], s33 offset:56 ; 4-byte Folded Reload
.LBB2_6381:                             ;   in Loop: Header=BB2_6268 Depth=3
	s_or_b64 exec, exec, s[26:27]
	v_lshlrev_b32_e32 v11, 11, v10
	v_cmp_ne_u32_e32 vcc, v16, v11
	s_mov_b64 s[40:41], 0
	v_mov_b32_e32 v8, 0
                                        ; implicit-def: $vgpr9
                                        ; implicit-def: $vgpr10
	s_and_saveexec_b64 s[28:29], vcc
	s_cbranch_execz .LBB2_6387
; %bb.6382:                             ;   in Loop: Header=BB2_6268 Depth=3
	buffer_load_dword v8, off, s[0:3], s33 offset:148 ; 4-byte Folded Reload
	v_lshlrev_b32_e32 v4, 6, v18
	v_sub_u32_e32 v3, v16, v11
	s_waitcnt vmcnt(0)
	v_sub_u32_e32 v4, v8, v4
	v_ashrrev_i32_e32 v8, 31, v4
	v_lshrrev_b32_e32 v8, 26, v8
	v_add_u32_e32 v8, v4, v8
	v_ashrrev_i32_e32 v18, 6, v8
	v_and_b32_e32 v8, 0xffffffc0, v8
	v_sub_u32_e32 v10, v4, v8
	v_lshlrev_b32_e32 v4, 4, v10
	v_lshl_add_u32 v21, v18, 10, v4
	v_ashrrev_i32_e32 v4, 31, v3
	v_lshrrev_b32_e32 v4, 22, v4
	v_add_u32_e32 v4, v3, v4
	v_and_b32_e32 v8, 0xfffffc00, v4
	v_sub_u32_e32 v9, v3, v8
	v_ashrrev_i32_e32 v24, 10, v4
	v_cmp_lt_i32_e32 vcc, 15, v9
	v_sub_u32_e32 v19, v3, v21
	v_addc_co_u32_e64 v3, s[26:27], 0, v24, vcc
	v_sub_u32_e32 v18, v3, v18
	v_cmp_lt_i32_e64 s[26:27], 15, v19
	s_and_saveexec_b64 s[40:41], s[26:27]
	s_cbranch_execz .LBB2_6386
; %bb.6383:                             ;   in Loop: Header=BB2_6268 Depth=3
	v_add_u32_e32 v21, v21, v11
	v_ashrrev_i32_e32 v24, 31, v21
	s_mov_b64 s[30:31], 0
.LBB2_6384:                             ;   Parent Loop BB2_47 Depth=1
                                        ;     Parent Loop BB2_6265 Depth=2
                                        ;       Parent Loop BB2_6268 Depth=3
                                        ; =>      This Inner Loop Header: Depth=4
	v_add_co_u32_e64 v3, s[26:27], v13, v21
	v_addc_co_u32_e64 v4, s[26:27], v14, v24, s[26:27]
	global_load_dwordx4 v[36:39], v[3:4], off glc slc
	v_add_co_u32_e64 v3, s[26:27], v54, v21
	v_addc_co_u32_e64 v4, s[26:27], v55, v24, s[26:27]
	v_add_co_u32_e64 v21, s[26:27], v21, v5
	v_sub_u32_e32 v19, v19, v5
	v_addc_co_u32_e64 v24, s[26:27], 0, v24, s[26:27]
	v_cmp_gt_i32_e64 s[26:27], 16, v19
	v_sub_u32_e32 v18, v18, v17
	s_or_b64 s[30:31], s[26:27], s[30:31]
	s_waitcnt vmcnt(0)
	global_store_dwordx4 v[3:4], v[36:39], off glc slc
	s_andn2_b64 exec, exec, s[30:31]
	s_cbranch_execnz .LBB2_6384
; %bb.6385:                             ;   in Loop: Header=BB2_6268 Depth=3
	s_or_b64 exec, exec, s[30:31]
.LBB2_6386:                             ;   in Loop: Header=BB2_6268 Depth=3
	s_or_b64 exec, exec, s[40:41]
	v_and_b32_e32 v3, 15, v16
	v_sub_u32_e32 v4, v9, v3
	v_cndmask_b32_e32 v4, 0, v4, vcc
	v_cndmask_b32_e32 v9, v9, v3, vcc
	v_cmp_lt_i32_e32 vcc, 0, v18
	v_cndmask_b32_e32 v3, 0, v17, vcc
	v_sub_u32_e32 v3, v3, v18
	v_cmp_ne_u32_e32 vcc, 0, v9
	v_add3_u32 v8, v8, v11, v4
	v_lshl_add_u32 v10, v3, 6, v10
	s_and_b64 s[40:41], vcc, exec
.LBB2_6387:                             ;   in Loop: Header=BB2_6268 Depth=3
	s_or_b64 exec, exec, s[28:29]
	s_and_saveexec_b64 s[26:27], s[40:41]
	s_cbranch_execz .LBB2_6396
.LBB2_6388:                             ;   in Loop: Header=BB2_6268 Depth=3
	s_waitcnt vmcnt(0)
	v_ashrrev_i32_e32 v3, 31, v10
	v_lshrrev_b32_e32 v3, 26, v3
	v_add_u32_e32 v21, v10, v3
	v_ashrrev_i32_e32 v3, 31, v9
	v_lshrrev_b32_e32 v3, 23, v3
	v_add_u32_e32 v3, v9, v3
	v_ashrrev_i32_e32 v11, 6, v21
	v_ashrrev_i32_e32 v19, 9, v3
	v_sub_u32_e32 v18, v19, v11
	v_cmp_lt_i32_e32 vcc, 0, v18
	s_and_saveexec_b64 s[28:29], vcc
	s_cbranch_execz .LBB2_6392
; %bb.6389:                             ;   in Loop: Header=BB2_6268 Depth=3
	v_and_b32_e32 v3, 0xffffffc0, v21
	v_sub_u32_e32 v3, v10, v3
	v_lshlrev_b32_e32 v4, 9, v11
	v_add3_u32 v21, v8, v3, v4
	v_ashrrev_i32_e32 v24, 31, v21
	s_mov_b64 s[40:41], 0
.LBB2_6390:                             ;   Parent Loop BB2_47 Depth=1
                                        ;     Parent Loop BB2_6265 Depth=2
                                        ;       Parent Loop BB2_6268 Depth=3
                                        ; =>      This Inner Loop Header: Depth=4
	v_add_co_u32_e32 v3, vcc, v21, v13
	v_addc_co_u32_e32 v4, vcc, v24, v14, vcc
	flat_load_ubyte v25, v[3:4] glc slc
	flat_load_ubyte v26, v[3:4] offset:64 glc slc
	flat_load_ubyte v27, v[3:4] offset:128 glc slc
	flat_load_ubyte v30, v[3:4] offset:192 glc slc
	flat_load_ubyte v31, v[3:4] offset:256 glc slc
	flat_load_ubyte v34, v[3:4] offset:320 glc slc
	flat_load_ubyte v36, v[3:4] offset:384 glc slc
	flat_load_ubyte v37, v[3:4] offset:448 glc slc
	v_add_co_u32_e32 v3, vcc, v21, v54
	v_addc_co_u32_e32 v4, vcc, v24, v55, vcc
	v_add_co_u32_e32 v13, vcc, v13, v2
	v_addc_co_u32_e32 v14, vcc, 0, v14, vcc
	v_add_co_u32_e32 v54, vcc, v54, v2
	v_sub_u32_e32 v18, v18, v17
	v_addc_co_u32_e32 v55, vcc, 0, v55, vcc
	v_cmp_gt_i32_e32 vcc, 1, v18
	s_or_b64 s[40:41], vcc, s[40:41]
	s_waitcnt vmcnt(0) lgkmcnt(0)
	flat_store_byte v[3:4], v25 glc slc
	flat_store_byte v[3:4], v26 offset:64 glc slc
	flat_store_byte v[3:4], v27 offset:128 glc slc
	;; [unrolled: 1-line block ×7, first 2 shown]
	s_andn2_b64 exec, exec, s[40:41]
	s_cbranch_execnz .LBB2_6390
; %bb.6391:                             ;   in Loop: Header=BB2_6268 Depth=3
	s_or_b64 exec, exec, s[40:41]
	buffer_load_dword v26, off, s[0:3], s33 offset:56 ; 4-byte Folded Reload
.LBB2_6392:                             ;   in Loop: Header=BB2_6268 Depth=3
	s_or_b64 exec, exec, s[28:29]
	v_lshlrev_b32_e32 v13, 9, v19
	v_cmp_ne_u32_e32 vcc, v9, v13
	s_and_b64 exec, exec, vcc
	s_cbranch_execz .LBB2_6396
; %bb.6393:                             ;   in Loop: Header=BB2_6268 Depth=3
	v_lshlrev_b32_e32 v3, 6, v11
	v_sub_u32_e32 v3, v10, v3
	v_lshlrev_b32_e32 v4, 6, v18
	v_sub_u32_e32 v3, v3, v4
	v_add_u32_e32 v11, v13, v3
	v_sub_u32_e32 v10, v9, v11
	v_cmp_lt_i32_e32 vcc, 0, v10
	s_and_b64 exec, exec, vcc
	s_cbranch_execz .LBB2_6396
; %bb.6394:                             ;   in Loop: Header=BB2_6268 Depth=3
	v_add_u32_e32 v11, v11, v8
	s_trap 2
	ds_read_b64 v[8:9], v0
	v_ashrrev_i32_e32 v13, 31, v11
	s_mov_b64 s[28:29], 0
.LBB2_6395:                             ;   Parent Loop BB2_47 Depth=1
                                        ;     Parent Loop BB2_6265 Depth=2
                                        ;       Parent Loop BB2_6268 Depth=3
                                        ; =>      This Inner Loop Header: Depth=4
	s_waitcnt lgkmcnt(0)
	v_add_co_u32_e32 v3, vcc, v8, v11
	v_addc_co_u32_e32 v4, vcc, v9, v13, vcc
	flat_load_ubyte v14, v[3:4] glc slc
	s_waitcnt vmcnt(0)
	v_add_co_u32_e32 v11, vcc, v11, v26
	v_sub_u32_e32 v10, v10, v26
	v_addc_co_u32_e32 v13, vcc, 0, v13, vcc
	v_cmp_gt_i32_e32 vcc, 1, v10
	s_or_b64 s[28:29], vcc, s[28:29]
	s_waitcnt lgkmcnt(0)
	flat_store_byte v[3:4], v14 glc slc
	s_andn2_b64 exec, exec, s[28:29]
	s_cbranch_execnz .LBB2_6395
.LBB2_6396:                             ;   in Loop: Header=BB2_6268 Depth=3
	s_or_b64 exec, exec, s[26:27]
.LBB2_6397:                             ;   in Loop: Header=BB2_6268 Depth=3
	v_cmp_lt_i32_e64 s[26:27], 0, v16
	s_and_saveexec_b64 s[28:29], s[12:13]
	s_cbranch_execz .LBB2_6416
.LBB2_6398:                             ;   in Loop: Header=BB2_6268 Depth=3
	s_and_saveexec_b64 s[40:41], s[72:73]
	s_xor_b64 s[40:41], exec, s[40:41]
	s_cbranch_execz .LBB2_6413
; %bb.6399:                             ;   in Loop: Header=BB2_6268 Depth=3
	s_and_saveexec_b64 s[30:31], s[6:7]
	s_cbranch_execz .LBB2_6412
; %bb.6400:                             ;   in Loop: Header=BB2_6268 Depth=3
	s_mov_b64 s[36:37], exec
	v_mbcnt_lo_u32_b32 v3, s36, 0
	v_mbcnt_hi_u32_b32 v3, s37, v3
	v_cmp_eq_u32_e32 vcc, 0, v3
	s_waitcnt vmcnt(0) lgkmcnt(0)
	buffer_wbinvl1_vol
	s_and_saveexec_b64 s[34:35], vcc
	s_cbranch_execz .LBB2_6402
; %bb.6401:                             ;   in Loop: Header=BB2_6268 Depth=3
	s_bcnt1_i32_b64 vcc_lo, s[36:37]
	v_mov_b32_e32 v34, vcc_lo
	ds_add_u64 v0, v[34:35]
	s_trap 2
.LBB2_6402:                             ;   in Loop: Header=BB2_6268 Depth=3
	s_or_b64 exec, exec, s[34:35]
	s_trap 2
	ds_read_b64 v[3:4], v0
	s_waitcnt lgkmcnt(0)
	v_add_co_u32_e32 v32, vcc, v32, v17
	v_addc_co_u32_e32 v33, vcc, 0, v33, vcc
	v_cmp_lt_u64_e32 vcc, v[3:4], v[32:33]
	s_and_saveexec_b64 s[34:35], vcc
	s_cbranch_execz .LBB2_6411
; %bb.6403:                             ;   in Loop: Header=BB2_6268 Depth=3
	s_mov_b32 s54, 0
	s_mov_b64 s[36:37], 0
                                        ; implicit-def: $sgpr38_sgpr39
                                        ; implicit-def: $sgpr48_sgpr49
	s_branch .LBB2_6405
.LBB2_6404:                             ;   in Loop: Header=BB2_6405 Depth=4
	s_or_b64 exec, exec, s[52:53]
	s_and_b64 vcc, exec, vcc
	s_or_b64 s[36:37], vcc, s[36:37]
	s_andn2_b64 vcc, s[38:39], exec
	s_and_b64 s[38:39], s[48:49], exec
	s_or_b64 s[38:39], vcc, s[38:39]
	s_andn2_b64 exec, exec, s[36:37]
	s_cbranch_execz .LBB2_6409
.LBB2_6405:                             ;   Parent Loop BB2_47 Depth=1
                                        ;     Parent Loop BB2_6265 Depth=2
                                        ;       Parent Loop BB2_6268 Depth=3
                                        ; =>      This Inner Loop Header: Depth=4
	s_add_i32 s54, s54, 1
	s_cmpk_lg_i32 s54, 0x2710
	s_cselect_b64 s[50:51], -1, 0
	s_and_b64 vcc, exec, s[50:51]
	s_cbranch_vccz .LBB2_6407
; %bb.6406:                             ;   in Loop: Header=BB2_6405 Depth=4
	s_mov_b64 vcc, -1
	s_or_b64 s[48:49], s[48:49], exec
	s_and_saveexec_b64 s[52:53], s[50:51]
	s_cbranch_execz .LBB2_6404
	s_branch .LBB2_6408
.LBB2_6407:                             ;   in Loop: Header=BB2_6405 Depth=4
	s_trap 2
	ds_read_b64 v[3:4], v0
	s_andn2_b64 s[50:51], s[50:51], exec
	s_mov_b32 s54, 0
	s_waitcnt lgkmcnt(0)
	flat_load_dword v3, v[3:4] glc
	s_waitcnt vmcnt(0) lgkmcnt(0)
	buffer_wbinvl1_vol
	v_cmp_eq_u32_e32 vcc, 0, v3
	s_and_b64 vcc, vcc, exec
	s_or_b64 s[50:51], s[50:51], vcc
	s_mov_b64 vcc, -1
	s_or_b64 s[48:49], s[48:49], exec
	s_and_saveexec_b64 s[52:53], s[50:51]
	s_cbranch_execz .LBB2_6404
.LBB2_6408:                             ;   in Loop: Header=BB2_6405 Depth=4
	s_sleep 1
	s_trap 2
	ds_read_b64 v[3:4], v0
	s_waitcnt lgkmcnt(0)
	s_andn2_b64 s[48:49], s[48:49], exec
	v_cmp_ge_u64_e32 vcc, v[3:4], v[32:33]
	s_orn2_b64 vcc, vcc, exec
	s_branch .LBB2_6404
.LBB2_6409:                             ;   in Loop: Header=BB2_6268 Depth=3
	s_or_b64 exec, exec, s[36:37]
	s_and_saveexec_b64 vcc, s[38:39]
	s_xor_b64 vcc, exec, vcc
	s_cbranch_execz .LBB2_6411
; %bb.6410:                             ;   in Loop: Header=BB2_6268 Depth=3
	v_mov_b32_e32 v3, 1
	ds_write_b32 v0, v3
	s_trap 2
.LBB2_6411:                             ;   in Loop: Header=BB2_6268 Depth=3
	s_or_b64 exec, exec, s[34:35]
	;;#ASMSTART
	s_wakeup
	;;#ASMEND
.LBB2_6412:                             ;   in Loop: Header=BB2_6268 Depth=3
	s_or_b64 exec, exec, s[30:31]
.LBB2_6413:                             ;   in Loop: Header=BB2_6268 Depth=3
	s_andn2_saveexec_b64 s[40:41], s[40:41]
	s_cbranch_execz .LBB2_6415
; %bb.6414:                             ;   in Loop: Header=BB2_6268 Depth=3
	s_waitcnt vmcnt(0) lgkmcnt(0)
	buffer_wbinvl1_vol
	s_barrier
.LBB2_6415:                             ;   in Loop: Header=BB2_6268 Depth=3
	s_or_b64 exec, exec, s[40:41]
.LBB2_6416:                             ;   in Loop: Header=BB2_6268 Depth=3
	s_or_b64 exec, exec, s[28:29]
	v_and_b32_e32 v8, 16, v20
	s_and_saveexec_b64 s[28:29], s[18:19]
	s_xor_b64 s[28:29], exec, s[28:29]
	s_cbranch_execz .LBB2_6420
; %bb.6417:                             ;   in Loop: Header=BB2_6268 Depth=3
	v_and_b32_e32 v3, 16, v20
	v_cmp_ne_u32_e32 vcc, 0, v3
	v_and_b32_e32 v8, 16, v20
	s_and_b64 s[40:41], vcc, s[26:27]
	s_and_saveexec_b64 s[26:27], s[40:41]
	s_cbranch_execz .LBB2_6419
; %bb.6418:                             ;   in Loop: Header=BB2_6268 Depth=3
	v_mov_b32_e32 v8, 1
	s_waitcnt vmcnt(0) lgkmcnt(0)
	buffer_wbinvl1_vol
.LBB2_6419:                             ;   in Loop: Header=BB2_6268 Depth=3
	s_or_b64 exec, exec, s[26:27]
.LBB2_6420:                             ;   in Loop: Header=BB2_6268 Depth=3
	s_andn2_saveexec_b64 s[26:27], s[28:29]
	s_cbranch_execz .LBB2_6439
; %bb.6421:                             ;   in Loop: Header=BB2_6268 Depth=3
	s_and_saveexec_b64 s[28:29], s[72:73]
	s_xor_b64 s[28:29], exec, s[28:29]
	s_cbranch_execz .LBB2_6436
; %bb.6422:                             ;   in Loop: Header=BB2_6268 Depth=3
	s_and_saveexec_b64 s[40:41], s[6:7]
	s_cbranch_execz .LBB2_6435
; %bb.6423:                             ;   in Loop: Header=BB2_6268 Depth=3
	s_mov_b64 s[34:35], exec
	v_mbcnt_lo_u32_b32 v3, s34, 0
	v_mbcnt_hi_u32_b32 v3, s35, v3
	v_cmp_eq_u32_e32 vcc, 0, v3
	;;#ASMSTART
	s_waitcnt lgkmcnt(0) vmcnt(0)
	;;#ASMEND
	s_and_saveexec_b64 s[30:31], vcc
	s_cbranch_execz .LBB2_6425
; %bb.6424:                             ;   in Loop: Header=BB2_6268 Depth=3
	s_bcnt1_i32_b64 vcc_lo, s[34:35]
	v_mov_b32_e32 v34, vcc_lo
	s_waitcnt lgkmcnt(0)
	ds_add_u64 v0, v[34:35]
	s_trap 2
.LBB2_6425:                             ;   in Loop: Header=BB2_6268 Depth=3
	s_or_b64 exec, exec, s[30:31]
	s_trap 2
	ds_read_b64 v[3:4], v0
	s_waitcnt lgkmcnt(0)
	v_add_co_u32_e32 v32, vcc, v32, v17
	v_addc_co_u32_e32 v33, vcc, 0, v33, vcc
	v_cmp_lt_u64_e32 vcc, v[3:4], v[32:33]
	s_and_saveexec_b64 s[30:31], vcc
	s_cbranch_execz .LBB2_6434
; %bb.6426:                             ;   in Loop: Header=BB2_6268 Depth=3
	s_mov_b32 s52, 0
	s_mov_b64 s[34:35], 0
                                        ; implicit-def: $sgpr36_sgpr37
                                        ; implicit-def: $sgpr38_sgpr39
	s_branch .LBB2_6428
.LBB2_6427:                             ;   in Loop: Header=BB2_6428 Depth=4
	s_or_b64 exec, exec, s[50:51]
	s_and_b64 vcc, exec, vcc
	s_or_b64 s[34:35], vcc, s[34:35]
	s_andn2_b64 vcc, s[36:37], exec
	s_and_b64 s[36:37], s[38:39], exec
	s_or_b64 s[36:37], vcc, s[36:37]
	s_andn2_b64 exec, exec, s[34:35]
	s_cbranch_execz .LBB2_6432
.LBB2_6428:                             ;   Parent Loop BB2_47 Depth=1
                                        ;     Parent Loop BB2_6265 Depth=2
                                        ;       Parent Loop BB2_6268 Depth=3
                                        ; =>      This Inner Loop Header: Depth=4
	s_add_i32 s52, s52, 1
	s_cmpk_lg_i32 s52, 0x2710
	s_cselect_b64 s[48:49], -1, 0
	s_and_b64 vcc, exec, s[48:49]
	s_cbranch_vccz .LBB2_6430
; %bb.6429:                             ;   in Loop: Header=BB2_6428 Depth=4
	s_mov_b64 vcc, -1
	s_or_b64 s[38:39], s[38:39], exec
	s_and_saveexec_b64 s[50:51], s[48:49]
	s_cbranch_execz .LBB2_6427
	s_branch .LBB2_6431
.LBB2_6430:                             ;   in Loop: Header=BB2_6428 Depth=4
	s_trap 2
	ds_read_b64 v[3:4], v0
	s_andn2_b64 s[48:49], s[48:49], exec
	s_mov_b32 s52, 0
	s_waitcnt vmcnt(0) lgkmcnt(0)
	flat_load_dword v3, v[3:4] glc
	s_waitcnt vmcnt(0) lgkmcnt(0)
	buffer_wbinvl1_vol
	v_cmp_eq_u32_e32 vcc, 0, v3
	s_and_b64 vcc, vcc, exec
	s_or_b64 s[48:49], s[48:49], vcc
	s_mov_b64 vcc, -1
	s_or_b64 s[38:39], s[38:39], exec
	s_and_saveexec_b64 s[50:51], s[48:49]
	s_cbranch_execz .LBB2_6427
.LBB2_6431:                             ;   in Loop: Header=BB2_6428 Depth=4
	s_sleep 1
	s_trap 2
	ds_read_b64 v[3:4], v0
	s_waitcnt lgkmcnt(0)
	s_andn2_b64 s[38:39], s[38:39], exec
	v_cmp_ge_u64_e32 vcc, v[3:4], v[32:33]
	s_orn2_b64 vcc, vcc, exec
	s_branch .LBB2_6427
.LBB2_6432:                             ;   in Loop: Header=BB2_6268 Depth=3
	s_or_b64 exec, exec, s[34:35]
	s_and_saveexec_b64 vcc, s[36:37]
	s_xor_b64 vcc, exec, vcc
	s_cbranch_execz .LBB2_6434
; %bb.6433:                             ;   in Loop: Header=BB2_6268 Depth=3
	v_mov_b32_e32 v3, 1
	ds_write_b32 v0, v3
	s_trap 2
.LBB2_6434:                             ;   in Loop: Header=BB2_6268 Depth=3
	s_or_b64 exec, exec, s[30:31]
	;;#ASMSTART
	s_wakeup
	;;#ASMEND
.LBB2_6435:                             ;   in Loop: Header=BB2_6268 Depth=3
	s_or_b64 exec, exec, s[40:41]
.LBB2_6436:                             ;   in Loop: Header=BB2_6268 Depth=3
	s_andn2_saveexec_b64 s[28:29], s[28:29]
	s_cbranch_execz .LBB2_6438
; %bb.6437:                             ;   in Loop: Header=BB2_6268 Depth=3
	;;#ASMSTART
	s_waitcnt lgkmcnt(0) vmcnt(0)
	;;#ASMEND
	s_waitcnt vmcnt(0) lgkmcnt(0)
	s_barrier
.LBB2_6438:                             ;   in Loop: Header=BB2_6268 Depth=3
	s_or_b64 exec, exec, s[28:29]
.LBB2_6439:                             ;   in Loop: Header=BB2_6268 Depth=3
	s_or_b64 exec, exec, s[26:27]
	v_cmp_ne_u32_e32 vcc, 0, v8
	s_xor_b64 s[26:27], s[20:21], -1
	s_and_b64 s[28:29], vcc, s[26:27]
	s_and_saveexec_b64 s[26:27], s[28:29]
	s_cbranch_execz .LBB2_6441
; %bb.6440:                             ;   in Loop: Header=BB2_6268 Depth=3
	buffer_load_dword v3, off, s[0:3], s33 offset:96 ; 4-byte Folded Reload
	buffer_load_dword v4, off, s[0:3], s33 offset:100 ; 4-byte Folded Reload
	v_mov_b32_e32 v8, 1
	s_waitcnt vmcnt(0)
	flat_store_dword v[3:4], v8
.LBB2_6441:                             ;   in Loop: Header=BB2_6268 Depth=3
	s_or_b64 exec, exec, s[26:27]
	v_and_b32_e32 v3, 48, v20
	v_cmp_ne_u32_e32 vcc, 0, v3
	s_and_saveexec_b64 s[26:27], vcc
	s_cbranch_execz .LBB2_6267
; %bb.6442:                             ;   in Loop: Header=BB2_6268 Depth=3
	v_add_co_u32_e32 v50, vcc, 2, v50
	v_addc_co_u32_e32 v51, vcc, 0, v51, vcc
	flat_store_dwordx2 v[22:23], v[50:51]
	s_branch .LBB2_6267
.LBB2_6443:                             ;   in Loop: Header=BB2_6265 Depth=2
	s_or_b64 exec, exec, s[42:43]
	v_cmp_gt_i32_e32 vcc, 2, v10
	s_and_saveexec_b64 s[28:29], vcc
	s_cbranch_execz .LBB2_6519
.LBB2_6444:                             ;   in Loop: Header=BB2_6265 Depth=2
	v_cmp_eq_u32_e64 s[42:43], 0, v10
	s_mov_b64 s[40:41], 0
	s_branch .LBB2_6446
.LBB2_6445:                             ;   in Loop: Header=BB2_6446 Depth=3
	s_or_b64 exec, exec, s[26:27]
	v_add_u32_e32 v7, v12, v7
	s_mov_b64 s[42:43], 0
	s_andn2_b64 exec, exec, s[40:41]
	s_cbranch_execz .LBB2_6520
.LBB2_6446:                             ;   Parent Loop BB2_47 Depth=1
                                        ;     Parent Loop BB2_6265 Depth=2
                                        ; =>    This Loop Header: Depth=3
                                        ;         Child Loop BB2_6452 Depth 4
                                        ;         Child Loop BB2_6480 Depth 4
	;; [unrolled: 1-line block ×3, first 2 shown]
	v_sub_u32_e32 v1, v6, v7
	v_min_i32_e32 v12, v12, v1
	v_and_b32_e32 v1, 12, v20
	v_cmp_ne_u32_e32 vcc, 0, v1
	s_and_saveexec_b64 s[44:45], vcc
	s_cbranch_execz .LBB2_6472
; %bb.6447:                             ;   in Loop: Header=BB2_6446 Depth=3
	v_and_b32_e32 v1, 8, v20
	s_waitcnt lgkmcnt(0)
	v_add_co_u32_e32 v3, vcc, v28, v1
	v_addc_co_u32_e32 v4, vcc, 0, v29, vcc
	v_add_co_u32_e32 v8, vcc, 2, v50
	v_addc_co_u32_e32 v9, vcc, 0, v51, vcc
	v_cmp_lt_u64_e32 vcc, v[3:4], v[8:9]
	s_and_saveexec_b64 s[46:47], vcc
	s_cbranch_execz .LBB2_6459
; %bb.6448:                             ;   in Loop: Header=BB2_6446 Depth=3
	v_and_b32_e32 v3, 64, v20
	s_mov_b32 s57, 0
	v_cmp_eq_u32_e32 vcc, 0, v3
	s_mov_b64 s[30:31], 0
                                        ; implicit-def: $sgpr34_sgpr35
                                        ; implicit-def: $sgpr36_sgpr37
                                        ; implicit-def: $sgpr38_sgpr39
	s_branch .LBB2_6452
.LBB2_6449:                             ;   in Loop: Header=BB2_6452 Depth=4
	s_waitcnt vmcnt(0) lgkmcnt(0)
	v_add_co_u32_e64 v3, s[26:27], v28, v1
	v_addc_co_u32_e64 v4, s[26:27], 0, v29, s[26:27]
	v_cmp_ge_u64_e64 s[26:27], v[3:4], v[8:9]
	s_or_b64 s[52:53], s[52:53], exec
	s_orn2_b64 s[50:51], s[26:27], exec
.LBB2_6450:                             ;   in Loop: Header=BB2_6452 Depth=4
	s_or_b64 exec, exec, s[64:65]
	s_andn2_b64 s[26:27], s[38:39], exec
	s_and_b64 s[38:39], s[52:53], exec
	s_or_b64 s[38:39], s[26:27], s[38:39]
	s_andn2_b64 s[26:27], s[36:37], exec
	s_and_b64 s[36:37], s[50:51], exec
	s_or_b64 s[36:37], s[26:27], s[36:37]
.LBB2_6451:                             ;   in Loop: Header=BB2_6452 Depth=4
	s_or_b64 exec, exec, s[48:49]
	s_and_b64 s[26:27], exec, s[36:37]
	s_or_b64 s[30:31], s[26:27], s[30:31]
	s_andn2_b64 s[26:27], s[34:35], exec
	s_and_b64 s[34:35], s[38:39], exec
	s_or_b64 s[34:35], s[26:27], s[34:35]
	s_andn2_b64 exec, exec, s[30:31]
	s_cbranch_execz .LBB2_6456
.LBB2_6452:                             ;   Parent Loop BB2_47 Depth=1
                                        ;     Parent Loop BB2_6265 Depth=2
                                        ;       Parent Loop BB2_6446 Depth=3
                                        ; =>      This Inner Loop Header: Depth=4
	s_sleep 1
	s_waitcnt vmcnt(0) lgkmcnt(0)
	flat_load_dwordx2 v[28:29], v[22:23] glc
	s_or_b64 s[38:39], s[38:39], exec
	s_or_b64 s[36:37], s[36:37], exec
                                        ; implicit-def: $vgpr10
	s_and_saveexec_b64 s[48:49], vcc
	s_cbranch_execz .LBB2_6451
; %bb.6453:                             ;   in Loop: Header=BB2_6452 Depth=4
	s_cmpk_lt_i32 s57, 0x270f
	s_cselect_b64 s[54:55], -1, 0
	s_cmpk_gt_i32 s57, 0x270e
	s_mov_b64 s[50:51], -1
	s_cbranch_scc0 .LBB2_6455
; %bb.6454:                             ;   in Loop: Header=BB2_6452 Depth=4
	s_trap 2
	ds_read_b64 v[3:4], v0
	s_andn2_b64 s[54:55], s[54:55], exec
	s_mov_b32 s57, 0
	s_mov_b64 s[52:53], 0
	s_waitcnt vmcnt(0) lgkmcnt(0)
	flat_load_dword v10, v[3:4] glc
	s_waitcnt vmcnt(0) lgkmcnt(0)
	buffer_wbinvl1_vol
	v_cmp_eq_u32_e64 s[26:27], 0, v10
	s_and_b64 s[26:27], s[26:27], exec
	s_or_b64 s[54:55], s[54:55], s[26:27]
	s_and_saveexec_b64 s[64:65], s[54:55]
	s_cbranch_execz .LBB2_6450
	s_branch .LBB2_6449
.LBB2_6455:                             ;   in Loop: Header=BB2_6452 Depth=4
	s_add_i32 s57, s57, 1
	s_mov_b64 s[52:53], -1
                                        ; implicit-def: $vgpr10
	s_and_saveexec_b64 s[64:65], s[54:55]
	s_cbranch_execz .LBB2_6450
	s_branch .LBB2_6449
.LBB2_6456:                             ;   in Loop: Header=BB2_6446 Depth=3
	s_or_b64 exec, exec, s[30:31]
	s_xor_b64 s[26:27], s[34:35], -1
	s_and_saveexec_b64 vcc, s[26:27]
	s_xor_b64 s[26:27], exec, vcc
	s_cbranch_execz .LBB2_6458
; %bb.6457:                             ;   in Loop: Header=BB2_6446 Depth=3
	v_or_b32_e32 v20, 64, v20
	s_waitcnt lgkmcnt(0)
	ds_write_b32 v0, v10
	s_trap 2
.LBB2_6458:                             ;   in Loop: Header=BB2_6446 Depth=3
	s_or_b64 exec, exec, s[26:27]
.LBB2_6459:                             ;   in Loop: Header=BB2_6446 Depth=3
	s_or_b64 exec, exec, s[46:47]
	v_and_b32_e32 v3, 0x108, v20
	v_cmp_ne_u32_e32 vcc, s96, v3
	;;#ASMSTART
	s_wakeup
	;;#ASMEND
	s_and_saveexec_b64 s[26:27], vcc
	s_xor_b64 s[26:27], exec, s[26:27]
                                        ; implicit-def: $vgpr15
; %bb.6460:                             ;   in Loop: Header=BB2_6446 Depth=3
	v_and_b32_e32 v15, 7, v50
                                        ; implicit-def: $vgpr50_vgpr51
; %bb.6461:                             ;   in Loop: Header=BB2_6446 Depth=3
	s_andn2_saveexec_b64 s[26:27], s[26:27]
	s_cbranch_execz .LBB2_6463
; %bb.6462:                             ;   in Loop: Header=BB2_6446 Depth=3
	buffer_load_dword v24, off, s[0:3], s33 offset:80 ; 4-byte Folded Reload
	buffer_load_dword v25, off, s[0:3], s33 offset:84 ; 4-byte Folded Reload
	;; [unrolled: 1-line block ×5, first 2 shown]
	v_and_b32_e32 v15, 7, v50
	v_ashrrev_i32_e32 v13, 31, v12
	s_waitcnt vmcnt(0)
	v_mad_u64_u32 v[3:4], s[46:47], v15, 24, v[24:25]
	flat_store_dwordx2 v[3:4], v[12:13] offset:8
.LBB2_6463:                             ;   in Loop: Header=BB2_6446 Depth=3
	s_or_b64 exec, exec, s[26:27]
	v_and_b32_e32 v3, 0x100, v20
	v_cmp_ne_u32_e32 vcc, 0, v3
	s_mov_b64 s[26:27], -1
                                        ; implicit-def: $vgpr10_vgpr11
	s_and_saveexec_b64 s[46:47], vcc
	s_cbranch_execz .LBB2_6467
; %bb.6464:                             ;   in Loop: Header=BB2_6446 Depth=3
	buffer_load_dword v24, off, s[0:3], s33 offset:80 ; 4-byte Folded Reload
	buffer_load_dword v25, off, s[0:3], s33 offset:84 ; 4-byte Folded Reload
	;; [unrolled: 1-line block ×4, first 2 shown]
                                        ; implicit-def: $vgpr10_vgpr11
	s_waitcnt vmcnt(0)
	v_mad_u64_u32 v[13:14], s[26:27], v15, 24, v[24:25]
	v_mov_b32_e32 v3, v14
	v_mad_u64_u32 v[3:4], s[26:27], v35, 24, v[3:4]
	v_mov_b32_e32 v14, v3
	flat_load_dword v3, v[13:14]
	s_waitcnt vmcnt(0) lgkmcnt(0)
	v_cmp_ne_u32_e32 vcc, 1, v3
	v_cmp_eq_u32_e64 s[26:27], 1, v3
	s_and_saveexec_b64 s[30:31], s[26:27]
	s_cbranch_execz .LBB2_6466
; %bb.6465:                             ;   in Loop: Header=BB2_6446 Depth=3
	flat_load_dword v10, v[13:14] offset:4 glc
	s_waitcnt vmcnt(0) lgkmcnt(0)
	v_ashrrev_i32_e32 v11, 31, v10
.LBB2_6466:                             ;   in Loop: Header=BB2_6446 Depth=3
	s_or_b64 exec, exec, s[30:31]
	buffer_load_dword v26, off, s[0:3], s33 offset:56 ; 4-byte Folded Reload
	s_orn2_b64 s[26:27], vcc, exec
.LBB2_6467:                             ;   in Loop: Header=BB2_6446 Depth=3
	s_or_b64 exec, exec, s[46:47]
	s_and_saveexec_b64 s[46:47], s[26:27]
	s_cbranch_execz .LBB2_6469
; %bb.6468:                             ;   in Loop: Header=BB2_6446 Depth=3
	buffer_load_dword v10, off, s[0:3], s33 offset:104 ; 4-byte Folded Reload
	buffer_load_dword v4, off, s[0:3], s33 offset:124 ; 4-byte Folded Reload
	s_waitcnt vmcnt(0)
	v_mul_lo_u32 v3, v35, v10
	v_mul_lo_u32 v4, v15, v4
	v_mad_u64_u32 v[10:11], s[26:27], v15, v10, 0
	v_add3_u32 v11, v11, v4, v3
.LBB2_6469:                             ;   in Loop: Header=BB2_6446 Depth=3
	s_or_b64 exec, exec, s[46:47]
	v_cmp_eq_u32_e32 vcc, 0, v1
	v_mov_b32_e32 v1, 0xd0
	v_mov_b32_e32 v3, 0x88
	v_cndmask_b32_e32 v1, v1, v3, vcc
	buffer_load_dword v3, off, s[0:3], s33 offset:72 ; 4-byte Folded Reload
	buffer_load_dword v4, off, s[0:3], s33 offset:76 ; 4-byte Folded Reload
	v_add_u32_e32 v1, v0, v1
	s_waitcnt vmcnt(0)
	v_add_co_u32_e32 v3, vcc, v3, v10
	v_addc_co_u32_e32 v4, vcc, v4, v11, vcc
	ds_write_b64 v1, v[3:4] offset:584
	v_and_b32_e32 v1, 0x2000, v20
	v_cmp_ne_u32_e32 vcc, 0, v1
	s_and_saveexec_b64 s[26:27], vcc
	s_cbranch_execz .LBB2_6471
; %bb.6470:                             ;   in Loop: Header=BB2_6446 Depth=3
	ds_read_b64 v[3:4], v0 offset:872
	s_waitcnt lgkmcnt(0)
	v_add_co_u32_e32 v3, vcc, 1, v3
	v_addc_co_u32_e32 v4, vcc, 0, v4, vcc
	ds_write_b64 v0, v[3:4] offset:872
.LBB2_6471:                             ;   in Loop: Header=BB2_6446 Depth=3
	s_or_b64 exec, exec, s[26:27]
	v_mov_b32_e32 v51, v9
	v_mov_b32_e32 v50, v8
.LBB2_6472:                             ;   in Loop: Header=BB2_6446 Depth=3
	s_or_b64 exec, exec, s[44:45]
	s_xor_b64 s[26:27], s[42:43], -1
	s_and_b64 s[26:27], exec, s[26:27]
	s_or_b64 s[40:41], s[26:27], s[40:41]
	s_and_saveexec_b64 s[26:27], s[12:13]
	s_cbranch_execz .LBB2_6491
; %bb.6473:                             ;   in Loop: Header=BB2_6446 Depth=3
	s_and_saveexec_b64 s[42:43], s[72:73]
	s_xor_b64 s[42:43], exec, s[42:43]
	s_cbranch_execz .LBB2_6488
; %bb.6474:                             ;   in Loop: Header=BB2_6446 Depth=3
	s_and_saveexec_b64 s[44:45], s[6:7]
	s_cbranch_execz .LBB2_6487
; %bb.6475:                             ;   in Loop: Header=BB2_6446 Depth=3
	s_mov_b64 s[30:31], exec
	v_mbcnt_lo_u32_b32 v1, s30, 0
	v_mbcnt_hi_u32_b32 v1, s31, v1
	v_cmp_eq_u32_e32 vcc, 0, v1
	s_waitcnt vmcnt(0) lgkmcnt(0)
	buffer_wbinvl1_vol
	s_and_saveexec_b64 s[46:47], vcc
	s_cbranch_execz .LBB2_6477
; %bb.6476:                             ;   in Loop: Header=BB2_6446 Depth=3
	s_bcnt1_i32_b64 s57, s[30:31]
	v_mov_b32_e32 v34, s57
	ds_add_u64 v0, v[34:35]
	s_trap 2
.LBB2_6477:                             ;   in Loop: Header=BB2_6446 Depth=3
	s_or_b64 exec, exec, s[46:47]
	s_trap 2
	ds_read_b64 v[3:4], v0
	s_waitcnt lgkmcnt(0)
	v_add_co_u32_e32 v32, vcc, v32, v17
	v_addc_co_u32_e32 v33, vcc, 0, v33, vcc
	v_cmp_lt_u64_e32 vcc, v[3:4], v[32:33]
	s_and_saveexec_b64 s[46:47], vcc
	s_cbranch_execz .LBB2_6486
; %bb.6478:                             ;   in Loop: Header=BB2_6446 Depth=3
	s_mov_b32 s57, 0
	s_mov_b64 s[30:31], 0
                                        ; implicit-def: $sgpr34_sgpr35
                                        ; implicit-def: $sgpr36_sgpr37
	s_branch .LBB2_6480
.LBB2_6479:                             ;   in Loop: Header=BB2_6480 Depth=4
	s_or_b64 exec, exec, s[48:49]
	s_and_b64 vcc, exec, vcc
	s_or_b64 s[30:31], vcc, s[30:31]
	s_andn2_b64 vcc, s[34:35], exec
	s_and_b64 s[34:35], s[36:37], exec
	s_or_b64 s[34:35], vcc, s[34:35]
	s_andn2_b64 exec, exec, s[30:31]
	s_cbranch_execz .LBB2_6484
.LBB2_6480:                             ;   Parent Loop BB2_47 Depth=1
                                        ;     Parent Loop BB2_6265 Depth=2
                                        ;       Parent Loop BB2_6446 Depth=3
                                        ; =>      This Inner Loop Header: Depth=4
	s_add_i32 s57, s57, 1
	s_cmpk_lg_i32 s57, 0x2710
	s_cselect_b64 s[38:39], -1, 0
	s_and_b64 vcc, exec, s[38:39]
	s_cbranch_vccz .LBB2_6482
; %bb.6481:                             ;   in Loop: Header=BB2_6480 Depth=4
	s_mov_b64 vcc, -1
	s_or_b64 s[36:37], s[36:37], exec
	s_and_saveexec_b64 s[48:49], s[38:39]
	s_cbranch_execz .LBB2_6479
	s_branch .LBB2_6483
.LBB2_6482:                             ;   in Loop: Header=BB2_6480 Depth=4
	s_trap 2
	ds_read_b64 v[3:4], v0
	s_andn2_b64 s[38:39], s[38:39], exec
	s_mov_b32 s57, 0
	s_waitcnt lgkmcnt(0)
	flat_load_dword v1, v[3:4] glc
	s_waitcnt vmcnt(0) lgkmcnt(0)
	buffer_wbinvl1_vol
	v_cmp_eq_u32_e32 vcc, 0, v1
	s_and_b64 vcc, vcc, exec
	s_or_b64 s[38:39], s[38:39], vcc
	s_mov_b64 vcc, -1
	s_or_b64 s[36:37], s[36:37], exec
	s_and_saveexec_b64 s[48:49], s[38:39]
	s_cbranch_execz .LBB2_6479
.LBB2_6483:                             ;   in Loop: Header=BB2_6480 Depth=4
	s_sleep 1
	s_trap 2
	ds_read_b64 v[3:4], v0
	s_waitcnt lgkmcnt(0)
	s_andn2_b64 s[36:37], s[36:37], exec
	v_cmp_ge_u64_e32 vcc, v[3:4], v[32:33]
	s_orn2_b64 vcc, vcc, exec
	s_branch .LBB2_6479
.LBB2_6484:                             ;   in Loop: Header=BB2_6446 Depth=3
	s_or_b64 exec, exec, s[30:31]
	s_and_saveexec_b64 vcc, s[34:35]
	s_xor_b64 vcc, exec, vcc
	s_cbranch_execz .LBB2_6486
; %bb.6485:                             ;   in Loop: Header=BB2_6446 Depth=3
	v_mov_b32_e32 v1, 1
	ds_write_b32 v0, v1
	s_trap 2
.LBB2_6486:                             ;   in Loop: Header=BB2_6446 Depth=3
	s_or_b64 exec, exec, s[46:47]
	;;#ASMSTART
	s_wakeup
	;;#ASMEND
.LBB2_6487:                             ;   in Loop: Header=BB2_6446 Depth=3
	s_or_b64 exec, exec, s[44:45]
.LBB2_6488:                             ;   in Loop: Header=BB2_6446 Depth=3
	s_andn2_saveexec_b64 s[42:43], s[42:43]
	s_cbranch_execz .LBB2_6490
; %bb.6489:                             ;   in Loop: Header=BB2_6446 Depth=3
	s_waitcnt vmcnt(0) lgkmcnt(0)
	buffer_wbinvl1_vol
	s_barrier
.LBB2_6490:                             ;   in Loop: Header=BB2_6446 Depth=3
	s_or_b64 exec, exec, s[42:43]
.LBB2_6491:                             ;   in Loop: Header=BB2_6446 Depth=3
	s_or_b64 exec, exec, s[26:27]
	v_and_b32_e32 v1, 16, v20
	s_and_saveexec_b64 s[26:27], s[18:19]
	s_xor_b64 s[26:27], exec, s[26:27]
	s_cbranch_execz .LBB2_6495
; %bb.6492:                             ;   in Loop: Header=BB2_6446 Depth=3
	s_trap 2
	ds_read_b32 v1, v0
	v_cmp_lt_i32_e32 vcc, 0, v12
	v_and_b32_e32 v3, 16, v20
	s_waitcnt lgkmcnt(0)
	v_readfirstlane_b32 s42, v1
	s_cmp_eq_u32 s42, 0
	s_cselect_b64 s[42:43], -1, 0
	s_and_b64 s[42:43], vcc, s[42:43]
	v_cmp_ne_u32_e32 vcc, 0, v3
	v_and_b32_e32 v1, 16, v20
	s_and_b64 s[44:45], vcc, s[42:43]
	s_and_saveexec_b64 s[42:43], s[44:45]
	s_cbranch_execz .LBB2_6494
; %bb.6493:                             ;   in Loop: Header=BB2_6446 Depth=3
	v_mov_b32_e32 v1, 1
	s_waitcnt vmcnt(0)
	buffer_wbinvl1_vol
.LBB2_6494:                             ;   in Loop: Header=BB2_6446 Depth=3
	s_or_b64 exec, exec, s[42:43]
.LBB2_6495:                             ;   in Loop: Header=BB2_6446 Depth=3
	s_andn2_saveexec_b64 s[26:27], s[26:27]
	s_cbranch_execz .LBB2_6514
; %bb.6496:                             ;   in Loop: Header=BB2_6446 Depth=3
	s_and_saveexec_b64 s[42:43], s[72:73]
	s_xor_b64 s[42:43], exec, s[42:43]
	s_cbranch_execz .LBB2_6511
; %bb.6497:                             ;   in Loop: Header=BB2_6446 Depth=3
	s_and_saveexec_b64 s[44:45], s[6:7]
	s_cbranch_execz .LBB2_6510
; %bb.6498:                             ;   in Loop: Header=BB2_6446 Depth=3
	s_mov_b64 s[30:31], exec
	v_mbcnt_lo_u32_b32 v3, s30, 0
	v_mbcnt_hi_u32_b32 v3, s31, v3
	v_cmp_eq_u32_e32 vcc, 0, v3
	;;#ASMSTART
	s_waitcnt lgkmcnt(0) vmcnt(0)
	;;#ASMEND
	s_and_saveexec_b64 s[46:47], vcc
	s_cbranch_execz .LBB2_6500
; %bb.6499:                             ;   in Loop: Header=BB2_6446 Depth=3
	s_bcnt1_i32_b64 s57, s[30:31]
	v_mov_b32_e32 v34, s57
	s_waitcnt lgkmcnt(0)
	ds_add_u64 v0, v[34:35]
	s_trap 2
.LBB2_6500:                             ;   in Loop: Header=BB2_6446 Depth=3
	s_or_b64 exec, exec, s[46:47]
	s_trap 2
	ds_read_b64 v[3:4], v0
	s_waitcnt lgkmcnt(0)
	v_add_co_u32_e32 v32, vcc, v32, v17
	v_addc_co_u32_e32 v33, vcc, 0, v33, vcc
	v_cmp_lt_u64_e32 vcc, v[3:4], v[32:33]
	s_and_saveexec_b64 s[46:47], vcc
	s_cbranch_execz .LBB2_6509
; %bb.6501:                             ;   in Loop: Header=BB2_6446 Depth=3
	s_mov_b32 s57, 0
	s_mov_b64 s[30:31], 0
                                        ; implicit-def: $sgpr34_sgpr35
                                        ; implicit-def: $sgpr36_sgpr37
	s_branch .LBB2_6503
.LBB2_6502:                             ;   in Loop: Header=BB2_6503 Depth=4
	s_or_b64 exec, exec, s[48:49]
	s_and_b64 vcc, exec, vcc
	s_or_b64 s[30:31], vcc, s[30:31]
	s_andn2_b64 vcc, s[34:35], exec
	s_and_b64 s[34:35], s[36:37], exec
	s_or_b64 s[34:35], vcc, s[34:35]
	s_andn2_b64 exec, exec, s[30:31]
	s_cbranch_execz .LBB2_6507
.LBB2_6503:                             ;   Parent Loop BB2_47 Depth=1
                                        ;     Parent Loop BB2_6265 Depth=2
                                        ;       Parent Loop BB2_6446 Depth=3
                                        ; =>      This Inner Loop Header: Depth=4
	s_add_i32 s57, s57, 1
	s_cmpk_lg_i32 s57, 0x2710
	s_cselect_b64 s[38:39], -1, 0
	s_and_b64 vcc, exec, s[38:39]
	s_cbranch_vccz .LBB2_6505
; %bb.6504:                             ;   in Loop: Header=BB2_6503 Depth=4
	s_mov_b64 vcc, -1
	s_or_b64 s[36:37], s[36:37], exec
	s_and_saveexec_b64 s[48:49], s[38:39]
	s_cbranch_execz .LBB2_6502
	s_branch .LBB2_6506
.LBB2_6505:                             ;   in Loop: Header=BB2_6503 Depth=4
	s_trap 2
	ds_read_b64 v[3:4], v0
	s_andn2_b64 s[38:39], s[38:39], exec
	s_mov_b32 s57, 0
	s_waitcnt lgkmcnt(0)
	flat_load_dword v3, v[3:4] glc
	s_waitcnt vmcnt(0) lgkmcnt(0)
	buffer_wbinvl1_vol
	v_cmp_eq_u32_e32 vcc, 0, v3
	s_and_b64 vcc, vcc, exec
	s_or_b64 s[38:39], s[38:39], vcc
	s_mov_b64 vcc, -1
	s_or_b64 s[36:37], s[36:37], exec
	s_and_saveexec_b64 s[48:49], s[38:39]
	s_cbranch_execz .LBB2_6502
.LBB2_6506:                             ;   in Loop: Header=BB2_6503 Depth=4
	s_sleep 1
	s_trap 2
	ds_read_b64 v[3:4], v0
	s_waitcnt lgkmcnt(0)
	s_andn2_b64 s[36:37], s[36:37], exec
	v_cmp_ge_u64_e32 vcc, v[3:4], v[32:33]
	s_orn2_b64 vcc, vcc, exec
	s_branch .LBB2_6502
.LBB2_6507:                             ;   in Loop: Header=BB2_6446 Depth=3
	s_or_b64 exec, exec, s[30:31]
	s_and_saveexec_b64 vcc, s[34:35]
	s_xor_b64 vcc, exec, vcc
	s_cbranch_execz .LBB2_6509
; %bb.6508:                             ;   in Loop: Header=BB2_6446 Depth=3
	v_mov_b32_e32 v3, 1
	ds_write_b32 v0, v3
	s_trap 2
.LBB2_6509:                             ;   in Loop: Header=BB2_6446 Depth=3
	s_or_b64 exec, exec, s[46:47]
	;;#ASMSTART
	s_wakeup
	;;#ASMEND
.LBB2_6510:                             ;   in Loop: Header=BB2_6446 Depth=3
	s_or_b64 exec, exec, s[44:45]
.LBB2_6511:                             ;   in Loop: Header=BB2_6446 Depth=3
	s_andn2_saveexec_b64 s[42:43], s[42:43]
	s_cbranch_execz .LBB2_6513
; %bb.6512:                             ;   in Loop: Header=BB2_6446 Depth=3
	;;#ASMSTART
	s_waitcnt lgkmcnt(0) vmcnt(0)
	;;#ASMEND
	s_waitcnt vmcnt(0) lgkmcnt(0)
	s_barrier
.LBB2_6513:                             ;   in Loop: Header=BB2_6446 Depth=3
	s_or_b64 exec, exec, s[42:43]
.LBB2_6514:                             ;   in Loop: Header=BB2_6446 Depth=3
	s_or_b64 exec, exec, s[26:27]
	v_cmp_ne_u32_e32 vcc, 0, v1
	s_xor_b64 s[26:27], s[20:21], -1
	s_and_b64 s[42:43], vcc, s[26:27]
	s_and_saveexec_b64 s[26:27], s[42:43]
	s_cbranch_execz .LBB2_6516
; %bb.6515:                             ;   in Loop: Header=BB2_6446 Depth=3
	buffer_load_dword v3, off, s[0:3], s33 offset:96 ; 4-byte Folded Reload
	buffer_load_dword v4, off, s[0:3], s33 offset:100 ; 4-byte Folded Reload
	v_mov_b32_e32 v1, 1
	s_waitcnt vmcnt(0)
	flat_store_dword v[3:4], v1
.LBB2_6516:                             ;   in Loop: Header=BB2_6446 Depth=3
	s_or_b64 exec, exec, s[26:27]
	v_and_b32_e32 v1, 48, v20
	v_cmp_ne_u32_e32 vcc, 0, v1
	s_and_saveexec_b64 s[26:27], vcc
	s_cbranch_execz .LBB2_6445
; %bb.6517:                             ;   in Loop: Header=BB2_6446 Depth=3
	v_add_co_u32_e32 v50, vcc, 2, v50
	v_addc_co_u32_e32 v51, vcc, 0, v51, vcc
	flat_store_dwordx2 v[22:23], v[50:51]
	s_branch .LBB2_6445
.LBB2_6518:                             ;   in Loop: Header=BB2_6265 Depth=2
	s_or_b64 exec, exec, s[44:45]
	s_or_b64 exec, exec, s[42:43]
	v_cmp_gt_i32_e32 vcc, 2, v10
	s_and_saveexec_b64 s[28:29], vcc
	s_cbranch_execnz .LBB2_6444
.LBB2_6519:                             ;   in Loop: Header=BB2_6265 Depth=2
	s_or_b64 exec, exec, s[28:29]
	s_add_i32 s26, s9, 1
	s_cmp_eq_u32 s9, s86
	s_cbranch_scc0 .LBB2_6521
	s_branch .LBB2_6522
.LBB2_6520:                             ;   in Loop: Header=BB2_6265 Depth=2
	s_or_b64 exec, exec, s[40:41]
	s_or_b64 exec, exec, s[28:29]
	s_add_i32 s26, s9, 1
	s_cmp_eq_u32 s9, s86
	s_cbranch_scc1 .LBB2_6522
.LBB2_6521:                             ;   in Loop: Header=BB2_6265 Depth=2
	s_mov_b32 s9, s26
	s_branch .LBB2_6265
.LBB2_6522:                             ;   in Loop: Header=BB2_47 Depth=1
	buffer_load_dword v6, off, s[0:3], s33 offset:180 ; 4-byte Folded Reload
	buffer_load_dword v7, off, s[0:3], s33 offset:184 ; 4-byte Folded Reload
	v_mov_b32_e32 v10, 0
	s_waitcnt vmcnt(0)
	v_mul_lo_u32 v3, v6, s85
	v_mul_lo_u32 v1, v7, s84
	v_mad_u64_u32 v[8:9], s[26:27], v6, s84, 0
	v_add3_u32 v9, v9, v3, v1
	buffer_load_dword v3, off, s[0:3], s33 offset:164 ; 4-byte Folded Reload
	buffer_load_dword v4, off, s[0:3], s33 offset:168 ; 4-byte Folded Reload
	s_waitcnt vmcnt(0)
	v_sub_co_u32_e32 v3, vcc, v3, v8
	v_subb_co_u32_e32 v4, vcc, v4, v9, vcc
	v_cmp_lt_i64_e32 vcc, v[6:7], v[3:4]
	v_mov_b32_e32 v7, 0
	v_cndmask_b32_e32 v3, v3, v6, vcc
	v_max_i32_e32 v1, 0, v3
	v_add_u32_e32 v4, 31, v1
	v_lshrrev_b32_e32 v4, 1, v4
	v_and_b32_e32 v4, 0x3ffffff0, v4
	v_cmp_lt_i32_e32 vcc, 0, v3
	v_max_i32_e32 v6, s83, v4
	s_and_b64 s[26:27], s[88:89], vcc
	s_and_saveexec_b64 s[28:29], s[26:27]
	s_cbranch_execz .LBB2_6660
; %bb.6523:                             ;   in Loop: Header=BB2_47 Depth=1
	buffer_load_dword v3, off, s[0:3], s33 offset:132 ; 4-byte Folded Reload
	s_mov_b32 s9, 1
	s_mov_b64 s[42:43], -1
	v_mov_b32_e32 v7, 0
	s_mov_b64 s[40:41], 0
	s_waitcnt vmcnt(0)
	v_add_co_u32_e32 v14, vcc, v8, v3
	buffer_load_dword v3, off, s[0:3], s33 offset:136 ; 4-byte Folded Reload
	s_waitcnt vmcnt(0)
	v_addc_co_u32_e32 v15, vcc, v9, v3, vcc
	s_branch .LBB2_6525
.LBB2_6524:                             ;   in Loop: Header=BB2_6525 Depth=2
	s_or_b64 exec, exec, s[26:27]
	v_add_u32_e32 v7, v6, v7
	v_cmp_ge_i32_e32 vcc, v7, v1
	s_xor_b64 s[26:27], s[42:43], -1
	s_or_b64 s[26:27], s[26:27], vcc
	s_and_b64 s[26:27], exec, s[26:27]
	s_or_b64 s[40:41], s[26:27], s[40:41]
	s_mov_b64 s[42:43], 0
	v_mov_b32_e32 v10, s9
	s_mov_b32 s9, 2
	s_andn2_b64 exec, exec, s[40:41]
	s_cbranch_execz .LBB2_6659
.LBB2_6525:                             ;   Parent Loop BB2_47 Depth=1
                                        ; =>  This Loop Header: Depth=2
                                        ;       Child Loop BB2_6533 Depth 3
                                        ;       Child Loop BB2_6557 Depth 3
	;; [unrolled: 1-line block ×9, first 2 shown]
	s_and_saveexec_b64 s[26:27], s[4:5]
	s_cbranch_execz .LBB2_6527
; %bb.6526:                             ;   in Loop: Header=BB2_6525 Depth=2
	s_trap 2
	ds_read_b128 v[8:11], v0
	s_waitcnt lgkmcnt(0)
	v_add_co_u32_e32 v3, vcc, v8, v14
	v_addc_co_u32_e32 v4, vcc, v9, v15, vcc
	v_ashrrev_i32_e32 v8, 31, v7
	v_add_co_u32_e32 v3, vcc, v3, v7
	v_addc_co_u32_e32 v4, vcc, v4, v8, vcc
	ds_write_b64 v0, v[3:4]
	v_add_co_u32_e32 v3, vcc, v10, v14
	v_addc_co_u32_e32 v4, vcc, v11, v15, vcc
	v_add_co_u32_e32 v3, vcc, v3, v7
	v_addc_co_u32_e32 v4, vcc, v4, v8, vcc
	v_cmp_ne_u64_e32 vcc, 0, v[10:11]
	v_cndmask_b32_e32 v4, 0, v4, vcc
	v_cndmask_b32_e32 v3, 0, v3, vcc
	ds_write_b64 v0, v[3:4]
.LBB2_6527:                             ;   in Loop: Header=BB2_6525 Depth=2
	s_or_b64 exec, exec, s[26:27]
	v_and_b32_e32 v3, 4, v20
	v_cmp_ne_u32_e32 vcc, 0, v3
	s_and_saveexec_b64 s[44:45], vcc
	s_cbranch_execz .LBB2_6549
; %bb.6528:                             ;   in Loop: Header=BB2_6525 Depth=2
	v_add_co_u32_e32 v8, vcc, 2, v50
	v_addc_co_u32_e32 v9, vcc, 0, v51, vcc
	s_waitcnt lgkmcnt(0)
	v_cmp_lt_u64_e32 vcc, v[28:29], v[8:9]
	s_and_saveexec_b64 s[46:47], vcc
	s_cbranch_execz .LBB2_6540
; %bb.6529:                             ;   in Loop: Header=BB2_6525 Depth=2
	v_and_b32_e32 v3, 64, v20
	s_mov_b32 s57, 0
	v_cmp_eq_u32_e32 vcc, 0, v3
	s_mov_b64 s[30:31], 0
                                        ; implicit-def: $sgpr34_sgpr35
                                        ; implicit-def: $sgpr36_sgpr37
                                        ; implicit-def: $sgpr38_sgpr39
	s_branch .LBB2_6533
.LBB2_6530:                             ;   in Loop: Header=BB2_6533 Depth=3
	s_waitcnt vmcnt(0) lgkmcnt(0)
	v_cmp_ge_u64_e64 s[26:27], v[28:29], v[8:9]
	s_or_b64 s[52:53], s[52:53], exec
	s_orn2_b64 s[50:51], s[26:27], exec
.LBB2_6531:                             ;   in Loop: Header=BB2_6533 Depth=3
	s_or_b64 exec, exec, s[64:65]
	s_andn2_b64 s[26:27], s[38:39], exec
	s_and_b64 s[38:39], s[52:53], exec
	s_or_b64 s[38:39], s[26:27], s[38:39]
	s_andn2_b64 s[26:27], s[36:37], exec
	s_and_b64 s[36:37], s[50:51], exec
	s_or_b64 s[36:37], s[26:27], s[36:37]
.LBB2_6532:                             ;   in Loop: Header=BB2_6533 Depth=3
	s_or_b64 exec, exec, s[48:49]
	s_and_b64 s[26:27], exec, s[36:37]
	s_or_b64 s[30:31], s[26:27], s[30:31]
	s_andn2_b64 s[26:27], s[34:35], exec
	s_and_b64 s[34:35], s[38:39], exec
	s_or_b64 s[34:35], s[26:27], s[34:35]
	s_andn2_b64 exec, exec, s[30:31]
	s_cbranch_execz .LBB2_6537
.LBB2_6533:                             ;   Parent Loop BB2_47 Depth=1
                                        ;     Parent Loop BB2_6525 Depth=2
                                        ; =>    This Inner Loop Header: Depth=3
	s_sleep 1
	s_waitcnt vmcnt(0) lgkmcnt(0)
	flat_load_dwordx2 v[28:29], v[22:23] glc
	s_or_b64 s[38:39], s[38:39], exec
	s_or_b64 s[36:37], s[36:37], exec
                                        ; implicit-def: $vgpr10
	s_and_saveexec_b64 s[48:49], vcc
	s_cbranch_execz .LBB2_6532
; %bb.6534:                             ;   in Loop: Header=BB2_6533 Depth=3
	s_cmpk_lt_i32 s57, 0x270f
	s_cselect_b64 s[54:55], -1, 0
	s_cmpk_gt_i32 s57, 0x270e
	s_mov_b64 s[50:51], -1
	s_cbranch_scc0 .LBB2_6536
; %bb.6535:                             ;   in Loop: Header=BB2_6533 Depth=3
	s_trap 2
	ds_read_b64 v[3:4], v0
	s_andn2_b64 s[54:55], s[54:55], exec
	s_mov_b32 s57, 0
	s_mov_b64 s[52:53], 0
	s_waitcnt vmcnt(0) lgkmcnt(0)
	flat_load_dword v10, v[3:4] glc
	s_waitcnt vmcnt(0) lgkmcnt(0)
	buffer_wbinvl1_vol
	v_cmp_eq_u32_e64 s[26:27], 0, v10
	s_and_b64 s[26:27], s[26:27], exec
	s_or_b64 s[54:55], s[54:55], s[26:27]
	s_and_saveexec_b64 s[64:65], s[54:55]
	s_cbranch_execz .LBB2_6531
	s_branch .LBB2_6530
.LBB2_6536:                             ;   in Loop: Header=BB2_6533 Depth=3
	s_add_i32 s57, s57, 1
	s_mov_b64 s[52:53], -1
                                        ; implicit-def: $vgpr10
	s_and_saveexec_b64 s[64:65], s[54:55]
	s_cbranch_execz .LBB2_6531
	s_branch .LBB2_6530
.LBB2_6537:                             ;   in Loop: Header=BB2_6525 Depth=2
	s_or_b64 exec, exec, s[30:31]
	s_xor_b64 s[26:27], s[34:35], -1
	s_and_saveexec_b64 vcc, s[26:27]
	s_xor_b64 s[26:27], exec, vcc
	s_cbranch_execz .LBB2_6539
; %bb.6538:                             ;   in Loop: Header=BB2_6525 Depth=2
	v_or_b32_e32 v20, 64, v20
	s_waitcnt lgkmcnt(0)
	ds_write_b32 v0, v10
	s_trap 2
.LBB2_6539:                             ;   in Loop: Header=BB2_6525 Depth=2
	s_or_b64 exec, exec, s[26:27]
.LBB2_6540:                             ;   in Loop: Header=BB2_6525 Depth=2
	s_or_b64 exec, exec, s[46:47]
	v_and_b32_e32 v3, 0x100, v20
	v_cmp_ne_u32_e32 vcc, 0, v3
	v_and_b32_e32 v16, 7, v50
	s_mov_b64 s[26:27], -1
	;;#ASMSTART
	s_wakeup
	;;#ASMEND
                                        ; implicit-def: $vgpr10_vgpr11
	s_and_saveexec_b64 s[46:47], vcc
	s_cbranch_execz .LBB2_6544
; %bb.6541:                             ;   in Loop: Header=BB2_6525 Depth=2
	buffer_load_dword v10, off, s[0:3], s33 offset:80 ; 4-byte Folded Reload
	buffer_load_dword v11, off, s[0:3], s33 offset:84 ; 4-byte Folded Reload
	;; [unrolled: 1-line block ×4, first 2 shown]
	s_waitcnt vmcnt(0)
	v_mad_u64_u32 v[12:13], s[26:27], v16, 24, v[10:11]
                                        ; implicit-def: $vgpr10_vgpr11
	flat_load_dword v3, v[12:13]
	s_waitcnt vmcnt(0) lgkmcnt(0)
	v_cmp_ne_u32_e32 vcc, 1, v3
	v_cmp_eq_u32_e64 s[26:27], 1, v3
	s_and_saveexec_b64 s[30:31], s[26:27]
	s_cbranch_execz .LBB2_6543
; %bb.6542:                             ;   in Loop: Header=BB2_6525 Depth=2
	flat_load_dword v10, v[12:13] offset:4 glc
	s_waitcnt vmcnt(0) lgkmcnt(0)
	v_ashrrev_i32_e32 v11, 31, v10
.LBB2_6543:                             ;   in Loop: Header=BB2_6525 Depth=2
	s_or_b64 exec, exec, s[30:31]
	s_orn2_b64 s[26:27], vcc, exec
.LBB2_6544:                             ;   in Loop: Header=BB2_6525 Depth=2
	s_or_b64 exec, exec, s[46:47]
	s_and_saveexec_b64 s[46:47], s[26:27]
	s_cbranch_execz .LBB2_6546
; %bb.6545:                             ;   in Loop: Header=BB2_6525 Depth=2
	buffer_load_dword v3, off, s[0:3], s33 offset:104 ; 4-byte Folded Reload
	s_waitcnt vmcnt(0)
	v_mad_i64_i32 v[10:11], s[26:27], v16, v3, 0
.LBB2_6546:                             ;   in Loop: Header=BB2_6525 Depth=2
	s_or_b64 exec, exec, s[46:47]
	buffer_load_dword v3, off, s[0:3], s33 offset:72 ; 4-byte Folded Reload
	buffer_load_dword v4, off, s[0:3], s33 offset:76 ; 4-byte Folded Reload
	s_waitcnt vmcnt(0)
	v_add_co_u32_e32 v3, vcc, v3, v10
	v_addc_co_u32_e32 v4, vcc, v4, v11, vcc
	ds_write_b64 v0, v[3:4] offset:720
	v_and_b32_e32 v3, 0x2000, v20
	v_cmp_ne_u32_e32 vcc, 0, v3
	s_and_saveexec_b64 s[26:27], vcc
	s_cbranch_execz .LBB2_6548
; %bb.6547:                             ;   in Loop: Header=BB2_6525 Depth=2
	ds_read_b64 v[3:4], v0 offset:872
	s_waitcnt lgkmcnt(0)
	v_add_co_u32_e32 v3, vcc, 1, v3
	v_addc_co_u32_e32 v4, vcc, 0, v4, vcc
	ds_write_b64 v0, v[3:4] offset:872
.LBB2_6548:                             ;   in Loop: Header=BB2_6525 Depth=2
	s_or_b64 exec, exec, s[26:27]
	v_mov_b32_e32 v51, v9
	v_mov_b32_e32 v50, v8
.LBB2_6549:                             ;   in Loop: Header=BB2_6525 Depth=2
	s_or_b64 exec, exec, s[44:45]
	s_and_saveexec_b64 s[26:27], s[12:13]
	s_cbranch_execz .LBB2_6568
; %bb.6550:                             ;   in Loop: Header=BB2_6525 Depth=2
	s_and_saveexec_b64 s[44:45], s[72:73]
	s_xor_b64 s[44:45], exec, s[44:45]
	s_cbranch_execz .LBB2_6565
; %bb.6551:                             ;   in Loop: Header=BB2_6525 Depth=2
	s_and_saveexec_b64 s[46:47], s[6:7]
	s_cbranch_execz .LBB2_6564
; %bb.6552:                             ;   in Loop: Header=BB2_6525 Depth=2
	s_mov_b64 s[34:35], exec
	v_mbcnt_lo_u32_b32 v3, s34, 0
	v_mbcnt_hi_u32_b32 v3, s35, v3
	v_cmp_eq_u32_e32 vcc, 0, v3
	s_waitcnt vmcnt(0) lgkmcnt(0)
	buffer_wbinvl1_vol
	s_and_saveexec_b64 s[30:31], vcc
	s_cbranch_execz .LBB2_6554
; %bb.6553:                             ;   in Loop: Header=BB2_6525 Depth=2
	s_bcnt1_i32_b64 s57, s[34:35]
	v_mov_b32_e32 v34, s57
	ds_add_u64 v0, v[34:35]
	s_trap 2
.LBB2_6554:                             ;   in Loop: Header=BB2_6525 Depth=2
	s_or_b64 exec, exec, s[30:31]
	s_trap 2
	ds_read_b64 v[3:4], v0
	s_waitcnt lgkmcnt(0)
	v_add_co_u32_e32 v32, vcc, v32, v17
	v_addc_co_u32_e32 v33, vcc, 0, v33, vcc
	v_cmp_lt_u64_e32 vcc, v[3:4], v[32:33]
	s_and_saveexec_b64 s[30:31], vcc
	s_cbranch_execz .LBB2_6563
; %bb.6555:                             ;   in Loop: Header=BB2_6525 Depth=2
	s_mov_b32 s57, 0
	s_mov_b64 s[34:35], 0
                                        ; implicit-def: $sgpr36_sgpr37
                                        ; implicit-def: $sgpr38_sgpr39
	s_branch .LBB2_6557
.LBB2_6556:                             ;   in Loop: Header=BB2_6557 Depth=3
	s_or_b64 exec, exec, s[50:51]
	s_and_b64 vcc, exec, vcc
	s_or_b64 s[34:35], vcc, s[34:35]
	s_andn2_b64 vcc, s[36:37], exec
	s_and_b64 s[36:37], s[38:39], exec
	s_or_b64 s[36:37], vcc, s[36:37]
	s_andn2_b64 exec, exec, s[34:35]
	s_cbranch_execz .LBB2_6561
.LBB2_6557:                             ;   Parent Loop BB2_47 Depth=1
                                        ;     Parent Loop BB2_6525 Depth=2
                                        ; =>    This Inner Loop Header: Depth=3
	s_add_i32 s57, s57, 1
	s_cmpk_lg_i32 s57, 0x2710
	s_cselect_b64 s[48:49], -1, 0
	s_and_b64 vcc, exec, s[48:49]
	s_cbranch_vccz .LBB2_6559
; %bb.6558:                             ;   in Loop: Header=BB2_6557 Depth=3
	s_mov_b64 vcc, -1
	s_or_b64 s[38:39], s[38:39], exec
	s_and_saveexec_b64 s[50:51], s[48:49]
	s_cbranch_execz .LBB2_6556
	s_branch .LBB2_6560
.LBB2_6559:                             ;   in Loop: Header=BB2_6557 Depth=3
	s_trap 2
	ds_read_b64 v[3:4], v0
	s_andn2_b64 s[48:49], s[48:49], exec
	s_mov_b32 s57, 0
	s_waitcnt lgkmcnt(0)
	flat_load_dword v3, v[3:4] glc
	s_waitcnt vmcnt(0) lgkmcnt(0)
	buffer_wbinvl1_vol
	v_cmp_eq_u32_e32 vcc, 0, v3
	s_and_b64 vcc, vcc, exec
	s_or_b64 s[48:49], s[48:49], vcc
	s_mov_b64 vcc, -1
	s_or_b64 s[38:39], s[38:39], exec
	s_and_saveexec_b64 s[50:51], s[48:49]
	s_cbranch_execz .LBB2_6556
.LBB2_6560:                             ;   in Loop: Header=BB2_6557 Depth=3
	s_sleep 1
	s_trap 2
	ds_read_b64 v[3:4], v0
	s_waitcnt lgkmcnt(0)
	s_andn2_b64 s[38:39], s[38:39], exec
	v_cmp_ge_u64_e32 vcc, v[3:4], v[32:33]
	s_orn2_b64 vcc, vcc, exec
	s_branch .LBB2_6556
.LBB2_6561:                             ;   in Loop: Header=BB2_6525 Depth=2
	s_or_b64 exec, exec, s[34:35]
	s_and_saveexec_b64 vcc, s[36:37]
	s_xor_b64 vcc, exec, vcc
	s_cbranch_execz .LBB2_6563
; %bb.6562:                             ;   in Loop: Header=BB2_6525 Depth=2
	v_mov_b32_e32 v3, 1
	ds_write_b32 v0, v3
	s_trap 2
.LBB2_6563:                             ;   in Loop: Header=BB2_6525 Depth=2
	s_or_b64 exec, exec, s[30:31]
	;;#ASMSTART
	s_wakeup
	;;#ASMEND
.LBB2_6564:                             ;   in Loop: Header=BB2_6525 Depth=2
	s_or_b64 exec, exec, s[46:47]
.LBB2_6565:                             ;   in Loop: Header=BB2_6525 Depth=2
	s_andn2_saveexec_b64 s[44:45], s[44:45]
	s_cbranch_execz .LBB2_6567
; %bb.6566:                             ;   in Loop: Header=BB2_6525 Depth=2
	s_waitcnt vmcnt(0) lgkmcnt(0)
	buffer_wbinvl1_vol
	s_barrier
.LBB2_6567:                             ;   in Loop: Header=BB2_6525 Depth=2
	s_or_b64 exec, exec, s[44:45]
.LBB2_6568:                             ;   in Loop: Header=BB2_6525 Depth=2
	s_or_b64 exec, exec, s[26:27]
	s_trap 2
	ds_read_b32 v12, v0
	v_and_b32_e32 v3, 0x4000, v20
	v_cmp_ne_u32_e32 vcc, 0, v3
	s_xor_b64 s[26:27], s[10:11], -1
	s_and_b64 s[44:45], s[26:27], vcc
	s_and_saveexec_b64 s[26:27], s[44:45]
	s_cbranch_execz .LBB2_6587
; %bb.6569:                             ;   in Loop: Header=BB2_6525 Depth=2
	s_and_saveexec_b64 s[44:45], s[72:73]
	s_xor_b64 s[44:45], exec, s[44:45]
	s_cbranch_execz .LBB2_6584
; %bb.6570:                             ;   in Loop: Header=BB2_6525 Depth=2
	s_and_saveexec_b64 s[46:47], s[6:7]
	s_cbranch_execz .LBB2_6583
; %bb.6571:                             ;   in Loop: Header=BB2_6525 Depth=2
	s_mov_b64 s[34:35], exec
	v_mbcnt_lo_u32_b32 v3, s34, 0
	v_mbcnt_hi_u32_b32 v3, s35, v3
	v_cmp_eq_u32_e32 vcc, 0, v3
	s_waitcnt vmcnt(0) lgkmcnt(0)
	buffer_wbinvl1_vol
	s_and_saveexec_b64 s[30:31], vcc
	s_cbranch_execz .LBB2_6573
; %bb.6572:                             ;   in Loop: Header=BB2_6525 Depth=2
	s_bcnt1_i32_b64 s57, s[34:35]
	v_mov_b32_e32 v34, s57
	ds_add_u64 v0, v[34:35]
	s_trap 2
.LBB2_6573:                             ;   in Loop: Header=BB2_6525 Depth=2
	s_or_b64 exec, exec, s[30:31]
	s_trap 2
	ds_read_b64 v[3:4], v0
	s_waitcnt lgkmcnt(0)
	v_add_co_u32_e32 v32, vcc, v32, v17
	v_addc_co_u32_e32 v33, vcc, 0, v33, vcc
	v_cmp_lt_u64_e32 vcc, v[3:4], v[32:33]
	s_and_saveexec_b64 s[30:31], vcc
	s_cbranch_execz .LBB2_6582
; %bb.6574:                             ;   in Loop: Header=BB2_6525 Depth=2
	s_mov_b32 s57, 0
	s_mov_b64 s[34:35], 0
                                        ; implicit-def: $sgpr36_sgpr37
                                        ; implicit-def: $sgpr38_sgpr39
	s_branch .LBB2_6576
.LBB2_6575:                             ;   in Loop: Header=BB2_6576 Depth=3
	s_or_b64 exec, exec, s[50:51]
	s_and_b64 vcc, exec, vcc
	s_or_b64 s[34:35], vcc, s[34:35]
	s_andn2_b64 vcc, s[36:37], exec
	s_and_b64 s[36:37], s[38:39], exec
	s_or_b64 s[36:37], vcc, s[36:37]
	s_andn2_b64 exec, exec, s[34:35]
	s_cbranch_execz .LBB2_6580
.LBB2_6576:                             ;   Parent Loop BB2_47 Depth=1
                                        ;     Parent Loop BB2_6525 Depth=2
                                        ; =>    This Inner Loop Header: Depth=3
	s_add_i32 s57, s57, 1
	s_cmpk_lg_i32 s57, 0x2710
	s_cselect_b64 s[48:49], -1, 0
	s_and_b64 vcc, exec, s[48:49]
	s_cbranch_vccz .LBB2_6578
; %bb.6577:                             ;   in Loop: Header=BB2_6576 Depth=3
	s_mov_b64 vcc, -1
	s_or_b64 s[38:39], s[38:39], exec
	s_and_saveexec_b64 s[50:51], s[48:49]
	s_cbranch_execz .LBB2_6575
	s_branch .LBB2_6579
.LBB2_6578:                             ;   in Loop: Header=BB2_6576 Depth=3
	s_trap 2
	ds_read_b64 v[3:4], v0
	s_andn2_b64 s[48:49], s[48:49], exec
	s_mov_b32 s57, 0
	s_waitcnt lgkmcnt(0)
	flat_load_dword v3, v[3:4] glc
	s_waitcnt vmcnt(0) lgkmcnt(0)
	buffer_wbinvl1_vol
	v_cmp_eq_u32_e32 vcc, 0, v3
	s_and_b64 vcc, vcc, exec
	s_or_b64 s[48:49], s[48:49], vcc
	s_mov_b64 vcc, -1
	s_or_b64 s[38:39], s[38:39], exec
	s_and_saveexec_b64 s[50:51], s[48:49]
	s_cbranch_execz .LBB2_6575
.LBB2_6579:                             ;   in Loop: Header=BB2_6576 Depth=3
	s_sleep 1
	s_trap 2
	ds_read_b64 v[3:4], v0
	s_waitcnt lgkmcnt(0)
	s_andn2_b64 s[38:39], s[38:39], exec
	v_cmp_ge_u64_e32 vcc, v[3:4], v[32:33]
	s_orn2_b64 vcc, vcc, exec
	s_branch .LBB2_6575
.LBB2_6580:                             ;   in Loop: Header=BB2_6525 Depth=2
	s_or_b64 exec, exec, s[34:35]
	s_and_saveexec_b64 vcc, s[36:37]
	s_xor_b64 vcc, exec, vcc
	s_cbranch_execz .LBB2_6582
; %bb.6581:                             ;   in Loop: Header=BB2_6525 Depth=2
	v_mov_b32_e32 v3, 1
	ds_write_b32 v0, v3
	s_trap 2
.LBB2_6582:                             ;   in Loop: Header=BB2_6525 Depth=2
	s_or_b64 exec, exec, s[30:31]
	;;#ASMSTART
	s_wakeup
	;;#ASMEND
.LBB2_6583:                             ;   in Loop: Header=BB2_6525 Depth=2
	s_or_b64 exec, exec, s[46:47]
.LBB2_6584:                             ;   in Loop: Header=BB2_6525 Depth=2
	s_andn2_saveexec_b64 s[44:45], s[44:45]
	s_cbranch_execz .LBB2_6586
; %bb.6585:                             ;   in Loop: Header=BB2_6525 Depth=2
	s_waitcnt vmcnt(0) lgkmcnt(0)
	buffer_wbinvl1_vol
	s_barrier
.LBB2_6586:                             ;   in Loop: Header=BB2_6525 Depth=2
	s_or_b64 exec, exec, s[44:45]
.LBB2_6587:                             ;   in Loop: Header=BB2_6525 Depth=2
	s_or_b64 exec, exec, s[26:27]
	s_trap 2
	ds_read_b64 v[8:9], v0
	v_sub_u32_e32 v3, v1, v7
	v_min_i32_e32 v6, v6, v3
	s_waitcnt lgkmcnt(0)
	v_cmp_eq_u64_e32 vcc, 0, v[8:9]
	s_cbranch_vccnz .LBB2_6595
; %bb.6588:                             ;   in Loop: Header=BB2_6525 Depth=2
	s_trap 2
	ds_read_b64 v[10:11], v0
	s_waitcnt lgkmcnt(0)
	v_cmp_eq_u64_e32 vcc, 0, v[10:11]
	s_cbranch_vccnz .LBB2_6595
; %bb.6589:                             ;   in Loop: Header=BB2_6525 Depth=2
	s_mov_b64 s[26:27], -1
	s_and_saveexec_b64 s[44:45], s[16:17]
	s_cbranch_execz .LBB2_6591
; %bb.6590:                             ;   in Loop: Header=BB2_6525 Depth=2
	ds_read_b32 v3, v0 offset:720
	s_waitcnt lgkmcnt(0)
	v_and_b32_e32 v3, 15, v3
	v_cmp_eq_u32_e32 vcc, 0, v3
	s_orn2_b64 s[26:27], vcc, exec
.LBB2_6591:                             ;   in Loop: Header=BB2_6525 Depth=2
	s_or_b64 exec, exec, s[44:45]
	s_and_saveexec_b64 s[44:45], s[14:15]
	s_cbranch_execz .LBB2_6593
; %bb.6592:                             ;   in Loop: Header=BB2_6525 Depth=2
	ds_read_b32 v3, v0 offset:784
	s_waitcnt lgkmcnt(0)
	v_and_b32_e32 v3, 15, v3
	v_cmp_eq_u32_e32 vcc, 0, v3
	s_and_b64 s[46:47], s[26:27], vcc
	s_andn2_b64 s[26:27], s[26:27], exec
	s_and_b64 s[46:47], s[46:47], exec
	s_or_b64 s[26:27], s[26:27], s[46:47]
.LBB2_6593:                             ;   in Loop: Header=BB2_6525 Depth=2
	s_or_b64 exec, exec, s[44:45]
	buffer_load_dword v18, off, s[0:3], s33 offset:128 ; 4-byte Folded Reload
	v_cmp_eq_u32_e32 vcc, 0, v12
	s_xor_b64 s[26:27], s[26:27], -1
	v_cndmask_b32_e32 v16, 0, v6, vcc
	v_cndmask_b32_e64 v3, 0, 1, s[26:27]
	s_mov_b64 s[46:47], -1
	v_cmp_ne_u32_e32 vcc, 0, v3
	v_mov_b32_e32 v12, 0
	v_mov_b32_e32 v13, v16
	s_cbranch_vccz .LBB2_6600
; %bb.6594:                             ;   in Loop: Header=BB2_6525 Depth=2
	s_and_saveexec_b64 s[26:27], s[46:47]
	s_cbranch_execnz .LBB2_6611
	s_branch .LBB2_6619
.LBB2_6595:                             ;   in Loop: Header=BB2_6525 Depth=2
	s_mov_b64 s[26:27], 0
	s_and_saveexec_b64 s[44:45], s[12:13]
	s_cbranch_execnz .LBB2_6620
.LBB2_6596:                             ;   in Loop: Header=BB2_6525 Depth=2
	s_or_b64 exec, exec, s[44:45]
	s_and_saveexec_b64 s[44:45], s[18:19]
	s_xor_b64 s[44:45], exec, s[44:45]
	s_cbranch_execz .LBB2_6638
.LBB2_6597:                             ;   in Loop: Header=BB2_6525 Depth=2
	v_and_b32_e32 v3, 16, v20
	v_cmp_ne_u32_e32 vcc, 0, v3
	s_and_b64 s[46:47], vcc, s[26:27]
	s_and_saveexec_b64 s[26:27], s[46:47]
	s_cbranch_execz .LBB2_6599
; %bb.6598:                             ;   in Loop: Header=BB2_6525 Depth=2
	s_waitcnt vmcnt(0) lgkmcnt(0)
	buffer_wbinvl1_vol
.LBB2_6599:                             ;   in Loop: Header=BB2_6525 Depth=2
	s_or_b64 exec, exec, s[26:27]
	s_andn2_saveexec_b64 s[26:27], s[44:45]
	s_cbranch_execz .LBB2_6657
	s_branch .LBB2_6639
.LBB2_6600:                             ;   in Loop: Header=BB2_6525 Depth=2
	v_ashrrev_i32_e32 v3, 31, v16
	v_lshrrev_b32_e32 v3, 21, v3
	v_add_u32_e32 v3, v16, v3
	s_waitcnt vmcnt(0)
	v_ashrrev_i32_e32 v18, 11, v3
	buffer_load_dword v3, off, s[0:3], s33 offset:144 ; 4-byte Folded Reload
	s_waitcnt vmcnt(0)
	v_sub_u32_e32 v21, v18, v3
	v_cmp_lt_i32_e32 vcc, 0, v21
	s_and_saveexec_b64 s[26:27], vcc
	s_cbranch_execz .LBB2_6604
; %bb.6601:                             ;   in Loop: Header=BB2_6525 Depth=2
	buffer_load_dword v12, off, s[0:3], s33 offset:196 ; 4-byte Folded Reload
	buffer_load_dword v13, off, s[0:3], s33 offset:200 ; 4-byte Folded Reload
	s_mov_b64 s[44:45], 0
	v_lshlrev_b32_e32 v19, 11, v17
.LBB2_6602:                             ;   Parent Loop BB2_47 Depth=1
                                        ;     Parent Loop BB2_6525 Depth=2
                                        ; =>    This Inner Loop Header: Depth=3
	s_waitcnt vmcnt(1)
	v_add_co_u32_e32 v3, vcc, v8, v12
	s_waitcnt vmcnt(0)
	v_addc_co_u32_e32 v4, vcc, v9, v13, vcc
	global_load_dwordx4 v[24:27], v[3:4], off glc slc
	global_load_dwordx4 v[36:39], v[3:4], off offset:1024 glc slc
	v_add_co_u32_e32 v3, vcc, v10, v12
	v_addc_co_u32_e32 v4, vcc, v11, v13, vcc
	v_add_co_u32_e32 v12, vcc, v12, v19
	v_sub_u32_e32 v21, v21, v17
	v_addc_co_u32_e32 v13, vcc, 0, v13, vcc
	v_cmp_gt_i32_e32 vcc, 1, v21
	s_or_b64 s[44:45], vcc, s[44:45]
	s_waitcnt vmcnt(1)
	global_store_dwordx4 v[3:4], v[24:27], off glc slc
	s_waitcnt vmcnt(1)
	global_store_dwordx4 v[3:4], v[36:39], off offset:1024 glc slc
	s_andn2_b64 exec, exec, s[44:45]
	s_cbranch_execnz .LBB2_6602
; %bb.6603:                             ;   in Loop: Header=BB2_6525 Depth=2
	s_or_b64 exec, exec, s[44:45]
	buffer_load_dword v26, off, s[0:3], s33 offset:56 ; 4-byte Folded Reload
.LBB2_6604:                             ;   in Loop: Header=BB2_6525 Depth=2
	s_or_b64 exec, exec, s[26:27]
	v_lshlrev_b32_e32 v19, 11, v18
	v_cmp_ne_u32_e32 vcc, v16, v19
	s_mov_b64 s[46:47], 0
	v_mov_b32_e32 v12, 0
                                        ; implicit-def: $vgpr13
                                        ; implicit-def: $vgpr18
	s_and_saveexec_b64 s[44:45], vcc
	s_cbranch_execz .LBB2_6610
; %bb.6605:                             ;   in Loop: Header=BB2_6525 Depth=2
	buffer_load_dword v12, off, s[0:3], s33 offset:148 ; 4-byte Folded Reload
	v_lshlrev_b32_e32 v4, 6, v21
	v_sub_u32_e32 v3, v16, v19
	s_waitcnt vmcnt(0)
	v_sub_u32_e32 v4, v12, v4
	v_ashrrev_i32_e32 v12, 31, v4
	v_lshrrev_b32_e32 v12, 26, v12
	v_add_u32_e32 v12, v4, v12
	v_ashrrev_i32_e32 v21, 6, v12
	v_and_b32_e32 v12, 0xffffffc0, v12
	v_sub_u32_e32 v18, v4, v12
	v_lshlrev_b32_e32 v4, 4, v18
	v_lshl_add_u32 v25, v21, 10, v4
	v_ashrrev_i32_e32 v4, 31, v3
	v_lshrrev_b32_e32 v4, 22, v4
	v_add_u32_e32 v4, v3, v4
	v_and_b32_e32 v12, 0xfffffc00, v4
	v_sub_u32_e32 v13, v3, v12
	v_ashrrev_i32_e32 v26, 10, v4
	v_cmp_lt_i32_e32 vcc, 15, v13
	v_sub_u32_e32 v24, v3, v25
	v_addc_co_u32_e64 v3, s[26:27], 0, v26, vcc
	v_sub_u32_e32 v21, v3, v21
	v_cmp_lt_i32_e64 s[26:27], 15, v24
	s_and_saveexec_b64 s[46:47], s[26:27]
	s_cbranch_execz .LBB2_6609
; %bb.6606:                             ;   in Loop: Header=BB2_6525 Depth=2
	v_add_u32_e32 v25, v25, v19
	v_ashrrev_i32_e32 v26, 31, v25
	s_mov_b64 s[30:31], 0
.LBB2_6607:                             ;   Parent Loop BB2_47 Depth=1
                                        ;     Parent Loop BB2_6525 Depth=2
                                        ; =>    This Inner Loop Header: Depth=3
	v_add_co_u32_e64 v3, s[26:27], v8, v25
	v_addc_co_u32_e64 v4, s[26:27], v9, v26, s[26:27]
	global_load_dwordx4 v[36:39], v[3:4], off glc slc
	v_add_co_u32_e64 v3, s[26:27], v10, v25
	v_addc_co_u32_e64 v4, s[26:27], v11, v26, s[26:27]
	v_add_co_u32_e64 v25, s[26:27], v25, v5
	v_sub_u32_e32 v24, v24, v5
	v_addc_co_u32_e64 v26, s[26:27], 0, v26, s[26:27]
	v_cmp_gt_i32_e64 s[26:27], 16, v24
	v_sub_u32_e32 v21, v21, v17
	s_or_b64 s[30:31], s[26:27], s[30:31]
	s_waitcnt vmcnt(0)
	global_store_dwordx4 v[3:4], v[36:39], off glc slc
	s_andn2_b64 exec, exec, s[30:31]
	s_cbranch_execnz .LBB2_6607
; %bb.6608:                             ;   in Loop: Header=BB2_6525 Depth=2
	s_or_b64 exec, exec, s[30:31]
.LBB2_6609:                             ;   in Loop: Header=BB2_6525 Depth=2
	s_or_b64 exec, exec, s[46:47]
	buffer_load_dword v26, off, s[0:3], s33 offset:56 ; 4-byte Folded Reload
	v_and_b32_e32 v3, 15, v16
	v_sub_u32_e32 v4, v13, v3
	v_cndmask_b32_e32 v4, 0, v4, vcc
	v_cndmask_b32_e32 v13, v13, v3, vcc
	v_cmp_lt_i32_e32 vcc, 0, v21
	v_cndmask_b32_e32 v3, 0, v17, vcc
	v_sub_u32_e32 v3, v3, v21
	v_cmp_ne_u32_e32 vcc, 0, v13
	v_add3_u32 v12, v12, v19, v4
	v_lshl_add_u32 v18, v3, 6, v18
	s_and_b64 s[46:47], vcc, exec
.LBB2_6610:                             ;   in Loop: Header=BB2_6525 Depth=2
	s_or_b64 exec, exec, s[44:45]
	s_and_saveexec_b64 s[26:27], s[46:47]
	s_cbranch_execz .LBB2_6619
.LBB2_6611:                             ;   in Loop: Header=BB2_6525 Depth=2
	s_waitcnt vmcnt(0)
	v_ashrrev_i32_e32 v3, 31, v18
	v_lshrrev_b32_e32 v3, 26, v3
	v_add_u32_e32 v25, v18, v3
	v_ashrrev_i32_e32 v3, 31, v13
	v_lshrrev_b32_e32 v3, 23, v3
	v_add_u32_e32 v3, v13, v3
	v_ashrrev_i32_e32 v19, 6, v25
	v_ashrrev_i32_e32 v24, 9, v3
	v_sub_u32_e32 v21, v24, v19
	v_cmp_lt_i32_e32 vcc, 0, v21
	s_and_saveexec_b64 s[44:45], vcc
	s_cbranch_execz .LBB2_6615
; %bb.6612:                             ;   in Loop: Header=BB2_6525 Depth=2
	v_and_b32_e32 v3, 0xffffffc0, v25
	v_sub_u32_e32 v3, v18, v3
	v_lshlrev_b32_e32 v4, 9, v19
	v_add3_u32 v25, v12, v3, v4
	v_ashrrev_i32_e32 v26, 31, v25
	s_mov_b64 s[46:47], 0
.LBB2_6613:                             ;   Parent Loop BB2_47 Depth=1
                                        ;     Parent Loop BB2_6525 Depth=2
                                        ; =>    This Inner Loop Header: Depth=3
	v_add_co_u32_e32 v3, vcc, v25, v8
	v_addc_co_u32_e32 v4, vcc, v26, v9, vcc
	flat_load_ubyte v27, v[3:4] glc slc
	flat_load_ubyte v30, v[3:4] offset:64 glc slc
	flat_load_ubyte v31, v[3:4] offset:128 glc slc
	;; [unrolled: 1-line block ×7, first 2 shown]
	v_add_co_u32_e32 v3, vcc, v25, v10
	v_addc_co_u32_e32 v4, vcc, v26, v11, vcc
	v_add_co_u32_e32 v8, vcc, v8, v2
	v_addc_co_u32_e32 v9, vcc, 0, v9, vcc
	v_add_co_u32_e32 v10, vcc, v10, v2
	v_sub_u32_e32 v21, v21, v17
	v_addc_co_u32_e32 v11, vcc, 0, v11, vcc
	v_cmp_gt_i32_e32 vcc, 1, v21
	s_or_b64 s[46:47], vcc, s[46:47]
	s_waitcnt vmcnt(0) lgkmcnt(0)
	flat_store_byte v[3:4], v27 glc slc
	flat_store_byte v[3:4], v30 offset:64 glc slc
	flat_store_byte v[3:4], v31 offset:128 glc slc
	;; [unrolled: 1-line block ×7, first 2 shown]
	s_andn2_b64 exec, exec, s[46:47]
	s_cbranch_execnz .LBB2_6613
; %bb.6614:                             ;   in Loop: Header=BB2_6525 Depth=2
	s_or_b64 exec, exec, s[46:47]
	buffer_load_dword v26, off, s[0:3], s33 offset:56 ; 4-byte Folded Reload
.LBB2_6615:                             ;   in Loop: Header=BB2_6525 Depth=2
	s_or_b64 exec, exec, s[44:45]
	v_lshlrev_b32_e32 v8, 9, v24
	v_cmp_ne_u32_e32 vcc, v13, v8
	s_and_b64 exec, exec, vcc
	s_cbranch_execz .LBB2_6619
; %bb.6616:                             ;   in Loop: Header=BB2_6525 Depth=2
	v_lshlrev_b32_e32 v3, 6, v19
	v_sub_u32_e32 v3, v18, v3
	v_lshlrev_b32_e32 v4, 6, v21
	v_sub_u32_e32 v3, v3, v4
	v_add_u32_e32 v8, v8, v3
	v_sub_u32_e32 v10, v13, v8
	v_cmp_lt_i32_e32 vcc, 0, v10
	s_and_b64 exec, exec, vcc
	s_cbranch_execz .LBB2_6619
; %bb.6617:                             ;   in Loop: Header=BB2_6525 Depth=2
	v_add_u32_e32 v11, v8, v12
	s_trap 2
	ds_read_b64 v[8:9], v0
	v_ashrrev_i32_e32 v12, 31, v11
	s_mov_b64 s[44:45], 0
.LBB2_6618:                             ;   Parent Loop BB2_47 Depth=1
                                        ;     Parent Loop BB2_6525 Depth=2
                                        ; =>    This Inner Loop Header: Depth=3
	s_waitcnt lgkmcnt(0)
	v_add_co_u32_e32 v3, vcc, v8, v11
	v_addc_co_u32_e32 v4, vcc, v9, v12, vcc
	flat_load_ubyte v13, v[3:4] glc slc
	s_waitcnt vmcnt(0)
	v_add_co_u32_e32 v11, vcc, v11, v26
	v_sub_u32_e32 v10, v10, v26
	v_addc_co_u32_e32 v12, vcc, 0, v12, vcc
	v_cmp_gt_i32_e32 vcc, 1, v10
	s_or_b64 s[44:45], vcc, s[44:45]
	s_waitcnt lgkmcnt(0)
	flat_store_byte v[3:4], v13 glc slc
	s_andn2_b64 exec, exec, s[44:45]
	s_cbranch_execnz .LBB2_6618
.LBB2_6619:                             ;   in Loop: Header=BB2_6525 Depth=2
	s_or_b64 exec, exec, s[26:27]
	v_cmp_lt_i32_e64 s[26:27], 0, v16
	s_and_saveexec_b64 s[44:45], s[12:13]
	s_cbranch_execz .LBB2_6596
.LBB2_6620:                             ;   in Loop: Header=BB2_6525 Depth=2
	s_and_saveexec_b64 s[46:47], s[72:73]
	s_xor_b64 s[46:47], exec, s[46:47]
	s_cbranch_execz .LBB2_6635
; %bb.6621:                             ;   in Loop: Header=BB2_6525 Depth=2
	s_and_saveexec_b64 s[30:31], s[6:7]
	s_cbranch_execz .LBB2_6634
; %bb.6622:                             ;   in Loop: Header=BB2_6525 Depth=2
	s_mov_b64 s[36:37], exec
	v_mbcnt_lo_u32_b32 v3, s36, 0
	v_mbcnt_hi_u32_b32 v3, s37, v3
	v_cmp_eq_u32_e32 vcc, 0, v3
	s_waitcnt vmcnt(0) lgkmcnt(0)
	buffer_wbinvl1_vol
	s_and_saveexec_b64 s[34:35], vcc
	s_cbranch_execz .LBB2_6624
; %bb.6623:                             ;   in Loop: Header=BB2_6525 Depth=2
	s_bcnt1_i32_b64 s57, s[36:37]
	v_mov_b32_e32 v34, s57
	ds_add_u64 v0, v[34:35]
	s_trap 2
.LBB2_6624:                             ;   in Loop: Header=BB2_6525 Depth=2
	s_or_b64 exec, exec, s[34:35]
	s_trap 2
	ds_read_b64 v[3:4], v0
	s_waitcnt lgkmcnt(0)
	v_add_co_u32_e32 v32, vcc, v32, v17
	v_addc_co_u32_e32 v33, vcc, 0, v33, vcc
	v_cmp_lt_u64_e32 vcc, v[3:4], v[32:33]
	s_and_saveexec_b64 s[34:35], vcc
	s_cbranch_execz .LBB2_6633
; %bb.6625:                             ;   in Loop: Header=BB2_6525 Depth=2
	s_mov_b32 s57, 0
	s_mov_b64 s[36:37], 0
                                        ; implicit-def: $sgpr38_sgpr39
                                        ; implicit-def: $sgpr48_sgpr49
	s_branch .LBB2_6627
.LBB2_6626:                             ;   in Loop: Header=BB2_6627 Depth=3
	s_or_b64 exec, exec, s[52:53]
	s_and_b64 vcc, exec, vcc
	s_or_b64 s[36:37], vcc, s[36:37]
	s_andn2_b64 vcc, s[38:39], exec
	s_and_b64 s[38:39], s[48:49], exec
	s_or_b64 s[38:39], vcc, s[38:39]
	s_andn2_b64 exec, exec, s[36:37]
	s_cbranch_execz .LBB2_6631
.LBB2_6627:                             ;   Parent Loop BB2_47 Depth=1
                                        ;     Parent Loop BB2_6525 Depth=2
                                        ; =>    This Inner Loop Header: Depth=3
	s_add_i32 s57, s57, 1
	s_cmpk_lg_i32 s57, 0x2710
	s_cselect_b64 s[50:51], -1, 0
	s_and_b64 vcc, exec, s[50:51]
	s_cbranch_vccz .LBB2_6629
; %bb.6628:                             ;   in Loop: Header=BB2_6627 Depth=3
	s_mov_b64 vcc, -1
	s_or_b64 s[48:49], s[48:49], exec
	s_and_saveexec_b64 s[52:53], s[50:51]
	s_cbranch_execz .LBB2_6626
	s_branch .LBB2_6630
.LBB2_6629:                             ;   in Loop: Header=BB2_6627 Depth=3
	s_trap 2
	ds_read_b64 v[3:4], v0
	s_andn2_b64 s[50:51], s[50:51], exec
	s_mov_b32 s57, 0
	s_waitcnt lgkmcnt(0)
	flat_load_dword v3, v[3:4] glc
	s_waitcnt vmcnt(0) lgkmcnt(0)
	buffer_wbinvl1_vol
	v_cmp_eq_u32_e32 vcc, 0, v3
	s_and_b64 vcc, vcc, exec
	s_or_b64 s[50:51], s[50:51], vcc
	s_mov_b64 vcc, -1
	s_or_b64 s[48:49], s[48:49], exec
	s_and_saveexec_b64 s[52:53], s[50:51]
	s_cbranch_execz .LBB2_6626
.LBB2_6630:                             ;   in Loop: Header=BB2_6627 Depth=3
	s_sleep 1
	s_trap 2
	ds_read_b64 v[3:4], v0
	s_waitcnt lgkmcnt(0)
	s_andn2_b64 s[48:49], s[48:49], exec
	v_cmp_ge_u64_e32 vcc, v[3:4], v[32:33]
	s_orn2_b64 vcc, vcc, exec
	s_branch .LBB2_6626
.LBB2_6631:                             ;   in Loop: Header=BB2_6525 Depth=2
	s_or_b64 exec, exec, s[36:37]
	s_and_saveexec_b64 vcc, s[38:39]
	s_xor_b64 vcc, exec, vcc
	s_cbranch_execz .LBB2_6633
; %bb.6632:                             ;   in Loop: Header=BB2_6525 Depth=2
	v_mov_b32_e32 v3, 1
	ds_write_b32 v0, v3
	s_trap 2
.LBB2_6633:                             ;   in Loop: Header=BB2_6525 Depth=2
	s_or_b64 exec, exec, s[34:35]
	;;#ASMSTART
	s_wakeup
	;;#ASMEND
.LBB2_6634:                             ;   in Loop: Header=BB2_6525 Depth=2
	s_or_b64 exec, exec, s[30:31]
.LBB2_6635:                             ;   in Loop: Header=BB2_6525 Depth=2
	s_andn2_saveexec_b64 s[46:47], s[46:47]
	s_cbranch_execz .LBB2_6637
; %bb.6636:                             ;   in Loop: Header=BB2_6525 Depth=2
	s_waitcnt vmcnt(0) lgkmcnt(0)
	buffer_wbinvl1_vol
	s_barrier
.LBB2_6637:                             ;   in Loop: Header=BB2_6525 Depth=2
	s_or_b64 exec, exec, s[46:47]
	s_or_b64 exec, exec, s[44:45]
	s_and_saveexec_b64 s[44:45], s[18:19]
	s_xor_b64 s[44:45], exec, s[44:45]
	s_cbranch_execnz .LBB2_6597
.LBB2_6638:                             ;   in Loop: Header=BB2_6525 Depth=2
	s_andn2_saveexec_b64 s[26:27], s[44:45]
	s_cbranch_execz .LBB2_6657
.LBB2_6639:                             ;   in Loop: Header=BB2_6525 Depth=2
	s_and_saveexec_b64 s[44:45], s[72:73]
	s_xor_b64 s[44:45], exec, s[44:45]
	s_cbranch_execz .LBB2_6654
; %bb.6640:                             ;   in Loop: Header=BB2_6525 Depth=2
	s_and_saveexec_b64 s[46:47], s[6:7]
	s_cbranch_execz .LBB2_6653
; %bb.6641:                             ;   in Loop: Header=BB2_6525 Depth=2
	s_mov_b64 s[34:35], exec
	v_mbcnt_lo_u32_b32 v3, s34, 0
	v_mbcnt_hi_u32_b32 v3, s35, v3
	v_cmp_eq_u32_e32 vcc, 0, v3
	;;#ASMSTART
	s_waitcnt lgkmcnt(0) vmcnt(0)
	;;#ASMEND
	s_and_saveexec_b64 s[30:31], vcc
	s_cbranch_execz .LBB2_6643
; %bb.6642:                             ;   in Loop: Header=BB2_6525 Depth=2
	s_bcnt1_i32_b64 s57, s[34:35]
	v_mov_b32_e32 v34, s57
	s_waitcnt lgkmcnt(0)
	ds_add_u64 v0, v[34:35]
	s_trap 2
.LBB2_6643:                             ;   in Loop: Header=BB2_6525 Depth=2
	s_or_b64 exec, exec, s[30:31]
	s_trap 2
	ds_read_b64 v[3:4], v0
	s_waitcnt lgkmcnt(0)
	v_add_co_u32_e32 v32, vcc, v32, v17
	v_addc_co_u32_e32 v33, vcc, 0, v33, vcc
	v_cmp_lt_u64_e32 vcc, v[3:4], v[32:33]
	s_and_saveexec_b64 s[30:31], vcc
	s_cbranch_execz .LBB2_6652
; %bb.6644:                             ;   in Loop: Header=BB2_6525 Depth=2
	s_mov_b32 s57, 0
	s_mov_b64 s[34:35], 0
                                        ; implicit-def: $sgpr36_sgpr37
                                        ; implicit-def: $sgpr38_sgpr39
	s_branch .LBB2_6646
.LBB2_6645:                             ;   in Loop: Header=BB2_6646 Depth=3
	s_or_b64 exec, exec, s[50:51]
	s_and_b64 vcc, exec, vcc
	s_or_b64 s[34:35], vcc, s[34:35]
	s_andn2_b64 vcc, s[36:37], exec
	s_and_b64 s[36:37], s[38:39], exec
	s_or_b64 s[36:37], vcc, s[36:37]
	s_andn2_b64 exec, exec, s[34:35]
	s_cbranch_execz .LBB2_6650
.LBB2_6646:                             ;   Parent Loop BB2_47 Depth=1
                                        ;     Parent Loop BB2_6525 Depth=2
                                        ; =>    This Inner Loop Header: Depth=3
	s_add_i32 s57, s57, 1
	s_cmpk_lg_i32 s57, 0x2710
	s_cselect_b64 s[48:49], -1, 0
	s_and_b64 vcc, exec, s[48:49]
	s_cbranch_vccz .LBB2_6648
; %bb.6647:                             ;   in Loop: Header=BB2_6646 Depth=3
	s_mov_b64 vcc, -1
	s_or_b64 s[38:39], s[38:39], exec
	s_and_saveexec_b64 s[50:51], s[48:49]
	s_cbranch_execz .LBB2_6645
	s_branch .LBB2_6649
.LBB2_6648:                             ;   in Loop: Header=BB2_6646 Depth=3
	s_trap 2
	ds_read_b64 v[3:4], v0
	s_andn2_b64 s[48:49], s[48:49], exec
	s_mov_b32 s57, 0
	s_waitcnt vmcnt(0) lgkmcnt(0)
	flat_load_dword v3, v[3:4] glc
	s_waitcnt vmcnt(0) lgkmcnt(0)
	buffer_wbinvl1_vol
	v_cmp_eq_u32_e32 vcc, 0, v3
	s_and_b64 vcc, vcc, exec
	s_or_b64 s[48:49], s[48:49], vcc
	s_mov_b64 vcc, -1
	s_or_b64 s[38:39], s[38:39], exec
	s_and_saveexec_b64 s[50:51], s[48:49]
	s_cbranch_execz .LBB2_6645
.LBB2_6649:                             ;   in Loop: Header=BB2_6646 Depth=3
	s_sleep 1
	s_trap 2
	ds_read_b64 v[3:4], v0
	s_waitcnt lgkmcnt(0)
	s_andn2_b64 s[38:39], s[38:39], exec
	v_cmp_ge_u64_e32 vcc, v[3:4], v[32:33]
	s_orn2_b64 vcc, vcc, exec
	s_branch .LBB2_6645
.LBB2_6650:                             ;   in Loop: Header=BB2_6525 Depth=2
	s_or_b64 exec, exec, s[34:35]
	s_and_saveexec_b64 vcc, s[36:37]
	s_xor_b64 vcc, exec, vcc
	s_cbranch_execz .LBB2_6652
; %bb.6651:                             ;   in Loop: Header=BB2_6525 Depth=2
	v_mov_b32_e32 v3, 1
	ds_write_b32 v0, v3
	s_trap 2
.LBB2_6652:                             ;   in Loop: Header=BB2_6525 Depth=2
	s_or_b64 exec, exec, s[30:31]
	;;#ASMSTART
	s_wakeup
	;;#ASMEND
.LBB2_6653:                             ;   in Loop: Header=BB2_6525 Depth=2
	s_or_b64 exec, exec, s[46:47]
.LBB2_6654:                             ;   in Loop: Header=BB2_6525 Depth=2
	s_andn2_saveexec_b64 s[44:45], s[44:45]
	s_cbranch_execz .LBB2_6656
; %bb.6655:                             ;   in Loop: Header=BB2_6525 Depth=2
	;;#ASMSTART
	s_waitcnt lgkmcnt(0) vmcnt(0)
	;;#ASMEND
	s_waitcnt vmcnt(0) lgkmcnt(0)
	s_barrier
.LBB2_6656:                             ;   in Loop: Header=BB2_6525 Depth=2
	s_or_b64 exec, exec, s[44:45]
.LBB2_6657:                             ;   in Loop: Header=BB2_6525 Depth=2
	s_or_b64 exec, exec, s[26:27]
	v_and_b32_e32 v3, 32, v20
	v_cmp_ne_u32_e32 vcc, 0, v3
	s_and_saveexec_b64 s[26:27], vcc
	s_cbranch_execz .LBB2_6524
; %bb.6658:                             ;   in Loop: Header=BB2_6525 Depth=2
	v_add_co_u32_e32 v50, vcc, 2, v50
	v_addc_co_u32_e32 v51, vcc, 0, v51, vcc
	flat_store_dwordx2 v[22:23], v[50:51]
	s_branch .LBB2_6524
.LBB2_6659:                             ;   in Loop: Header=BB2_47 Depth=1
	s_or_b64 exec, exec, s[40:41]
.LBB2_6660:                             ;   in Loop: Header=BB2_47 Depth=1
	s_or_b64 exec, exec, s[28:29]
	v_cmp_gt_i32_e32 vcc, 2, v10
	s_and_saveexec_b64 s[28:29], vcc
	s_cbranch_execnz .LBB2_6661
; %bb.6773:                             ;   in Loop: Header=BB2_47 Depth=1
	s_getpc_b64 s[98:99]
.Lpost_getpc3:
	s_add_u32 s98, s98, (.LBB2_46-.Lpost_getpc3)&4294967295
	s_addc_u32 s99, s99, (.LBB2_46-.Lpost_getpc3)>>32
	s_setpc_b64 s[98:99]
.LBB2_6661:                             ;   in Loop: Header=BB2_47 Depth=1
	v_cmp_eq_u32_e64 s[42:43], 0, v10
	s_mov_b64 s[40:41], 0
	s_branch .LBB2_6663
.LBB2_6662:                             ;   in Loop: Header=BB2_6663 Depth=2
	s_or_b64 exec, exec, s[26:27]
	v_add_u32_e32 v7, v6, v7
	s_mov_b64 s[42:43], 0
	s_andn2_b64 exec, exec, s[40:41]
	s_cbranch_execnz .LBB2_6663
; %bb.6775:                             ;   in Loop: Header=BB2_47 Depth=1
	s_getpc_b64 s[98:99]
.Lpost_getpc4:
	s_add_u32 s98, s98, (.LBB2_45-.Lpost_getpc4)&4294967295
	s_addc_u32 s99, s99, (.LBB2_45-.Lpost_getpc4)>>32
	s_setpc_b64 s[98:99]
.LBB2_6663:                             ;   Parent Loop BB2_47 Depth=1
                                        ; =>  This Loop Header: Depth=2
                                        ;       Child Loop BB2_6669 Depth 3
                                        ;       Child Loop BB2_6693 Depth 3
	;; [unrolled: 1-line block ×3, first 2 shown]
	v_and_b32_e32 v3, 4, v20
	v_cmp_ne_u32_e32 vcc, 0, v3
	s_and_saveexec_b64 s[44:45], vcc
	s_cbranch_execz .LBB2_6685
; %bb.6664:                             ;   in Loop: Header=BB2_6663 Depth=2
	v_add_co_u32_e32 v8, vcc, 2, v50
	v_addc_co_u32_e32 v9, vcc, 0, v51, vcc
	s_waitcnt lgkmcnt(0)
	v_cmp_lt_u64_e32 vcc, v[28:29], v[8:9]
	s_and_saveexec_b64 s[46:47], vcc
	s_cbranch_execz .LBB2_6676
; %bb.6665:                             ;   in Loop: Header=BB2_6663 Depth=2
	v_and_b32_e32 v3, 64, v20
	s_mov_b32 s9, 0
	v_cmp_eq_u32_e32 vcc, 0, v3
	s_mov_b64 s[30:31], 0
                                        ; implicit-def: $sgpr34_sgpr35
                                        ; implicit-def: $sgpr36_sgpr37
                                        ; implicit-def: $sgpr38_sgpr39
	s_branch .LBB2_6669
.LBB2_6666:                             ;   in Loop: Header=BB2_6669 Depth=3
	s_waitcnt vmcnt(0) lgkmcnt(0)
	v_cmp_ge_u64_e64 s[26:27], v[28:29], v[8:9]
	s_or_b64 s[52:53], s[52:53], exec
	s_orn2_b64 s[50:51], s[26:27], exec
.LBB2_6667:                             ;   in Loop: Header=BB2_6669 Depth=3
	s_or_b64 exec, exec, s[64:65]
	s_andn2_b64 s[26:27], s[38:39], exec
	s_and_b64 s[38:39], s[52:53], exec
	s_or_b64 s[38:39], s[26:27], s[38:39]
	s_andn2_b64 s[26:27], s[36:37], exec
	s_and_b64 s[36:37], s[50:51], exec
	s_or_b64 s[36:37], s[26:27], s[36:37]
.LBB2_6668:                             ;   in Loop: Header=BB2_6669 Depth=3
	s_or_b64 exec, exec, s[48:49]
	s_and_b64 s[26:27], exec, s[36:37]
	s_or_b64 s[30:31], s[26:27], s[30:31]
	s_andn2_b64 s[26:27], s[34:35], exec
	s_and_b64 s[34:35], s[38:39], exec
	s_or_b64 s[34:35], s[26:27], s[34:35]
	s_andn2_b64 exec, exec, s[30:31]
	s_cbranch_execz .LBB2_6673
.LBB2_6669:                             ;   Parent Loop BB2_47 Depth=1
                                        ;     Parent Loop BB2_6663 Depth=2
                                        ; =>    This Inner Loop Header: Depth=3
	s_sleep 1
	s_waitcnt vmcnt(0) lgkmcnt(0)
	flat_load_dwordx2 v[28:29], v[22:23] glc
	s_or_b64 s[38:39], s[38:39], exec
	s_or_b64 s[36:37], s[36:37], exec
                                        ; implicit-def: $vgpr10
	s_and_saveexec_b64 s[48:49], vcc
	s_cbranch_execz .LBB2_6668
; %bb.6670:                             ;   in Loop: Header=BB2_6669 Depth=3
	s_cmpk_lt_i32 s9, 0x270f
	s_cselect_b64 s[54:55], -1, 0
	s_cmpk_gt_i32 s9, 0x270e
	s_mov_b64 s[50:51], -1
	s_cbranch_scc0 .LBB2_6672
; %bb.6671:                             ;   in Loop: Header=BB2_6669 Depth=3
	s_trap 2
	ds_read_b64 v[3:4], v0
	s_andn2_b64 s[54:55], s[54:55], exec
	s_mov_b32 s9, 0
	s_mov_b64 s[52:53], 0
	s_waitcnt vmcnt(0) lgkmcnt(0)
	flat_load_dword v10, v[3:4] glc
	s_waitcnt vmcnt(0) lgkmcnt(0)
	buffer_wbinvl1_vol
	v_cmp_eq_u32_e64 s[26:27], 0, v10
	s_and_b64 s[26:27], s[26:27], exec
	s_or_b64 s[54:55], s[54:55], s[26:27]
	s_and_saveexec_b64 s[64:65], s[54:55]
	s_cbranch_execz .LBB2_6667
	s_branch .LBB2_6666
.LBB2_6672:                             ;   in Loop: Header=BB2_6669 Depth=3
	s_add_i32 s9, s9, 1
	s_mov_b64 s[52:53], -1
                                        ; implicit-def: $vgpr10
	s_and_saveexec_b64 s[64:65], s[54:55]
	s_cbranch_execz .LBB2_6667
	s_branch .LBB2_6666
.LBB2_6673:                             ;   in Loop: Header=BB2_6663 Depth=2
	s_or_b64 exec, exec, s[30:31]
	s_xor_b64 s[26:27], s[34:35], -1
	s_and_saveexec_b64 vcc, s[26:27]
	s_xor_b64 s[26:27], exec, vcc
	s_cbranch_execz .LBB2_6675
; %bb.6674:                             ;   in Loop: Header=BB2_6663 Depth=2
	v_or_b32_e32 v20, 64, v20
	s_waitcnt lgkmcnt(0)
	ds_write_b32 v0, v10
	s_trap 2
.LBB2_6675:                             ;   in Loop: Header=BB2_6663 Depth=2
	s_or_b64 exec, exec, s[26:27]
.LBB2_6676:                             ;   in Loop: Header=BB2_6663 Depth=2
	s_or_b64 exec, exec, s[46:47]
	v_and_b32_e32 v3, 0x100, v20
	v_cmp_ne_u32_e32 vcc, 0, v3
	v_and_b32_e32 v14, 7, v50
	s_mov_b64 s[26:27], -1
	;;#ASMSTART
	s_wakeup
	;;#ASMEND
                                        ; implicit-def: $vgpr10_vgpr11
	s_and_saveexec_b64 s[46:47], vcc
	s_cbranch_execz .LBB2_6680
; %bb.6677:                             ;   in Loop: Header=BB2_6663 Depth=2
	buffer_load_dword v10, off, s[0:3], s33 offset:80 ; 4-byte Folded Reload
	buffer_load_dword v11, off, s[0:3], s33 offset:84 ; 4-byte Folded Reload
	;; [unrolled: 1-line block ×4, first 2 shown]
	s_waitcnt vmcnt(0)
	v_mad_u64_u32 v[12:13], s[26:27], v14, 24, v[10:11]
                                        ; implicit-def: $vgpr10_vgpr11
	flat_load_dword v3, v[12:13]
	s_waitcnt vmcnt(0) lgkmcnt(0)
	v_cmp_ne_u32_e32 vcc, 1, v3
	v_cmp_eq_u32_e64 s[26:27], 1, v3
	s_and_saveexec_b64 s[30:31], s[26:27]
	s_cbranch_execz .LBB2_6679
; %bb.6678:                             ;   in Loop: Header=BB2_6663 Depth=2
	flat_load_dword v10, v[12:13] offset:4 glc
	s_waitcnt vmcnt(0) lgkmcnt(0)
	v_ashrrev_i32_e32 v11, 31, v10
.LBB2_6679:                             ;   in Loop: Header=BB2_6663 Depth=2
	s_or_b64 exec, exec, s[30:31]
	s_orn2_b64 s[26:27], vcc, exec
.LBB2_6680:                             ;   in Loop: Header=BB2_6663 Depth=2
	s_or_b64 exec, exec, s[46:47]
	s_and_saveexec_b64 s[46:47], s[26:27]
	s_cbranch_execz .LBB2_6682
; %bb.6681:                             ;   in Loop: Header=BB2_6663 Depth=2
	buffer_load_dword v3, off, s[0:3], s33 offset:104 ; 4-byte Folded Reload
	s_waitcnt vmcnt(0)
	v_mad_i64_i32 v[10:11], s[26:27], v14, v3, 0
.LBB2_6682:                             ;   in Loop: Header=BB2_6663 Depth=2
	s_or_b64 exec, exec, s[46:47]
	buffer_load_dword v3, off, s[0:3], s33 offset:72 ; 4-byte Folded Reload
	buffer_load_dword v4, off, s[0:3], s33 offset:76 ; 4-byte Folded Reload
	s_waitcnt vmcnt(0)
	v_add_co_u32_e32 v3, vcc, v3, v10
	v_addc_co_u32_e32 v4, vcc, v4, v11, vcc
	ds_write_b64 v0, v[3:4] offset:720
	v_and_b32_e32 v3, 0x2000, v20
	v_cmp_ne_u32_e32 vcc, 0, v3
	s_and_saveexec_b64 s[26:27], vcc
	s_cbranch_execz .LBB2_6684
; %bb.6683:                             ;   in Loop: Header=BB2_6663 Depth=2
	ds_read_b64 v[3:4], v0 offset:872
	s_waitcnt lgkmcnt(0)
	v_add_co_u32_e32 v3, vcc, 1, v3
	v_addc_co_u32_e32 v4, vcc, 0, v4, vcc
	ds_write_b64 v0, v[3:4] offset:872
.LBB2_6684:                             ;   in Loop: Header=BB2_6663 Depth=2
	s_or_b64 exec, exec, s[26:27]
	v_mov_b32_e32 v51, v9
	v_mov_b32_e32 v50, v8
.LBB2_6685:                             ;   in Loop: Header=BB2_6663 Depth=2
	s_or_b64 exec, exec, s[44:45]
	s_xor_b64 s[26:27], s[42:43], -1
	s_and_b64 s[26:27], exec, s[26:27]
	s_or_b64 s[40:41], s[26:27], s[40:41]
	s_and_saveexec_b64 s[26:27], s[12:13]
	s_cbranch_execz .LBB2_6704
; %bb.6686:                             ;   in Loop: Header=BB2_6663 Depth=2
	s_and_saveexec_b64 s[42:43], s[72:73]
	s_xor_b64 s[42:43], exec, s[42:43]
	s_cbranch_execz .LBB2_6701
; %bb.6687:                             ;   in Loop: Header=BB2_6663 Depth=2
	s_and_saveexec_b64 s[44:45], s[6:7]
	s_cbranch_execz .LBB2_6700
; %bb.6688:                             ;   in Loop: Header=BB2_6663 Depth=2
	s_mov_b64 s[30:31], exec
	v_mbcnt_lo_u32_b32 v3, s30, 0
	v_mbcnt_hi_u32_b32 v3, s31, v3
	v_cmp_eq_u32_e32 vcc, 0, v3
	s_waitcnt vmcnt(0) lgkmcnt(0)
	buffer_wbinvl1_vol
	s_and_saveexec_b64 s[46:47], vcc
	s_cbranch_execz .LBB2_6690
; %bb.6689:                             ;   in Loop: Header=BB2_6663 Depth=2
	s_bcnt1_i32_b64 s9, s[30:31]
	v_mov_b32_e32 v34, s9
	ds_add_u64 v0, v[34:35]
	s_trap 2
.LBB2_6690:                             ;   in Loop: Header=BB2_6663 Depth=2
	s_or_b64 exec, exec, s[46:47]
	s_trap 2
	ds_read_b64 v[3:4], v0
	s_waitcnt lgkmcnt(0)
	v_add_co_u32_e32 v32, vcc, v32, v17
	v_addc_co_u32_e32 v33, vcc, 0, v33, vcc
	v_cmp_lt_u64_e32 vcc, v[3:4], v[32:33]
	s_and_saveexec_b64 s[46:47], vcc
	s_cbranch_execz .LBB2_6699
; %bb.6691:                             ;   in Loop: Header=BB2_6663 Depth=2
	s_mov_b32 s9, 0
	s_mov_b64 s[30:31], 0
                                        ; implicit-def: $sgpr34_sgpr35
                                        ; implicit-def: $sgpr36_sgpr37
	s_branch .LBB2_6693
.LBB2_6692:                             ;   in Loop: Header=BB2_6693 Depth=3
	s_or_b64 exec, exec, s[48:49]
	s_and_b64 vcc, exec, vcc
	s_or_b64 s[30:31], vcc, s[30:31]
	s_andn2_b64 vcc, s[34:35], exec
	s_and_b64 s[34:35], s[36:37], exec
	s_or_b64 s[34:35], vcc, s[34:35]
	s_andn2_b64 exec, exec, s[30:31]
	s_cbranch_execz .LBB2_6697
.LBB2_6693:                             ;   Parent Loop BB2_47 Depth=1
                                        ;     Parent Loop BB2_6663 Depth=2
                                        ; =>    This Inner Loop Header: Depth=3
	s_add_i32 s9, s9, 1
	s_cmpk_lg_i32 s9, 0x2710
	s_cselect_b64 s[38:39], -1, 0
	s_and_b64 vcc, exec, s[38:39]
	s_cbranch_vccz .LBB2_6695
; %bb.6694:                             ;   in Loop: Header=BB2_6693 Depth=3
	s_mov_b64 vcc, -1
	s_or_b64 s[36:37], s[36:37], exec
	s_and_saveexec_b64 s[48:49], s[38:39]
	s_cbranch_execz .LBB2_6692
	s_branch .LBB2_6696
.LBB2_6695:                             ;   in Loop: Header=BB2_6693 Depth=3
	s_trap 2
	ds_read_b64 v[3:4], v0
	s_andn2_b64 s[38:39], s[38:39], exec
	s_mov_b32 s9, 0
	s_waitcnt lgkmcnt(0)
	flat_load_dword v3, v[3:4] glc
	s_waitcnt vmcnt(0) lgkmcnt(0)
	buffer_wbinvl1_vol
	v_cmp_eq_u32_e32 vcc, 0, v3
	s_and_b64 vcc, vcc, exec
	s_or_b64 s[38:39], s[38:39], vcc
	s_mov_b64 vcc, -1
	s_or_b64 s[36:37], s[36:37], exec
	s_and_saveexec_b64 s[48:49], s[38:39]
	s_cbranch_execz .LBB2_6692
.LBB2_6696:                             ;   in Loop: Header=BB2_6693 Depth=3
	s_sleep 1
	s_trap 2
	ds_read_b64 v[3:4], v0
	s_waitcnt lgkmcnt(0)
	s_andn2_b64 s[36:37], s[36:37], exec
	v_cmp_ge_u64_e32 vcc, v[3:4], v[32:33]
	s_orn2_b64 vcc, vcc, exec
	s_branch .LBB2_6692
.LBB2_6697:                             ;   in Loop: Header=BB2_6663 Depth=2
	s_or_b64 exec, exec, s[30:31]
	s_and_saveexec_b64 vcc, s[34:35]
	s_xor_b64 vcc, exec, vcc
	s_cbranch_execz .LBB2_6699
; %bb.6698:                             ;   in Loop: Header=BB2_6663 Depth=2
	v_mov_b32_e32 v3, 1
	ds_write_b32 v0, v3
	s_trap 2
.LBB2_6699:                             ;   in Loop: Header=BB2_6663 Depth=2
	s_or_b64 exec, exec, s[46:47]
	;;#ASMSTART
	s_wakeup
	;;#ASMEND
.LBB2_6700:                             ;   in Loop: Header=BB2_6663 Depth=2
	s_or_b64 exec, exec, s[44:45]
.LBB2_6701:                             ;   in Loop: Header=BB2_6663 Depth=2
	s_andn2_saveexec_b64 s[42:43], s[42:43]
	s_cbranch_execz .LBB2_6703
; %bb.6702:                             ;   in Loop: Header=BB2_6663 Depth=2
	s_waitcnt vmcnt(0) lgkmcnt(0)
	buffer_wbinvl1_vol
	s_barrier
.LBB2_6703:                             ;   in Loop: Header=BB2_6663 Depth=2
	s_or_b64 exec, exec, s[42:43]
.LBB2_6704:                             ;   in Loop: Header=BB2_6663 Depth=2
	s_or_b64 exec, exec, s[26:27]
	v_sub_u32_e32 v3, v1, v7
	v_min_i32_e32 v6, v6, v3
	s_and_saveexec_b64 s[26:27], s[18:19]
	s_xor_b64 s[26:27], exec, s[26:27]
	s_cbranch_execz .LBB2_6708
; %bb.6705:                             ;   in Loop: Header=BB2_6663 Depth=2
	s_trap 2
	ds_read_b32 v3, v0
	v_cmp_lt_i32_e32 vcc, 0, v6
	s_waitcnt lgkmcnt(0)
	v_readfirstlane_b32 s9, v3
	s_cmp_eq_u32 s9, 0
	s_cselect_b64 s[42:43], -1, 0
	v_and_b32_e32 v3, 16, v20
	s_and_b64 s[42:43], vcc, s[42:43]
	v_cmp_ne_u32_e32 vcc, 0, v3
	s_and_b64 s[44:45], vcc, s[42:43]
	s_and_saveexec_b64 s[42:43], s[44:45]
	s_cbranch_execz .LBB2_6707
; %bb.6706:                             ;   in Loop: Header=BB2_6663 Depth=2
	s_waitcnt vmcnt(0)
	buffer_wbinvl1_vol
.LBB2_6707:                             ;   in Loop: Header=BB2_6663 Depth=2
	s_or_b64 exec, exec, s[42:43]
.LBB2_6708:                             ;   in Loop: Header=BB2_6663 Depth=2
	s_andn2_saveexec_b64 s[26:27], s[26:27]
	s_cbranch_execz .LBB2_6727
; %bb.6709:                             ;   in Loop: Header=BB2_6663 Depth=2
	s_and_saveexec_b64 s[42:43], s[72:73]
	s_xor_b64 s[42:43], exec, s[42:43]
	s_cbranch_execz .LBB2_6724
; %bb.6710:                             ;   in Loop: Header=BB2_6663 Depth=2
	s_and_saveexec_b64 s[44:45], s[6:7]
	s_cbranch_execz .LBB2_6723
; %bb.6711:                             ;   in Loop: Header=BB2_6663 Depth=2
	s_mov_b64 s[30:31], exec
	v_mbcnt_lo_u32_b32 v3, s30, 0
	v_mbcnt_hi_u32_b32 v3, s31, v3
	v_cmp_eq_u32_e32 vcc, 0, v3
	;;#ASMSTART
	s_waitcnt lgkmcnt(0) vmcnt(0)
	;;#ASMEND
	s_and_saveexec_b64 s[46:47], vcc
	s_cbranch_execz .LBB2_6713
; %bb.6712:                             ;   in Loop: Header=BB2_6663 Depth=2
	s_bcnt1_i32_b64 s9, s[30:31]
	v_mov_b32_e32 v34, s9
	s_waitcnt lgkmcnt(0)
	ds_add_u64 v0, v[34:35]
	s_trap 2
.LBB2_6713:                             ;   in Loop: Header=BB2_6663 Depth=2
	s_or_b64 exec, exec, s[46:47]
	s_trap 2
	ds_read_b64 v[3:4], v0
	s_waitcnt lgkmcnt(0)
	v_add_co_u32_e32 v32, vcc, v32, v17
	v_addc_co_u32_e32 v33, vcc, 0, v33, vcc
	v_cmp_lt_u64_e32 vcc, v[3:4], v[32:33]
	s_and_saveexec_b64 s[46:47], vcc
	s_cbranch_execz .LBB2_6722
; %bb.6714:                             ;   in Loop: Header=BB2_6663 Depth=2
	s_mov_b32 s9, 0
	s_mov_b64 s[30:31], 0
                                        ; implicit-def: $sgpr34_sgpr35
                                        ; implicit-def: $sgpr36_sgpr37
	s_branch .LBB2_6716
.LBB2_6715:                             ;   in Loop: Header=BB2_6716 Depth=3
	s_or_b64 exec, exec, s[48:49]
	s_and_b64 vcc, exec, vcc
	s_or_b64 s[30:31], vcc, s[30:31]
	s_andn2_b64 vcc, s[34:35], exec
	s_and_b64 s[34:35], s[36:37], exec
	s_or_b64 s[34:35], vcc, s[34:35]
	s_andn2_b64 exec, exec, s[30:31]
	s_cbranch_execz .LBB2_6720
.LBB2_6716:                             ;   Parent Loop BB2_47 Depth=1
                                        ;     Parent Loop BB2_6663 Depth=2
                                        ; =>    This Inner Loop Header: Depth=3
	s_add_i32 s9, s9, 1
	s_cmpk_lg_i32 s9, 0x2710
	s_cselect_b64 s[38:39], -1, 0
	s_and_b64 vcc, exec, s[38:39]
	s_cbranch_vccz .LBB2_6718
; %bb.6717:                             ;   in Loop: Header=BB2_6716 Depth=3
	s_mov_b64 vcc, -1
	s_or_b64 s[36:37], s[36:37], exec
	s_and_saveexec_b64 s[48:49], s[38:39]
	s_cbranch_execz .LBB2_6715
	s_branch .LBB2_6719
.LBB2_6718:                             ;   in Loop: Header=BB2_6716 Depth=3
	s_trap 2
	ds_read_b64 v[3:4], v0
	s_andn2_b64 s[38:39], s[38:39], exec
	s_mov_b32 s9, 0
	s_waitcnt vmcnt(0) lgkmcnt(0)
	flat_load_dword v3, v[3:4] glc
	s_waitcnt vmcnt(0) lgkmcnt(0)
	buffer_wbinvl1_vol
	v_cmp_eq_u32_e32 vcc, 0, v3
	s_and_b64 vcc, vcc, exec
	s_or_b64 s[38:39], s[38:39], vcc
	s_mov_b64 vcc, -1
	s_or_b64 s[36:37], s[36:37], exec
	s_and_saveexec_b64 s[48:49], s[38:39]
	s_cbranch_execz .LBB2_6715
.LBB2_6719:                             ;   in Loop: Header=BB2_6716 Depth=3
	s_sleep 1
	s_trap 2
	ds_read_b64 v[3:4], v0
	s_waitcnt lgkmcnt(0)
	s_andn2_b64 s[36:37], s[36:37], exec
	v_cmp_ge_u64_e32 vcc, v[3:4], v[32:33]
	s_orn2_b64 vcc, vcc, exec
	s_branch .LBB2_6715
.LBB2_6720:                             ;   in Loop: Header=BB2_6663 Depth=2
	s_or_b64 exec, exec, s[30:31]
	s_and_saveexec_b64 vcc, s[34:35]
	s_xor_b64 vcc, exec, vcc
	s_cbranch_execz .LBB2_6722
; %bb.6721:                             ;   in Loop: Header=BB2_6663 Depth=2
	v_mov_b32_e32 v3, 1
	ds_write_b32 v0, v3
	s_trap 2
.LBB2_6722:                             ;   in Loop: Header=BB2_6663 Depth=2
	s_or_b64 exec, exec, s[46:47]
	;;#ASMSTART
	s_wakeup
	;;#ASMEND
.LBB2_6723:                             ;   in Loop: Header=BB2_6663 Depth=2
	s_or_b64 exec, exec, s[44:45]
.LBB2_6724:                             ;   in Loop: Header=BB2_6663 Depth=2
	s_andn2_saveexec_b64 s[42:43], s[42:43]
	s_cbranch_execz .LBB2_6726
; %bb.6725:                             ;   in Loop: Header=BB2_6663 Depth=2
	;;#ASMSTART
	s_waitcnt lgkmcnt(0) vmcnt(0)
	;;#ASMEND
	s_waitcnt vmcnt(0) lgkmcnt(0)
	s_barrier
.LBB2_6726:                             ;   in Loop: Header=BB2_6663 Depth=2
	s_or_b64 exec, exec, s[42:43]
.LBB2_6727:                             ;   in Loop: Header=BB2_6663 Depth=2
	s_or_b64 exec, exec, s[26:27]
	v_and_b32_e32 v3, 32, v20
	v_cmp_ne_u32_e32 vcc, 0, v3
	s_and_saveexec_b64 s[26:27], vcc
	s_cbranch_execz .LBB2_6662
; %bb.6728:                             ;   in Loop: Header=BB2_6663 Depth=2
	v_add_co_u32_e32 v50, vcc, 2, v50
	v_addc_co_u32_e32 v51, vcc, 0, v51, vcc
	flat_store_dwordx2 v[22:23], v[50:51]
	s_branch .LBB2_6662
.LBB2_6729:
	s_or_b64 exec, exec, s[74:75]
	buffer_load_dword v16, off, s[0:3], s33 offset:272 ; 4-byte Folded Reload
	buffer_load_dword v31, off, s[0:3], s33 offset:276 ; 4-byte Folded Reload
	buffer_load_dword v15, off, s[0:3], s33 offset:280 ; 4-byte Folded Reload
	v_readlane_b32 s28, v62, 4
	v_readlane_b32 s29, v62, 5
.LBB2_6730:
	v_readlane_b32 s4, v62, 2
	v_readlane_b32 s5, v62, 3
	s_or_b64 exec, exec, s[4:5]
	v_and_b32_e32 v0, 0x800, v20
	v_cmp_eq_u32_e32 vcc, 0, v0
	s_and_saveexec_b64 s[6:7], vcc
	s_cbranch_execz .LBB2_6763
; %bb.6731:
	v_and_b32_e32 v0, 48, v20
	v_cmp_ne_u32_e32 vcc, 0, v0
	s_and_saveexec_b64 s[4:5], vcc
	s_cbranch_execz .LBB2_6733
; %bb.6732:
	buffer_load_dword v0, off, s[0:3], s33 offset:264 ; 4-byte Folded Reload
	buffer_load_dword v1, off, s[0:3], s33 offset:268 ; 4-byte Folded Reload
	s_waitcnt vmcnt(0)
	flat_store_dwordx2 v[0:1], v[50:51] offset:104
.LBB2_6733:
	s_or_b64 exec, exec, s[4:5]
	s_movk_i32 s4, 0x88
	v_and_b32_e32 v0, 0x88, v20
	v_cmp_eq_u32_e32 vcc, s4, v0
	s_and_saveexec_b64 s[10:11], vcc
	s_cbranch_execz .LBB2_6743
; %bb.6734:
	buffer_load_dword v1, off, s[0:3], s33 offset:80 ; 4-byte Folded Reload
	buffer_load_dword v2, off, s[0:3], s33 offset:84 ; 4-byte Folded Reload
	;; [unrolled: 1-line block ×4, first 2 shown]
	v_add_u32_e32 v0, 6, v50
	v_and_b32_e32 v0, 7, v0
	s_waitcnt vmcnt(0)
	v_and_b32_e32 v4, 64, v20
	s_mov_b32 s8, 0
	v_mad_u64_u32 v[2:3], s[4:5], v0, 24, v[1:2]
	v_cmp_eq_u32_e64 s[4:5], 0, v4
	flat_load_dwordx2 v[0:1], v[2:3] offset:8 glc
	s_waitcnt vmcnt(0) lgkmcnt(0)
	v_cmp_ne_u64_e32 vcc, -1, v[0:1]
	s_and_b64 s[4:5], vcc, s[4:5]
	s_and_b64 exec, exec, s[4:5]
	s_cbranch_execz .LBB2_6743
; %bb.6735:
	s_mov_b64 s[4:5], 0
                                        ; implicit-def: $sgpr12_sgpr13
                                        ; implicit-def: $sgpr14_sgpr15
	s_branch .LBB2_6738
.LBB2_6736:                             ;   in Loop: Header=BB2_6738 Depth=1
	flat_load_dwordx2 v[4:5], v[2:3] offset:8 glc
	s_waitcnt vmcnt(0)
	s_andn2_b64 s[14:15], s[14:15], exec
	s_waitcnt lgkmcnt(0)
	v_cmp_eq_u64_e32 vcc, -1, v[4:5]
	s_orn2_b64 s[18:19], vcc, exec
.LBB2_6737:                             ;   in Loop: Header=BB2_6738 Depth=1
	s_or_b64 exec, exec, s[20:21]
	s_and_b64 s[16:17], exec, s[18:19]
	s_or_b64 s[4:5], s[16:17], s[4:5]
	s_andn2_b64 s[12:13], s[12:13], exec
	s_and_b64 s[16:17], s[14:15], exec
	s_or_b64 s[12:13], s[12:13], s[16:17]
	s_andn2_b64 exec, exec, s[4:5]
	s_cbranch_execz .LBB2_6741
.LBB2_6738:                             ; =>This Inner Loop Header: Depth=1
	s_cmpk_lt_i32 s8, 0x270f
	s_cselect_b64 s[16:17], -1, 0
	s_and_b64 vcc, exec, s[16:17]
	s_cbranch_vccnz .LBB2_6740
; %bb.6739:                             ;   in Loop: Header=BB2_6738 Depth=1
	s_trap 2
	ds_read_b64 v[0:1], v0
	s_andn2_b64 s[16:17], s[16:17], exec
	s_mov_b32 s8, 0
	s_waitcnt lgkmcnt(0)
	flat_load_dword v0, v[0:1] glc
	s_waitcnt vmcnt(0) lgkmcnt(0)
	buffer_wbinvl1_vol
	v_cmp_eq_u32_e32 vcc, 0, v0
	s_and_b64 s[18:19], vcc, exec
	s_or_b64 s[16:17], s[16:17], s[18:19]
	s_mov_b64 s[18:19], -1
	s_or_b64 s[14:15], s[14:15], exec
	s_and_saveexec_b64 s[20:21], s[16:17]
	s_cbranch_execz .LBB2_6737
	s_branch .LBB2_6736
.LBB2_6740:                             ;   in Loop: Header=BB2_6738 Depth=1
	s_add_i32 s8, s8, 1
                                        ; implicit-def: $vgpr0
	s_mov_b64 s[18:19], -1
	s_or_b64 s[14:15], s[14:15], exec
	s_and_saveexec_b64 s[20:21], s[16:17]
	s_cbranch_execz .LBB2_6737
	s_branch .LBB2_6736
.LBB2_6741:
	s_or_b64 exec, exec, s[4:5]
	s_and_saveexec_b64 s[4:5], s[12:13]
	s_xor_b64 s[4:5], exec, s[4:5]
	s_cbranch_execz .LBB2_6743
; %bb.6742:
	ds_write_b32 v0, v0
	s_trap 2
.LBB2_6743:
	s_or_b64 exec, exec, s[10:11]
	v_and_b32_e32 v0, 0x2000, v20
	v_cmp_ne_u32_e32 vcc, 0, v0
	s_and_saveexec_b64 s[4:5], vcc
	s_cbranch_execz .LBB2_6745
; %bb.6744:
	s_trap 2
	ds_read_b64 v[0:1], v0
	buffer_load_dword v2, off, s[0:3], s33 offset:284 ; 4-byte Folded Reload
	buffer_load_dword v3, off, s[0:3], s33 offset:288 ; 4-byte Folded Reload
	s_waitcnt vmcnt(0) lgkmcnt(0)
	flat_store_dwordx2 v[2:3], v[0:1] offset:16
.LBB2_6745:
	s_or_b64 exec, exec, s[4:5]
	s_waitcnt vmcnt(0)
	v_cmp_ne_u32_e32 vcc, 64, v16
	s_and_b64 exec, exec, vcc
	s_cbranch_execz .LBB2_6763
; %bb.6746:
	v_cmp_ne_u32_sdwa s[4:5], v16, v15 src0_sel:DWORD src1_sel:WORD_0
	s_and_saveexec_b64 s[8:9], s[4:5]
	s_xor_b64 s[4:5], exec, s[8:9]
	s_cbranch_execz .LBB2_6761
; %bb.6747:
	v_and_b32_e32 v0, 63, v31
	v_cmp_eq_u32_e32 vcc, 0, v0
	s_and_saveexec_b64 s[10:11], vcc
	s_cbranch_execz .LBB2_6760
; %bb.6748:
	s_mov_b64 s[14:15], exec
	v_mbcnt_lo_u32_b32 v0, s14, 0
	v_mbcnt_hi_u32_b32 v0, s15, v0
	v_cmp_eq_u32_e32 vcc, 0, v0
	s_waitcnt lgkmcnt(0)
	buffer_wbinvl1_vol
	s_and_saveexec_b64 s[12:13], vcc
	s_cbranch_execz .LBB2_6750
; %bb.6749:
	s_bcnt1_i32_b64 s8, s[14:15]
	v_mov_b32_e32 v0, s8
	v_mov_b32_e32 v1, 0
	ds_add_u64 v0, v[0:1]
	s_trap 2
.LBB2_6750:
	s_or_b64 exec, exec, s[12:13]
	v_lshrrev_b32_e32 v0, 6, v16
	s_trap 2
	ds_read_b64 v[2:3], v0
	s_waitcnt lgkmcnt(0)
	v_add_co_u32_e32 v0, vcc, v32, v0
	v_addc_co_u32_e32 v1, vcc, 0, v33, vcc
	v_cmp_lt_u64_e32 vcc, v[2:3], v[0:1]
	s_and_saveexec_b64 s[12:13], vcc
	s_cbranch_execz .LBB2_6759
; %bb.6751:
	s_mov_b32 s8, 0
	s_mov_b64 s[14:15], 0
                                        ; implicit-def: $sgpr16_sgpr17
                                        ; implicit-def: $sgpr18_sgpr19
	s_branch .LBB2_6753
.LBB2_6752:                             ;   in Loop: Header=BB2_6753 Depth=1
	s_or_b64 exec, exec, s[22:23]
	s_and_b64 s[20:21], exec, s[24:25]
	s_or_b64 s[14:15], s[20:21], s[14:15]
	s_andn2_b64 s[16:17], s[16:17], exec
	s_and_b64 s[20:21], s[18:19], exec
	s_or_b64 s[16:17], s[16:17], s[20:21]
	s_andn2_b64 exec, exec, s[14:15]
	s_cbranch_execz .LBB2_6757
.LBB2_6753:                             ; =>This Inner Loop Header: Depth=1
	s_add_i32 s8, s8, 1
	s_cmpk_lg_i32 s8, 0x2710
	s_cselect_b64 s[20:21], -1, 0
	s_and_b64 vcc, exec, s[20:21]
	s_cbranch_vccz .LBB2_6755
; %bb.6754:                             ;   in Loop: Header=BB2_6753 Depth=1
	s_mov_b64 s[24:25], -1
	s_or_b64 s[18:19], s[18:19], exec
	s_and_saveexec_b64 s[22:23], s[20:21]
	s_cbranch_execz .LBB2_6752
	s_branch .LBB2_6756
.LBB2_6755:                             ;   in Loop: Header=BB2_6753 Depth=1
	s_trap 2
	ds_read_b64 v[2:3], v0
	s_andn2_b64 s[20:21], s[20:21], exec
	s_mov_b32 s8, 0
	s_waitcnt lgkmcnt(0)
	flat_load_dword v2, v[2:3] glc
	s_waitcnt vmcnt(0) lgkmcnt(0)
	buffer_wbinvl1_vol
	v_cmp_eq_u32_e32 vcc, 0, v2
	s_and_b64 s[22:23], vcc, exec
	s_or_b64 s[20:21], s[20:21], s[22:23]
	s_mov_b64 s[24:25], -1
	s_or_b64 s[18:19], s[18:19], exec
	s_and_saveexec_b64 s[22:23], s[20:21]
	s_cbranch_execz .LBB2_6752
.LBB2_6756:                             ;   in Loop: Header=BB2_6753 Depth=1
	s_sleep 1
	s_trap 2
	ds_read_b64 v[2:3], v0
	s_waitcnt lgkmcnt(0)
	s_andn2_b64 s[18:19], s[18:19], exec
	v_cmp_ge_u64_e32 vcc, v[2:3], v[0:1]
	s_orn2_b64 s[24:25], vcc, exec
	s_branch .LBB2_6752
.LBB2_6757:
	s_or_b64 exec, exec, s[14:15]
	s_and_saveexec_b64 s[8:9], s[16:17]
	s_xor_b64 s[8:9], exec, s[8:9]
	s_cbranch_execz .LBB2_6759
; %bb.6758:
	v_mov_b32_e32 v0, 1
	ds_write_b32 v0, v0
	s_trap 2
.LBB2_6759:
	s_or_b64 exec, exec, s[12:13]
	;;#ASMSTART
	s_wakeup
	;;#ASMEND
.LBB2_6760:
	s_or_b64 exec, exec, s[10:11]
.LBB2_6761:
	s_andn2_saveexec_b64 s[4:5], s[4:5]
	s_cbranch_execz .LBB2_6763
; %bb.6762:
	s_waitcnt lgkmcnt(0)
	buffer_wbinvl1_vol
	s_barrier
.LBB2_6763:
	s_or_b64 exec, exec, s[6:7]
.LBB2_6764:
	v_readlane_b32 s4, v62, 0
	v_readlane_b32 s5, v62, 1
	s_andn2_saveexec_b64 s[26:27], s[4:5]
	s_cbranch_execz .LBB2_6766
; %bb.6765:
	s_getpc_b64 s[4:5]
	s_add_u32 s4, s4, __PRETTY_FUNCTION__._ZN10PrimitivesI14__hip_fp8_e4m310FuncMinMaxIS0_E12FanSymmetricILi1EELi0E11ProtoSimpleILi2ELi2ELi0ELi1ELi0ELi0EELi0ELb0ELi0ELi0ELi0EEC2EiiPKiS9_PKvPvmhhhP15ncclDevWorkCollP14ncclDevWorkP2pii@rel32@lo+4
	s_addc_u32 s5, s5, __PRETTY_FUNCTION__._ZN10PrimitivesI14__hip_fp8_e4m310FuncMinMaxIS0_E12FanSymmetricILi1EELi0E11ProtoSimpleILi2ELi2ELi0ELi1ELi0ELi0EELi0ELb0ELi0ELi0ELi0EEC2EiiPKiS9_PKvPvmhhhP15ncclDevWorkCollP14ncclDevWorkP2pii@rel32@hi+12
	s_getpc_b64 s[6:7]
	s_add_u32 s6, s6, __assert_fail@rel32@lo+4
	s_addc_u32 s7, s7, __assert_fail@rel32@hi+12
	s_mov_b64 s[8:9], s[28:29]
	v_mov_b32_e32 v0, s4
	v_mov_b32_e32 v1, s5
	s_swappc_b64 s[30:31], s[6:7]
	; divergent unreachable
.LBB2_6766:
	s_or_b64 exec, exec, s[26:27]
	buffer_load_dword v61, off, s[0:3], s33 ; 4-byte Folded Reload
	buffer_load_dword v60, off, s[0:3], s33 offset:4 ; 4-byte Folded Reload
	buffer_load_dword v59, off, s[0:3], s33 offset:8 ; 4-byte Folded Reload
	buffer_load_dword v58, off, s[0:3], s33 offset:12 ; 4-byte Folded Reload
	buffer_load_dword v57, off, s[0:3], s33 offset:16 ; 4-byte Folded Reload
	buffer_load_dword v56, off, s[0:3], s33 offset:20 ; 4-byte Folded Reload
	buffer_load_dword v47, off, s[0:3], s33 offset:24 ; 4-byte Folded Reload
	buffer_load_dword v46, off, s[0:3], s33 offset:28 ; 4-byte Folded Reload
	buffer_load_dword v45, off, s[0:3], s33 offset:32 ; 4-byte Folded Reload
	buffer_load_dword v44, off, s[0:3], s33 offset:36 ; 4-byte Folded Reload
	buffer_load_dword v43, off, s[0:3], s33 offset:40 ; 4-byte Folded Reload
	buffer_load_dword v42, off, s[0:3], s33 offset:44 ; 4-byte Folded Reload
	buffer_load_dword v41, off, s[0:3], s33 offset:48 ; 4-byte Folded Reload
	buffer_load_dword v40, off, s[0:3], s33 offset:52 ; 4-byte Folded Reload
	v_readlane_b32 s30, v63, 32
	v_readlane_b32 s31, v63, 33
	;; [unrolled: 1-line block ×34, first 2 shown]
	s_mov_b32 s32, s33
	v_readlane_b32 s4, v63, 34
	s_or_saveexec_b64 s[6:7], -1
	buffer_load_dword v63, off, s[0:3], s33 offset:292 ; 4-byte Folded Reload
	buffer_load_dword v62, off, s[0:3], s33 offset:296 ; 4-byte Folded Reload
	s_mov_b64 exec, s[6:7]
	s_mov_b32 s33, s4
	s_waitcnt vmcnt(0) lgkmcnt(0)
	s_setpc_b64 s[30:31]
.Lfunc_end2:
	.size	_ZN12_GLOBAL__N_17runRingI14__hip_fp8_e4m310FuncMinMaxIS1_E11ProtoSimpleILi2ELi2ELi0ELi1ELi0ELi0EELi0ELi0ELi1ELi0EEEviiP15ncclDevWorkColl, .Lfunc_end2-_ZN12_GLOBAL__N_17runRingI14__hip_fp8_e4m310FuncMinMaxIS1_E11ProtoSimpleILi2ELi2ELi0ELi1ELi0ELi0EELi0ELi0ELi1ELi0EEEviiP15ncclDevWorkColl
                                        ; -- End function
	.set .L_ZN12_GLOBAL__N_17runRingI14__hip_fp8_e4m310FuncMinMaxIS1_E11ProtoSimpleILi2ELi2ELi0ELi1ELi0ELi0EELi0ELi0ELi1ELi0EEEviiP15ncclDevWorkColl.num_vgpr, max(64, .L__assert_fail.num_vgpr)
	.set .L_ZN12_GLOBAL__N_17runRingI14__hip_fp8_e4m310FuncMinMaxIS1_E11ProtoSimpleILi2ELi2ELi0ELi1ELi0ELi0EELi0ELi0ELi1ELi0EEEviiP15ncclDevWorkColl.num_agpr, max(0, .L__assert_fail.num_agpr)
	.set .L_ZN12_GLOBAL__N_17runRingI14__hip_fp8_e4m310FuncMinMaxIS1_E11ProtoSimpleILi2ELi2ELi0ELi1ELi0ELi0EELi0ELi0ELi1ELi0EEEviiP15ncclDevWorkColl.numbered_sgpr, max(100, .L__assert_fail.numbered_sgpr)
	.set .L_ZN12_GLOBAL__N_17runRingI14__hip_fp8_e4m310FuncMinMaxIS1_E11ProtoSimpleILi2ELi2ELi0ELi1ELi0ELi0EELi0ELi0ELi1ELi0EEEviiP15ncclDevWorkColl.num_named_barrier, max(0, .L__assert_fail.num_named_barrier)
	.set .L_ZN12_GLOBAL__N_17runRingI14__hip_fp8_e4m310FuncMinMaxIS1_E11ProtoSimpleILi2ELi2ELi0ELi1ELi0ELi0EELi0ELi0ELi1ELi0EEEviiP15ncclDevWorkColl.private_seg_size, 304+max(.L__assert_fail.private_seg_size)
	.set .L_ZN12_GLOBAL__N_17runRingI14__hip_fp8_e4m310FuncMinMaxIS1_E11ProtoSimpleILi2ELi2ELi0ELi1ELi0ELi0EELi0ELi0ELi1ELi0EEEviiP15ncclDevWorkColl.uses_vcc, or(1, .L__assert_fail.uses_vcc)
	.set .L_ZN12_GLOBAL__N_17runRingI14__hip_fp8_e4m310FuncMinMaxIS1_E11ProtoSimpleILi2ELi2ELi0ELi1ELi0ELi0EELi0ELi0ELi1ELi0EEEviiP15ncclDevWorkColl.uses_flat_scratch, or(0, .L__assert_fail.uses_flat_scratch)
	.set .L_ZN12_GLOBAL__N_17runRingI14__hip_fp8_e4m310FuncMinMaxIS1_E11ProtoSimpleILi2ELi2ELi0ELi1ELi0ELi0EELi0ELi0ELi1ELi0EEEviiP15ncclDevWorkColl.has_dyn_sized_stack, or(0, .L__assert_fail.has_dyn_sized_stack)
	.set .L_ZN12_GLOBAL__N_17runRingI14__hip_fp8_e4m310FuncMinMaxIS1_E11ProtoSimpleILi2ELi2ELi0ELi1ELi0ELi0EELi0ELi0ELi1ELi0EEEviiP15ncclDevWorkColl.has_recursion, or(1, .L__assert_fail.has_recursion)
	.set .L_ZN12_GLOBAL__N_17runRingI14__hip_fp8_e4m310FuncMinMaxIS1_E11ProtoSimpleILi2ELi2ELi0ELi1ELi0ELi0EELi0ELi0ELi1ELi0EEEviiP15ncclDevWorkColl.has_indirect_call, or(0, .L__assert_fail.has_indirect_call)
	.section	.AMDGPU.csdata,"",@progbits
; Function info:
; codeLenInByte = 181580
; TotalNumSgprs: 104
; NumVgprs: 64
; ScratchSize: 368
; MemoryBound: 1
	.text
	.p2align	2                               ; -- Begin function _Z53ncclDevFunc_AllReduce_RING_SIMPLE_MinMax_f8e4m3_0_0_1v
	.type	_Z53ncclDevFunc_AllReduce_RING_SIMPLE_MinMax_f8e4m3_0_0_1v,@function
_Z53ncclDevFunc_AllReduce_RING_SIMPLE_MinMax_f8e4m3_0_0_1v: ; @_Z53ncclDevFunc_AllReduce_RING_SIMPLE_MinMax_f8e4m3_0_0_1v
; %bb.0:
	s_waitcnt vmcnt(0) expcnt(0) lgkmcnt(0)
	s_mov_b32 s4, s33
	s_mov_b32 s33, s32
	s_or_saveexec_b64 s[6:7], -1
	buffer_store_dword v43, off, s[0:3], s33 offset:20 ; 4-byte Folded Spill
	buffer_store_dword v44, off, s[0:3], s33 offset:24 ; 4-byte Folded Spill
	s_mov_b64 exec, s[6:7]
	v_writelane_b32 v44, s4, 38
	v_writelane_b32 v44, s100, 36
	;; [unrolled: 1-line block ×3, first 2 shown]
	s_addk_i32 s32, 0x800
	buffer_store_dword v40, off, s[0:3], s33 offset:12 ; 4-byte Folded Spill
	buffer_store_dword v41, off, s[0:3], s33 offset:8 ; 4-byte Folded Spill
	;; [unrolled: 1-line block ×3, first 2 shown]
	buffer_store_dword v62, off, s[0:3], s33 ; 4-byte Folded Spill
	v_writelane_b32 v44, s34, 0
	v_writelane_b32 v44, s35, 1
	;; [unrolled: 1-line block ×36, first 2 shown]
	s_trap 2
	ds_read_b32 v0, v0
	v_mov_b32_e32 v40, v31
                                        ; implicit-def: $vgpr43 : SGPR spill to VGPR lane
	v_and_b32_e32 v41, 0x3ff, v40
	v_writelane_b32 v43, s12, 0
	v_writelane_b32 v43, s8, 1
	s_waitcnt lgkmcnt(0)
	v_cmp_lt_i32_e32 vcc, v41, v0
	v_writelane_b32 v43, s9, 2
	s_and_saveexec_b64 s[4:5], vcc
	s_cbranch_execz .LBB3_5
; %bb.1:
	v_readlane_b32 s8, v43, 1
	v_readlane_b32 s9, v43, 2
	s_load_dword s6, s[8:9], 0x0
	v_readlane_b32 s7, v43, 0
	v_mov_b32_e32 v1, 0
	s_mov_b32 s10, 0
	v_mov_b32_e32 v4, v41
	s_waitcnt lgkmcnt(0)
	s_cmp_lt_u32 s7, s6
	s_cselect_b32 s6, 12, 18
	s_add_u32 s6, s8, s6
	s_addc_u32 s7, s9, 0
	global_load_ushort v1, v1, s[6:7]
	s_trap 2
	ds_read_b32 v2, v0
	s_mov_b64 s[6:7], 0
                                        ; implicit-def: $vgpr3
	s_waitcnt vmcnt(0) lgkmcnt(0)
	v_mul_lo_u32 v2, v2, v1
	s_branch .LBB3_3
.LBB3_2:                                ;   in Loop: Header=BB3_3 Depth=1
	s_or_b64 exec, exec, s[8:9]
	v_add_u32_e32 v4, v4, v1
	v_cmp_ge_i32_e32 vcc, v4, v0
	s_or_b64 s[6:7], vcc, s[6:7]
	v_add_u32_e32 v3, v3, v2
	s_andn2_b64 exec, exec, s[6:7]
	s_cbranch_execz .LBB3_5
.LBB3_3:                                ; =>This Inner Loop Header: Depth=1
	ds_read_b32 v5, v3
	s_waitcnt lgkmcnt(0)
	v_and_b32_e32 v5, 0x1000000, v5
	v_cmp_ne_u32_e32 vcc, 0, v5
	s_and_saveexec_b64 s[8:9], vcc
	s_cbranch_execz .LBB3_2
; %bb.4:                                ;   in Loop: Header=BB3_3 Depth=1
	ds_read_b64 v[5:6], v3 offset:104
	s_waitcnt lgkmcnt(0)
	flat_load_ubyte v5, v[5:6]
	v_mov_b32_e32 v6, s10
	s_waitcnt vmcnt(0) lgkmcnt(0)
	v_and_b32_e32 v5, 0xffff, v5
	ds_write_b64 v3, v[5:6] offset:104
	s_branch .LBB3_2
.LBB3_5:
	s_or_b64 exec, exec, s[4:5]
	s_waitcnt vmcnt(0) lgkmcnt(0)
	s_barrier
	s_trap 2
	ds_read_b32 v0, v0
	s_waitcnt lgkmcnt(0)
	v_cmp_gt_i32_e32 vcc, 1, v0
	s_cbranch_vccnz .LBB3_13
; %bb.6:
	s_mov_b32 s6, 0
	v_mov_b32_e32 v42, 6
	s_branch .LBB3_8
.LBB3_7:                                ;   in Loop: Header=BB3_8 Depth=1
	s_or_b64 exec, exec, s[8:9]
	s_trap 2
	ds_read_b32 v0, v0
	s_add_i32 s6, s6, 1
	s_waitcnt lgkmcnt(0)
	v_cmp_lt_i32_e32 vcc, s6, v0
	s_cbranch_vccz .LBB3_13
.LBB3_8:                                ; =>This Inner Loop Header: Depth=1
	s_trap 2
	ds_read_b32 v0, v0
	s_cmp_eq_u32 s6, 0
	s_cbranch_scc1 .LBB3_11
; %bb.9:                                ;   in Loop: Header=BB3_8 Depth=1
	s_trap 2
	s_waitcnt lgkmcnt(0)
	ds_read_b32 v1, v0
	s_waitcnt lgkmcnt(0)
	v_xor_b32_e32 v1, v1, v0
	v_and_b32_e32 v1, 0xff0000, v1
	v_cmp_eq_u32_e32 vcc, 0, v1
	s_cbranch_vccnz .LBB3_11
; %bb.10:                               ;   in Loop: Header=BB3_8 Depth=1
	s_barrier
	ds_read_b32 v0, v0
.LBB3_11:                               ;   in Loop: Header=BB3_8 Depth=1
	s_waitcnt lgkmcnt(0)
	v_lshlrev_b32_sdwa v1, v42, v0 dst_sel:DWORD dst_unused:UNUSED_PAD src0_sel:DWORD src1_sel:BYTE_2
	v_cmp_lt_u32_e32 vcc, v41, v1
	s_and_saveexec_b64 s[8:9], vcc
	s_cbranch_execz .LBB3_7
; %bb.12:                               ;   in Loop: Header=BB3_8 Depth=1
	v_writelane_b32 v43, s6, 3
	v_writelane_b32 v43, s8, 4
	s_mov_b64 s[4:5], src_shared_base
	s_getpc_b64 s[6:7]
	s_add_u32 s6, s6, _ZN12_GLOBAL__N_17runRingI14__hip_fp8_e4m310FuncMinMaxIS1_E11ProtoSimpleILi2ELi2ELi0ELi1ELi0ELi0EELi0ELi0ELi1ELi0EEEviiP15ncclDevWorkColl@rel32@lo+4
	s_addc_u32 s7, s7, _ZN12_GLOBAL__N_17runRingI14__hip_fp8_e4m310FuncMinMaxIS1_E11ProtoSimpleILi2ELi2ELi0ELi1ELi0ELi0EELi0ELi0ELi1ELi0EEEviiP15ncclDevWorkColl@rel32@hi+12
	v_writelane_b32 v43, s9, 5
	s_or_saveexec_b64 s[100:101], -1
	buffer_store_dword v43, off, s[0:3], s33 offset:16 ; 4-byte Folded Spill
	s_mov_b64 exec, s[100:101]
	v_readlane_b32 s8, v43, 1
	v_readlane_b32 s9, v43, 2
	;; [unrolled: 1-line block ×3, first 2 shown]
	v_mov_b32_e32 v31, v40
	v_mov_b32_e32 v0, v41
	;; [unrolled: 1-line block ×3, first 2 shown]
	s_swappc_b64 s[30:31], s[6:7]
	s_or_saveexec_b64 s[100:101], -1
	buffer_load_dword v43, off, s[0:3], s33 offset:16 ; 4-byte Folded Reload
	s_mov_b64 exec, s[100:101]
	s_waitcnt vmcnt(0)
	v_readlane_b32 s8, v43, 4
	v_readlane_b32 s9, v43, 5
	;; [unrolled: 1-line block ×3, first 2 shown]
	s_branch .LBB3_7
.LBB3_13:
	buffer_load_dword v62, off, s[0:3], s33 ; 4-byte Folded Reload
	buffer_load_dword v42, off, s[0:3], s33 offset:4 ; 4-byte Folded Reload
	buffer_load_dword v41, off, s[0:3], s33 offset:8 ; 4-byte Folded Reload
	;; [unrolled: 1-line block ×3, first 2 shown]
	v_readlane_b32 s30, v44, 34
	v_readlane_b32 s31, v44, 35
	;; [unrolled: 1-line block ×36, first 2 shown]
	s_mov_b32 s32, s33
	v_readlane_b32 s4, v44, 38
	v_readlane_b32 s100, v44, 36
	;; [unrolled: 1-line block ×3, first 2 shown]
	s_or_saveexec_b64 s[6:7], -1
	buffer_load_dword v43, off, s[0:3], s33 offset:20 ; 4-byte Folded Reload
	buffer_load_dword v44, off, s[0:3], s33 offset:24 ; 4-byte Folded Reload
	s_mov_b64 exec, s[6:7]
	s_mov_b32 s33, s4
	s_waitcnt vmcnt(0)
	s_setpc_b64 s[30:31]
.Lfunc_end3:
	.size	_Z53ncclDevFunc_AllReduce_RING_SIMPLE_MinMax_f8e4m3_0_0_1v, .Lfunc_end3-_Z53ncclDevFunc_AllReduce_RING_SIMPLE_MinMax_f8e4m3_0_0_1v
                                        ; -- End function
	.set .L_Z53ncclDevFunc_AllReduce_RING_SIMPLE_MinMax_f8e4m3_0_0_1v.num_vgpr, max(63, .L_ZN12_GLOBAL__N_17runRingI14__hip_fp8_e4m310FuncMinMaxIS1_E11ProtoSimpleILi2ELi2ELi0ELi1ELi0ELi0EELi0ELi0ELi1ELi0EEEviiP15ncclDevWorkColl.num_vgpr)
	.set .L_Z53ncclDevFunc_AllReduce_RING_SIMPLE_MinMax_f8e4m3_0_0_1v.num_agpr, max(0, .L_ZN12_GLOBAL__N_17runRingI14__hip_fp8_e4m310FuncMinMaxIS1_E11ProtoSimpleILi2ELi2ELi0ELi1ELi0ELi0EELi0ELi0ELi1ELi0EEEviiP15ncclDevWorkColl.num_agpr)
	.set .L_Z53ncclDevFunc_AllReduce_RING_SIMPLE_MinMax_f8e4m3_0_0_1v.numbered_sgpr, max(102, .L_ZN12_GLOBAL__N_17runRingI14__hip_fp8_e4m310FuncMinMaxIS1_E11ProtoSimpleILi2ELi2ELi0ELi1ELi0ELi0EELi0ELi0ELi1ELi0EEEviiP15ncclDevWorkColl.numbered_sgpr)
	.set .L_Z53ncclDevFunc_AllReduce_RING_SIMPLE_MinMax_f8e4m3_0_0_1v.num_named_barrier, max(0, .L_ZN12_GLOBAL__N_17runRingI14__hip_fp8_e4m310FuncMinMaxIS1_E11ProtoSimpleILi2ELi2ELi0ELi1ELi0ELi0EELi0ELi0ELi1ELi0EEEviiP15ncclDevWorkColl.num_named_barrier)
	.set .L_Z53ncclDevFunc_AllReduce_RING_SIMPLE_MinMax_f8e4m3_0_0_1v.private_seg_size, 32+max(.L_ZN12_GLOBAL__N_17runRingI14__hip_fp8_e4m310FuncMinMaxIS1_E11ProtoSimpleILi2ELi2ELi0ELi1ELi0ELi0EELi0ELi0ELi1ELi0EEEviiP15ncclDevWorkColl.private_seg_size)
	.set .L_Z53ncclDevFunc_AllReduce_RING_SIMPLE_MinMax_f8e4m3_0_0_1v.uses_vcc, or(1, .L_ZN12_GLOBAL__N_17runRingI14__hip_fp8_e4m310FuncMinMaxIS1_E11ProtoSimpleILi2ELi2ELi0ELi1ELi0ELi0EELi0ELi0ELi1ELi0EEEviiP15ncclDevWorkColl.uses_vcc)
	.set .L_Z53ncclDevFunc_AllReduce_RING_SIMPLE_MinMax_f8e4m3_0_0_1v.uses_flat_scratch, or(0, .L_ZN12_GLOBAL__N_17runRingI14__hip_fp8_e4m310FuncMinMaxIS1_E11ProtoSimpleILi2ELi2ELi0ELi1ELi0ELi0EELi0ELi0ELi1ELi0EEEviiP15ncclDevWorkColl.uses_flat_scratch)
	.set .L_Z53ncclDevFunc_AllReduce_RING_SIMPLE_MinMax_f8e4m3_0_0_1v.has_dyn_sized_stack, or(0, .L_ZN12_GLOBAL__N_17runRingI14__hip_fp8_e4m310FuncMinMaxIS1_E11ProtoSimpleILi2ELi2ELi0ELi1ELi0ELi0EELi0ELi0ELi1ELi0EEEviiP15ncclDevWorkColl.has_dyn_sized_stack)
	.set .L_Z53ncclDevFunc_AllReduce_RING_SIMPLE_MinMax_f8e4m3_0_0_1v.has_recursion, or(1, .L_ZN12_GLOBAL__N_17runRingI14__hip_fp8_e4m310FuncMinMaxIS1_E11ProtoSimpleILi2ELi2ELi0ELi1ELi0ELi0EELi0ELi0ELi1ELi0EEEviiP15ncclDevWorkColl.has_recursion)
	.set .L_Z53ncclDevFunc_AllReduce_RING_SIMPLE_MinMax_f8e4m3_0_0_1v.has_indirect_call, or(0, .L_ZN12_GLOBAL__N_17runRingI14__hip_fp8_e4m310FuncMinMaxIS1_E11ProtoSimpleILi2ELi2ELi0ELi1ELi0ELi0EELi0ELi0ELi1ELi0EEEviiP15ncclDevWorkColl.has_indirect_call)
	.section	.AMDGPU.csdata,"",@progbits
; Function info:
; codeLenInByte = 1372
; TotalNumSgprs: 106
; NumVgprs: 64
; ScratchSize: 400
; MemoryBound: 0
	.text
	.p2align	2                               ; -- Begin function _ZN12_GLOBAL__N_17runRingI14__hip_fp8_e4m310FuncMinMaxIS1_E11ProtoSimpleILi2ELi2ELi0ELi2ELi0ELi0EELi0ELi0ELi2ELi0EEEviiP15ncclDevWorkColl
	.type	_ZN12_GLOBAL__N_17runRingI14__hip_fp8_e4m310FuncMinMaxIS1_E11ProtoSimpleILi2ELi2ELi0ELi2ELi0ELi0EELi0ELi0ELi2ELi0EEEviiP15ncclDevWorkColl,@function
_ZN12_GLOBAL__N_17runRingI14__hip_fp8_e4m310FuncMinMaxIS1_E11ProtoSimpleILi2ELi2ELi0ELi2ELi0ELi0EELi0ELi0ELi2ELi0EEEviiP15ncclDevWorkColl: ; @_ZN12_GLOBAL__N_17runRingI14__hip_fp8_e4m310FuncMinMaxIS1_E11ProtoSimpleILi2ELi2ELi0ELi2ELi0ELi0EELi0ELi0ELi2ELi0EEEviiP15ncclDevWorkColl
; %bb.0:
	s_waitcnt vmcnt(0) expcnt(0) lgkmcnt(0)
	s_mov_b32 s4, s33
	s_mov_b32 s33, s32
	s_or_saveexec_b64 s[6:7], -1
	buffer_store_dword v63, off, s[0:3], s33 offset:336 ; 4-byte Folded Spill
	buffer_store_dword v62, off, s[0:3], s33 offset:340 ; 4-byte Folded Spill
	s_mov_b64 exec, s[6:7]
	v_writelane_b32 v63, s4, 34
	s_addk_i32 s32, 0x5800
	buffer_store_dword v40, off, s[0:3], s33 offset:52 ; 4-byte Folded Spill
	buffer_store_dword v41, off, s[0:3], s33 offset:48 ; 4-byte Folded Spill
	;; [unrolled: 1-line block ×13, first 2 shown]
	buffer_store_dword v61, off, s[0:3], s33 ; 4-byte Folded Spill
	v_writelane_b32 v63, s34, 0
	v_writelane_b32 v63, s35, 1
	;; [unrolled: 1-line block ×34, first 2 shown]
	v_mov_b32_e32 v19, v1
	buffer_store_dword v0, off, s[0:3], s33 offset:136 ; 4-byte Folded Spill
	s_trap 2
	flat_load_dword v1, v[2:3]
	ds_read_b32 v4, v0
	s_mov_b64 s[28:29], s[8:9]
                                        ; implicit-def: $vgpr14_vgpr15
                                        ; implicit-def: $vgpr5_vgpr6
                                        ; kill: killed $vgpr5_vgpr6
                                        ; implicit-def: $vgpr21_vgpr22
	s_waitcnt lgkmcnt(0)
	v_readfirstlane_b32 s68, v4
	s_waitcnt vmcnt(0)
	v_cmp_ne_u32_sdwa s[4:5], v4, v1 src0_sel:DWORD src1_sel:BYTE_0
	s_and_saveexec_b64 s[6:7], s[4:5]
	s_xor_b64 s[4:5], exec, s[6:7]
	s_cbranch_execz .LBB4_6
; %bb.1:
	v_not_b32_sdwa v0, v1 dst_sel:DWORD dst_unused:UNUSED_PAD src0_sel:BYTE_0
	v_cmp_ne_u32_sdwa s[6:7], v4, v1 src0_sel:DWORD src1_sel:BYTE_1
                                        ; implicit-def: $vgpr14_vgpr15
                                        ; implicit-def: $vgpr5_vgpr6
                                        ; kill: killed $vgpr5_vgpr6
                                        ; implicit-def: $vgpr21_vgpr22
	s_and_saveexec_b64 s[8:9], s[6:7]
	s_xor_b64 s[6:7], exec, s[8:9]
	s_cbranch_execz .LBB4_3
; %bb.2:
	flat_load_dwordx4 v[5:8], v[2:3] offset:72
	flat_load_dwordx2 v[9:10], v[2:3] offset:96
	v_add_u32_e32 v0, v4, v0
	v_ashrrev_i32_e32 v1, 31, v0
	s_waitcnt vmcnt(0) lgkmcnt(0)
	v_mul_lo_u32 v1, v7, v1
	v_mad_u64_u32 v[4:5], s[8:9], v7, v0, v[5:6]
	v_mul_lo_u32 v0, v8, v0
	v_mov_b32_e32 v22, v8
	v_lshrrev_b64 v[14:15], 12, v[9:10]
	v_mov_b32_e32 v21, v7
	v_add3_u32 v5, v0, v5, v1
	buffer_store_dword v4, off, s[0:3], s33 offset:292 ; 4-byte Folded Spill
	s_nop 0
	buffer_store_dword v5, off, s[0:3], s33 offset:296 ; 4-byte Folded Spill
                                        ; implicit-def: $vgpr1
                                        ; implicit-def: $vgpr0
.LBB4_3:
	s_andn2_saveexec_b64 s[6:7], s[6:7]
	s_cbranch_execz .LBB4_5
; %bb.4:
	flat_load_dwordx4 v[4:7], v[2:3] offset:72
	flat_load_dwordx4 v[21:24], v[2:3] offset:88
	v_add_u32_sdwa v0, v1, v0 dst_sel:DWORD dst_unused:UNUSED_PAD src0_sel:BYTE_1 src1_sel:DWORD
	v_ashrrev_i32_e32 v1, 31, v0
	s_waitcnt vmcnt(0) lgkmcnt(0)
	v_mul_lo_u32 v1, v6, v1
	v_mad_u64_u32 v[4:5], s[8:9], v6, v0, v[4:5]
	v_mul_lo_u32 v0, v7, v0
	v_lshrrev_b32_e32 v14, 1, v24
	v_add3_u32 v5, v0, v5, v1
	buffer_store_dword v4, off, s[0:3], s33 offset:292 ; 4-byte Folded Spill
	s_nop 0
	buffer_store_dword v5, off, s[0:3], s33 offset:296 ; 4-byte Folded Spill
.LBB4_5:
	s_or_b64 exec, exec, s[6:7]
.LBB4_6:
	s_andn2_saveexec_b64 s[4:5], s[4:5]
	s_cbranch_execz .LBB4_8
; %bb.7:
	flat_load_dwordx2 v[0:1], v[2:3] offset:96
	flat_load_dwordx2 v[21:22], v[2:3] offset:72
	s_waitcnt vmcnt(0) lgkmcnt(0)
	v_lshlrev_b64 v[14:15], 9, v[0:1]
	v_mov_b32_e32 v0, 0
	v_mov_b32_e32 v1, 0
	buffer_store_dword v0, off, s[0:3], s33 offset:292 ; 4-byte Folded Spill
	s_nop 0
	buffer_store_dword v1, off, s[0:3], s33 offset:296 ; 4-byte Folded Spill
.LBB4_8:
	s_or_b64 exec, exec, s[4:5]
	s_trap 2
	ds_read_b64 v[4:5], v0
	s_waitcnt lgkmcnt(0)
	v_cmp_ne_u32_e32 vcc, -1, v4
	v_cndmask_b32_e64 v1, 0, 1, vcc
	v_cmp_ne_u32_e32 vcc, -1, v5
	v_addc_co_u32_e64 v0, s[4:5], 0, v1, vcc
	v_lshlrev_b32_e32 v4, 1, v0
	v_cmp_le_u32_e64 s[4:5], v4, v19
	s_and_saveexec_b64 s[6:7], s[4:5]
	s_xor_b64 s[6:7], exec, s[6:7]
                                        ; implicit-def: $vgpr62 : SGPR spill to VGPR lane
	v_writelane_b32 v62, s6, 0
	v_writelane_b32 v62, s7, 1
	s_cbranch_execnz .LBB4_9
; %bb.10029:
	s_getpc_b64 s[98:99]
.Lpost_getpc6:
	s_add_u32 s98, s98, (.LBB4_10024-.Lpost_getpc6)&4294967295
	s_addc_u32 s99, s99, (.LBB4_10024-.Lpost_getpc6)>>32
	s_setpc_b64 s[98:99]
.LBB4_9:
	flat_load_dwordx4 v[10:13], v[2:3] offset:16
	flat_load_dwordx2 v[15:16], v[2:3] offset:104
	flat_load_ushort v7, v[2:3] offset:8
	flat_load_dword v6, v[2:3] offset:4
	s_trap 2
	s_load_dword s4, s[28:29], 0x0
	v_mov_b32_e32 v4, 0
	v_mov_b32_e32 v52, 4
	s_waitcnt lgkmcnt(0)
	s_cmp_lt_u32 s12, s4
	s_cselect_b32 s4, 12, 18
	s_add_u32 s4, s28, s4
	s_addc_u32 s5, s29, 0
	global_load_ushort v20, v4, s[4:5]
	ds_read_b32 v4, v0
	s_waitcnt lgkmcnt(0)
	v_readfirstlane_b32 s9, v4
	buffer_load_dword v4, off, s[0:3], s33 offset:136 ; 4-byte Folded Reload
	s_waitcnt vmcnt(0)
	v_cmp_ge_u32_e64 s[4:5], v4, v1
	s_and_saveexec_b64 s[6:7], s[4:5]
	s_cbranch_execz .LBB4_19
; %bb.10:
	buffer_load_dword v4, off, s[0:3], s33 offset:136 ; 4-byte Folded Reload
                                        ; implicit-def: $vgpr52
	s_waitcnt vmcnt(0)
	v_cmp_ge_u32_e64 s[4:5], v4, v0
	s_and_saveexec_b64 s[10:11], s[4:5]
	s_xor_b64 s[4:5], exec, s[10:11]
	s_cbranch_execz .LBB4_16
; %bb.11:
	buffer_load_dword v5, off, s[0:3], s33 offset:136 ; 4-byte Folded Reload
	v_cndmask_b32_e64 v4, 0, 1, vcc
	v_sub_u32_e32 v4, v19, v4
	s_waitcnt vmcnt(0)
	v_cmp_ge_u32_e32 vcc, v5, v4
	s_and_saveexec_b64 s[10:11], vcc
	s_xor_b64 s[10:11], exec, s[10:11]
; %bb.12:
                                        ; implicit-def: $vgpr0
; %bb.13:
	s_or_saveexec_b64 s[10:11], s[10:11]
	v_mov_b32_e32 v52, 16
	s_xor_b64 exec, exec, s[10:11]
	s_cbranch_execz .LBB4_15
; %bb.14:
	buffer_load_dword v4, off, s[0:3], s33 offset:136 ; 4-byte Folded Reload
	v_sub_u32_e32 v0, v19, v0
	s_waitcnt vmcnt(0)
	v_cmp_lt_i32_e32 vcc, v4, v0
	v_cndmask_b32_e64 v52, 32, 0, vcc
.LBB4_15:
	s_or_b64 exec, exec, s[10:11]
.LBB4_16:
	s_andn2_saveexec_b64 s[4:5], s[4:5]
; %bb.17:
	v_mov_b32_e32 v52, 8
; %bb.18:
	s_or_b64 exec, exec, s[4:5]
.LBB4_19:
	s_or_b64 exec, exec, s[6:7]
	v_and_b32_e32 v0, 36, v52
	v_cmp_ne_u32_e32 vcc, 0, v0
	v_mov_b32_e32 v8, -1
	s_and_saveexec_b64 s[4:5], vcc
	s_cbranch_execz .LBB4_21
; %bb.20:
	s_trap 2
	ds_read_b32 v8, v0
.LBB4_21:
	s_or_b64 exec, exec, s[4:5]
	v_and_b32_e32 v0, 24, v52
	v_cmp_ne_u32_e64 s[4:5], 0, v0
	s_and_saveexec_b64 s[6:7], s[4:5]
	s_cbranch_execz .LBB4_23
; %bb.22:
	s_trap 2
	s_waitcnt lgkmcnt(0)
	ds_read_b32 v8, v0
.LBB4_23:
	s_or_b64 exec, exec, s[6:7]
	v_lshrrev_b64 v[4:5], 31, v[6:7]
	v_mov_b32_e32 v5, 0
	v_mov_b32_e32 v6, 0
	buffer_store_dword v5, off, s[0:3], s33 offset:308 ; 4-byte Folded Spill
	s_nop 0
	buffer_store_dword v6, off, s[0:3], s33 offset:312 ; 4-byte Folded Spill
	v_mov_b32_e32 v5, 0
	v_mov_b32_e32 v6, 0
	buffer_store_dword v5, off, s[0:3], s33 offset:88 ; 4-byte Folded Spill
	s_nop 0
	buffer_store_dword v6, off, s[0:3], s33 offset:92 ; 4-byte Folded Spill
	buffer_store_dword v7, off, s[0:3], s33 offset:96 ; 4-byte Folded Spill
	s_waitcnt lgkmcnt(0)
	buffer_store_dword v8, off, s[0:3], s33 offset:100 ; 4-byte Folded Spill
	v_and_b32_e32 v0, 3, v4
                                        ; implicit-def: $vgpr4_vgpr5
                                        ; kill: killed $vgpr4_vgpr5
                                        ; implicit-def: $vgpr4
                                        ; kill: killed $vgpr4
                                        ; implicit-def: $vgpr4_vgpr5
                                        ; kill: killed $vgpr4_vgpr5
                                        ; implicit-def: $vgpr4_vgpr5
                                        ; kill: killed $vgpr4_vgpr5
                                        ; implicit-def: $vgpr48_vgpr49
                                        ; implicit-def: $vgpr32_vgpr33
	s_and_saveexec_b64 s[4:5], vcc
	s_cbranch_execz .LBB4_33
; %bb.24:
	s_trap 2
	ds_read_b64 v[4:5], v0
	v_ashrrev_i32_e32 v9, 31, v8
	v_lshlrev_b64 v[6:7], 3, v[8:9]
	s_movk_i32 s6, 0xa8
	s_waitcnt lgkmcnt(0)
	v_add_co_u32_e32 v4, vcc, v4, v6
	v_addc_co_u32_e32 v5, vcc, v5, v7, vcc
	flat_load_dwordx2 v[4:5], v[4:5]
	v_and_b32_e32 v6, 0xffff, v0
	s_waitcnt vmcnt(0) lgkmcnt(0)
	v_mad_u64_u32 v[17:18], s[6:7], v6, s6, v[4:5]
	flat_load_dword v4, v[17:18] offset:640
	s_waitcnt vmcnt(0) lgkmcnt(0)
	v_cmp_eq_u32_e32 vcc, 1, v4
                                        ; implicit-def: $vgpr4_vgpr5
                                        ; kill: killed $vgpr4_vgpr5
	s_and_saveexec_b64 s[6:7], vcc
	s_cbranch_execz .LBB4_26
; %bb.25:
	flat_load_dwordx2 v[6:7], v[17:18] offset:648
	v_or_b32_e32 v52, 0x2000, v52
	s_waitcnt vmcnt(0) lgkmcnt(0)
	flat_load_dwordx2 v[4:5], v[6:7]
	s_trap 2
	s_waitcnt vmcnt(0) lgkmcnt(0)
	ds_write_b64 v0, v[4:5]
	flat_load_dwordx2 v[4:5], v[6:7] offset:8
	s_waitcnt vmcnt(0) lgkmcnt(0)
	ds_write_b64 v0, v[4:5]
	buffer_store_dword v6, off, s[0:3], s33 offset:328 ; 4-byte Folded Spill
	s_nop 0
	buffer_store_dword v7, off, s[0:3], s33 offset:332 ; 4-byte Folded Spill
	flat_load_dwordx2 v[4:5], v[6:7] offset:16
	s_waitcnt vmcnt(0) lgkmcnt(0)
	ds_write_b64 v0, v[4:5]
.LBB4_26:
	s_or_b64 exec, exec, s[6:7]
	flat_load_dwordx2 v[4:5], v[17:18] offset:608
	v_and_b32_e32 v6, 32, v52
                                        ; implicit-def: $vgpr32_vgpr33
	s_waitcnt vmcnt(0) lgkmcnt(0)
	v_add_co_u32_e32 v4, vcc, 3, v4
	v_addc_co_u32_e32 v5, vcc, 0, v5, vcc
	v_and_b32_e32 v4, -4, v4
	v_cmp_ne_u32_e32 vcc, 0, v6
	buffer_store_dword v4, off, s[0:3], s33 offset:56 ; 4-byte Folded Spill
	s_nop 0
	buffer_store_dword v5, off, s[0:3], s33 offset:60 ; 4-byte Folded Spill
	s_and_saveexec_b64 s[6:7], vcc
	s_cbranch_execz .LBB4_28
; %bb.27:
	flat_load_dwordx2 v[32:33], v[17:18] offset:560
	buffer_load_dword v4, off, s[0:3], s33 offset:56 ; 4-byte Folded Reload
	buffer_load_dword v5, off, s[0:3], s33 offset:60 ; 4-byte Folded Reload
	s_waitcnt vmcnt(0) lgkmcnt(0)
	flat_store_dwordx2 v[32:33], v[4:5]
.LBB4_28:
	s_or_b64 exec, exec, s[6:7]
	v_add_co_u32_e32 v4, vcc, 0x1f8, v17
	v_addc_co_u32_e32 v5, vcc, 0, v18, vcc
	buffer_store_dword v4, off, s[0:3], s33 offset:308 ; 4-byte Folded Spill
	s_nop 0
	buffer_store_dword v5, off, s[0:3], s33 offset:312 ; 4-byte Folded Spill
	v_mov_b32_e32 v5, 0
	v_and_b32_e32 v4, 4, v52
	v_mov_b32_e32 v6, 0
	buffer_store_dword v5, off, s[0:3], s33 offset:88 ; 4-byte Folded Spill
	s_nop 0
	buffer_store_dword v6, off, s[0:3], s33 offset:92 ; 4-byte Folded Spill
	buffer_store_dword v7, off, s[0:3], s33 offset:96 ; 4-byte Folded Spill
	;; [unrolled: 1-line block ×3, first 2 shown]
	v_cmp_ne_u32_e32 vcc, 0, v4
                                        ; implicit-def: $vgpr4
                                        ; kill: killed $vgpr4
                                        ; implicit-def: $vgpr4_vgpr5
                                        ; kill: killed $vgpr4_vgpr5
                                        ; implicit-def: $vgpr48_vgpr49
	s_and_saveexec_b64 s[6:7], vcc
	s_cbranch_execz .LBB4_32
; %bb.29:
	v_and_b32_e32 v4, 0x800, v52
	v_cmp_eq_u32_e32 vcc, 0, v4
	s_and_saveexec_b64 s[10:11], vcc
	s_cbranch_execz .LBB4_31
; %bb.30:
	s_trap 2
	buffer_load_dword v4, off, s[0:3], s33 offset:308 ; 4-byte Folded Reload
	buffer_load_dword v5, off, s[0:3], s33 offset:312 ; 4-byte Folded Reload
	s_waitcnt vmcnt(0)
	ds_write_b64 v0, v[4:5]
.LBB4_31:
	s_or_b64 exec, exec, s[10:11]
	flat_load_dwordx2 v[32:33], v[17:18] offset:552
	s_waitcnt vmcnt(0) lgkmcnt(0)
	flat_load_dwordx2 v[48:49], v[32:33] glc
	flat_load_dwordx2 v[23:24], v[17:18] offset:600
	flat_load_dword v4, v[17:18] offset:576
	s_waitcnt vmcnt(0) lgkmcnt(0)
	v_cmp_eq_u64_e32 vcc, 0, v[23:24]
	buffer_store_dword v4, off, s[0:3], s33 offset:112 ; 4-byte Folded Spill
	flat_load_dwordx2 v[4:5], v[17:18] offset:520
	s_waitcnt vmcnt(0) lgkmcnt(0)
	buffer_store_dword v4, off, s[0:3], s33 offset:80 ; 4-byte Folded Spill
	s_nop 0
	buffer_store_dword v5, off, s[0:3], s33 offset:84 ; 4-byte Folded Spill
	v_or_b32_e32 v4, 0x100, v52
	v_mov_b32_e32 v5, v23
	v_mov_b32_e32 v6, v24
	v_cndmask_b32_e32 v52, v4, v52, vcc
	buffer_store_dword v5, off, s[0:3], s33 offset:88 ; 4-byte Folded Spill
	s_nop 0
	buffer_store_dword v6, off, s[0:3], s33 offset:92 ; 4-byte Folded Spill
	buffer_store_dword v7, off, s[0:3], s33 offset:96 ; 4-byte Folded Spill
	;; [unrolled: 1-line block ×3, first 2 shown]
.LBB4_32:
	s_or_b64 exec, exec, s[6:7]
.LBB4_33:
	s_or_b64 exec, exec, s[4:5]
	v_and_b32_e32 v4, 24, v52
	v_cmp_ne_u32_e32 vcc, 0, v4
                                        ; implicit-def: $vgpr4_vgpr5
                                        ; kill: killed $vgpr4_vgpr5
	s_and_saveexec_b64 s[4:5], vcc
	s_cbranch_execz .LBB4_41
; %bb.34:
	s_trap 2
	ds_read_b64 v[4:5], v0
	v_ashrrev_i32_e32 v9, 31, v8
	v_lshlrev_b64 v[6:7], 3, v[8:9]
	v_and_b32_e32 v0, 0xffff, v0
	s_movk_i32 s6, 0xa8
	s_waitcnt lgkmcnt(0)
	v_add_co_u32_e32 v4, vcc, v4, v6
	v_addc_co_u32_e32 v5, vcc, v5, v7, vcc
	flat_load_dwordx2 v[4:5], v[4:5]
	s_waitcnt vmcnt(0) lgkmcnt(0)
	v_mad_u64_u32 v[4:5], s[6:7], v0, s6, v[4:5]
	buffer_store_dword v4, off, s[0:3], s33 offset:308 ; 4-byte Folded Spill
	s_nop 0
	buffer_store_dword v5, off, s[0:3], s33 offset:312 ; 4-byte Folded Spill
	v_or_b32_e32 v0, 0x100, v52
	flat_load_dwordx4 v[4:7], v[4:5] offset:96
	s_waitcnt vmcnt(0) lgkmcnt(0)
	buffer_store_dword v4, off, s[0:3], s33 offset:88 ; 4-byte Folded Spill
	s_nop 0
	buffer_store_dword v5, off, s[0:3], s33 offset:92 ; 4-byte Folded Spill
	buffer_store_dword v6, off, s[0:3], s33 offset:96 ; 4-byte Folded Spill
	buffer_store_dword v7, off, s[0:3], s33 offset:100 ; 4-byte Folded Spill
	v_cmp_eq_u64_e32 vcc, 0, v[4:5]
                                        ; implicit-def: $vgpr4_vgpr5
                                        ; kill: killed $vgpr4_vgpr5
	v_cndmask_b32_e32 v52, v0, v52, vcc
	v_and_b32_e32 v0, 16, v52
	v_cmp_ne_u32_e32 vcc, 0, v0
	s_and_saveexec_b64 s[6:7], vcc
	s_cbranch_execz .LBB4_36
; %bb.35:
	buffer_load_dword v4, off, s[0:3], s33 offset:308 ; 4-byte Folded Reload
	buffer_load_dword v5, off, s[0:3], s33 offset:312 ; 4-byte Folded Reload
	s_waitcnt vmcnt(0)
	flat_load_dwordx2 v[32:33], v[4:5] offset:48
	flat_load_dwordx2 v[6:7], v[4:5] offset:120
	s_waitcnt vmcnt(0) lgkmcnt(0)
	buffer_store_dword v6, off, s[0:3], s33 offset:104 ; 4-byte Folded Spill
	s_nop 0
	buffer_store_dword v7, off, s[0:3], s33 offset:108 ; 4-byte Folded Spill
	flat_load_dwordx2 v[4:5], v[4:5] offset:16
	s_waitcnt vmcnt(0) lgkmcnt(0)
	buffer_store_dword v4, off, s[0:3], s33 offset:80 ; 4-byte Folded Spill
	s_nop 0
	buffer_store_dword v5, off, s[0:3], s33 offset:84 ; 4-byte Folded Spill
.LBB4_36:
	s_or_b64 exec, exec, s[6:7]
	buffer_load_dword v4, off, s[0:3], s33 offset:88 ; 4-byte Folded Reload
	buffer_load_dword v5, off, s[0:3], s33 offset:92 ; 4-byte Folded Reload
	;; [unrolled: 1-line block ×4, first 2 shown]
	s_waitcnt vmcnt(1)
	v_add_co_u32_e32 v0, vcc, 3, v6
	s_waitcnt vmcnt(0)
	v_addc_co_u32_e32 v5, vcc, 0, v7, vcc
	v_and_b32_e32 v4, -4, v0
	v_and_b32_e32 v0, 8, v52
	v_cmp_ne_u32_e32 vcc, 0, v0
	buffer_store_dword v4, off, s[0:3], s33 offset:56 ; 4-byte Folded Spill
	s_nop 0
	buffer_store_dword v5, off, s[0:3], s33 offset:60 ; 4-byte Folded Spill
	s_and_saveexec_b64 s[6:7], vcc
	s_cbranch_execz .LBB4_40
; %bb.37:
	v_and_b32_e32 v0, 0x800, v52
	v_cmp_eq_u32_e32 vcc, 0, v0
	s_and_saveexec_b64 s[10:11], vcc
	s_cbranch_execz .LBB4_39
; %bb.38:
	s_trap 2
	buffer_load_dword v4, off, s[0:3], s33 offset:308 ; 4-byte Folded Reload
	buffer_load_dword v5, off, s[0:3], s33 offset:312 ; 4-byte Folded Reload
	s_waitcnt vmcnt(0)
	ds_write_b64 v0, v[4:5]
.LBB4_39:
	s_or_b64 exec, exec, s[10:11]
	buffer_load_dword v4, off, s[0:3], s33 offset:308 ; 4-byte Folded Reload
	buffer_load_dword v5, off, s[0:3], s33 offset:312 ; 4-byte Folded Reload
	s_waitcnt vmcnt(0)
	flat_load_dwordx2 v[32:33], v[4:5] offset:56
	s_waitcnt vmcnt(0) lgkmcnt(0)
	flat_load_dwordx2 v[48:49], v[32:33] glc
	flat_load_dword v0, v[4:5] offset:72
	s_nop 0
	flat_load_dwordx2 v[4:5], v[4:5] offset:16
	s_waitcnt vmcnt(0) lgkmcnt(0)
	buffer_store_dword v0, off, s[0:3], s33 offset:112 ; 4-byte Folded Spill
	buffer_store_dword v4, off, s[0:3], s33 offset:80 ; 4-byte Folded Spill
	s_nop 0
	buffer_store_dword v5, off, s[0:3], s33 offset:84 ; 4-byte Folded Spill
.LBB4_40:
	s_or_b64 exec, exec, s[6:7]
.LBB4_41:
	s_or_b64 exec, exec, s[4:5]
	buffer_store_dword v21, off, s[0:3], s33 offset:276 ; 4-byte Folded Spill
	s_nop 0
	buffer_store_dword v22, off, s[0:3], s33 offset:280 ; 4-byte Folded Spill
	buffer_store_dword v23, off, s[0:3], s33 offset:284 ; 4-byte Folded Spill
	;; [unrolled: 1-line block ×3, first 2 shown]
	buffer_load_dword v0, off, s[0:3], s33 offset:136 ; 4-byte Folded Reload
	s_waitcnt vmcnt(0)
	v_cmp_eq_u32_e64 s[4:5], 0, v0
	s_and_saveexec_b64 s[6:7], s[4:5]
	s_cbranch_execz .LBB4_43
; %bb.42:
	flat_load_dwordx2 v[4:5], v[2:3] offset:32
	v_mov_b32_e32 v6, v12
	v_mov_b32_e32 v7, v13
	;; [unrolled: 1-line block ×4, first 2 shown]
	ds_write2_b64 v0, v[6:7], v[8:9] offset1:1
	s_trap 2
	s_waitcnt vmcnt(0) lgkmcnt(0)
	ds_write_b64 v0, v[4:5]
	ds_write_b64 v0, v[15:16]
.LBB4_43:
	s_or_b64 exec, exec, s[6:7]
	buffer_load_dword v4, off, s[0:3], s33 offset:276 ; 4-byte Folded Reload
	buffer_load_dword v5, off, s[0:3], s33 offset:280 ; 4-byte Folded Reload
	;; [unrolled: 1-line block ×4, first 2 shown]
	v_mov_b32_e32 v38, 0
	v_mov_b32_e32 v39, 0
	s_waitcnt vmcnt(0)
	v_cmp_lt_i64_e32 vcc, 0, v[4:5]
	s_mov_b64 s[6:7], exec
	v_writelane_b32 v62, s6, 2
	v_writelane_b32 v62, s7, 3
	s_and_b64 s[6:7], s[6:7], vcc
	s_mov_b64 exec, s[6:7]
	s_cbranch_execnz .LBB4_44
; %bb.10031:
	s_getpc_b64 s[98:99]
.Lpost_getpc7:
	s_add_u32 s98, s98, (.LBB4_9990-.Lpost_getpc7)&4294967295
	s_addc_u32 s99, s99, (.LBB4_9990-.Lpost_getpc7)>>32
	s_setpc_b64 s[98:99]
.LBB4_44:
	buffer_load_dword v5, off, s[0:3], s33 offset:136 ; 4-byte Folded Reload
	buffer_load_dword v6, off, s[0:3], s33 offset:112 ; 4-byte Folded Reload
	flat_load_dword v4, v[2:3] offset:4
	v_and_b32_e32 v0, 63, v31
	buffer_store_dword v31, off, s[0:3], s33 offset:320 ; 4-byte Folded Spill
	v_lshrrev_b32_e32 v57, 6, v19
	v_and_b32_e32 v9, 0x3fc0, v19
	s_ashr_i32 s69, s68, 31
	v_cmp_eq_u32_e64 s[16:17], 0, v0
	s_add_u32 s8, s68, -1
	v_lshlrev_b32_e32 v30, 10, v57
	s_movk_i32 s26, 0x400
	s_addc_u32 s85, s69, -1
	s_add_i32 s86, s68, s68
	s_not_b32 s27, s68
	v_writelane_b32 v62, s28, 4
	s_cmp_gt_i32 s68, 0
	v_writelane_b32 v62, s29, 5
	s_cselect_b32 s27, s27, -1
	s_ashr_i32 s28, s9, 31
	s_add_i32 s87, s27, s86
	s_ashr_i32 s96, s87, 31
	v_and_b32_e32 v2, 0x3ffffe00, v14
	v_mov_b32_e32 v3, 0
	s_mov_b32 s60, 0
	s_mov_b32 s62, -1
	v_mov_b32_e32 v38, 0
	s_mov_b32 s61, 0x1000000
	s_mov_b32 s63, 0xffffff
	v_cmp_eq_u32_e64 s[6:7], 64, v19
	v_cmp_ne_u32_e64 s[10:11], 64, v19
	v_cmp_ne_u32_sdwa s[72:73], v19, v20 src0_sel:DWORD src1_sel:WORD_0
	s_mov_b64 s[74:75], 0
	s_movk_i32 s70, 0xffc0
	s_movk_i32 s71, 0x108
	;; [unrolled: 1-line block ×4, first 2 shown]
	s_brev_b32 s82, 1
	s_mov_b64 s[76:77], 0x7f800000
	s_mov_b64 s[78:79], 0x43e00001
	s_movk_i32 s83, 0x7a
	s_mov_b64 s[88:89], 0xffffff
	v_bfrev_b32_e32 v54, 60
	v_lshlrev_b32_e32 v46, 11, v57
	v_mov_b32_e32 v39, 0
	s_waitcnt vmcnt(0)
	v_cmp_ge_u32_e32 vcc, v5, v19
	v_ashrrev_i32_e32 v6, 31, v6
	buffer_store_dword v6, off, s[0:3], s33 offset:132 ; 4-byte Folded Spill
	s_trap 2
	buffer_store_dword v20, off, s[0:3], s33 offset:324 ; 4-byte Folded Spill
	buffer_store_dword v19, off, s[0:3], s33 offset:316 ; 4-byte Folded Spill
	v_and_b32_e32 v7, 63, v5
	v_lshrrev_b32_e32 v8, 6, v5
	buffer_load_dword v5, off, s[0:3], s33 offset:104 ; 4-byte Folded Reload
	buffer_load_dword v6, off, s[0:3], s33 offset:108 ; 4-byte Folded Reload
	v_cmp_lt_u32_e64 s[20:21], v7, v1
	v_lshlrev_b32_e32 v0, 4, v7
	v_cmp_le_u32_e64 s[22:23], v7, v1
	v_subrev_u32_e32 v1, 64, v9
	buffer_store_dword v1, off, s[0:3], s33 offset:116 ; 4-byte Folded Spill
	buffer_store_dword v7, off, s[0:3], s33 offset:196 ; 4-byte Folded Spill
	;; [unrolled: 1-line block ×4, first 2 shown]
	v_cmp_eq_u32_e64 s[18:19], 0, v7
	s_waitcnt vmcnt(0)
	v_cmp_eq_u64_e64 s[12:13], 0, v[5:6]
	v_cmp_ne_u64_e64 s[14:15], 0, v[5:6]
	v_lshlrev_b32_e32 v5, 12, v57
	buffer_store_dword v5, off, s[0:3], s33 offset:236 ; 4-byte Folded Spill
	v_lshl_or_b32 v5, v8, 11, v0
	v_ashrrev_i32_e32 v6, 31, v1
	v_lshl_or_b32 v0, v8, 12, v0
	v_add_co_u32_e64 v1, s[24:25], 64, v1
	buffer_store_dword v5, off, s[0:3], s33 offset:232 ; 4-byte Folded Spill
	v_add_u32_e32 v5, 0xfffffc00, v30
	buffer_store_dword v0, off, s[0:3], s33 offset:240 ; 4-byte Folded Spill
	buffer_store_dword v1, off, s[0:3], s33 offset:124 ; 4-byte Folded Spill
	buffer_store_dword v6, off, s[0:3], s33 offset:120 ; 4-byte Folded Spill
	v_addc_co_u32_e64 v1, s[24:25], 0, v6, s[24:25]
	v_ashrrev_i32_e32 v0, 31, v5
	buffer_store_dword v1, off, s[0:3], s33 offset:128 ; 4-byte Folded Spill
	v_add_co_u32_e64 v1, s[24:25], s26, v5
	buffer_store_dword v5, off, s[0:3], s33 offset:140 ; 4-byte Folded Spill
	buffer_store_dword v1, off, s[0:3], s33 offset:148 ; 4-byte Folded Spill
	;; [unrolled: 1-line block ×3, first 2 shown]
	v_addc_co_u32_e64 v0, s[24:25], 0, v0, s[24:25]
	s_lshr_b32 s24, s28, 25
	s_add_i32 s9, s9, s24
	buffer_store_dword v0, off, s[0:3], s33 offset:152 ; 4-byte Folded Spill
	s_ashr_i32 s97, s9, 7
	s_waitcnt lgkmcnt(0)
	v_and_b32_e32 v0, 1, v4
	s_cmp_gt_i32 s68, 2
	v_cmp_eq_u32_e64 s[24:25], 1, v0
	s_cselect_b64 s[90:91], -1, 0
	s_add_i32 s9, s68, 1
	s_xor_b64 s[92:93], s[24:25], -1
	s_cmp_ge_i32 s9, s68
	s_cselect_b32 s26, s68, 0
	s_sub_i32 s59, s9, s26
	v_mad_i64_i32 v[8:9], s[26:27], v2, s68, 0
	buffer_store_dword v2, off, s[0:3], s33 offset:224 ; 4-byte Folded Spill
	s_nop 0
	buffer_store_dword v3, off, s[0:3], s33 offset:228 ; 4-byte Folded Spill
	buffer_load_dword v4, off, s[0:3], s33 offset:276 ; 4-byte Folded Reload
	buffer_load_dword v5, off, s[0:3], s33 offset:280 ; 4-byte Folded Reload
	;; [unrolled: 1-line block ×4, first 2 shown]
	s_waitcnt vmcnt(0)
	v_mov_b32_e32 v6, 0
	s_add_i32 s58, s68, -2
	s_xor_b64 s[94:95], vcc, -1
	s_ashr_i32 s56, s59, 31
	v_mov_b32_e32 v7, 0
	buffer_store_dword v57, off, s[0:3], s33 offset:68 ; 4-byte Folded Spill
	buffer_store_dword v30, off, s[0:3], s33 offset:64 ; 4-byte Folded Spill
	;; [unrolled: 1-line block ×4, first 2 shown]
	s_nop 0
	buffer_store_dword v9, off, s[0:3], s33 offset:304 ; 4-byte Folded Spill
	v_mov_b32_e32 v0, v4
	v_mov_b32_e32 v1, v5
	s_branch .LBB4_47
.LBB4_45:                               ;   in Loop: Header=BB4_47 Depth=1
	s_or_b64 exec, exec, s[40:41]
.LBB4_46:                               ;   in Loop: Header=BB4_47 Depth=1
	s_or_b64 exec, exec, s[28:29]
	buffer_load_dword v8, off, s[0:3], s33 offset:300 ; 4-byte Folded Reload
	buffer_load_dword v9, off, s[0:3], s33 offset:304 ; 4-byte Folded Reload
	;; [unrolled: 1-line block ×8, first 2 shown]
	s_waitcnt vmcnt(0)
	v_add_co_u32_e32 v0, vcc, v0, v8
	v_addc_co_u32_e32 v1, vcc, v1, v9, vcc
	v_mov_b32_e32 v7, v1
	v_mov_b32_e32 v6, v0
	;; [unrolled: 1-line block ×4, first 2 shown]
	v_cmp_ge_i64_e32 vcc, v[6:7], v[0:1]
	s_or_b64 s[74:75], vcc, s[74:75]
	s_andn2_b64 exec, exec, s[74:75]
	s_cbranch_execnz .LBB4_47
; %bb.10033:
	s_getpc_b64 s[98:99]
.Lpost_getpc8:
	s_add_u32 s98, s98, (.LBB4_9989-.Lpost_getpc8)&4294967295
	s_addc_u32 s99, s99, (.LBB4_9989-.Lpost_getpc8)>>32
	s_setpc_b64 s[98:99]
.LBB4_47:                               ; =>This Loop Header: Depth=1
                                        ;     Child Loop BB4_57 Depth 2
                                        ;       Child Loop BB4_65 Depth 3
                                        ;       Child Loop BB4_89 Depth 3
	;; [unrolled: 1-line block ×9, first 2 shown]
                                        ;     Child Loop BB4_197 Depth 2
                                        ;       Child Loop BB4_203 Depth 3
                                        ;       Child Loop BB4_227 Depth 3
                                        ;       Child Loop BB4_251 Depth 3
                                        ;     Child Loop BB4_269 Depth 2
                                        ;       Child Loop BB4_272 Depth 3
                                        ;         Child Loop BB4_280 Depth 4
                                        ;         Child Loop BB4_308 Depth 4
	;; [unrolled: 1-line block ×9, first 2 shown]
                                        ;       Child Loop BB4_3344 Depth 3
                                        ;         Child Loop BB4_3350 Depth 4
                                        ;         Child Loop BB4_3378 Depth 4
	;; [unrolled: 1-line block ×3, first 2 shown]
                                        ;     Child Loop BB4_3419 Depth 2
                                        ;       Child Loop BB4_3427 Depth 3
                                        ;       Child Loop BB4_3455 Depth 3
	;; [unrolled: 1-line block ×9, first 2 shown]
                                        ;         Child Loop BB4_5572 Depth 4
                                        ;       Child Loop BB4_5629 Depth 3
                                        ;       Child Loop BB4_6401 Depth 3
                                        ;         Child Loop BB4_6450 Depth 4
                                        ;       Child Loop BB4_9414 Depth 3
                                        ;       Child Loop BB4_9433 Depth 3
                                        ;     Child Loop BB4_9451 Depth 2
                                        ;       Child Loop BB4_9457 Depth 3
                                        ;       Child Loop BB4_9485 Depth 3
	;; [unrolled: 1-line block ×3, first 2 shown]
                                        ;     Child Loop BB4_9527 Depth 2
                                        ;       Child Loop BB4_9530 Depth 3
                                        ;         Child Loop BB4_9538 Depth 4
                                        ;         Child Loop BB4_9566 Depth 4
	;; [unrolled: 1-line block ×9, first 2 shown]
                                        ;           Child Loop BB4_9620 Depth 5
                                        ;         Child Loop BB4_9627 Depth 4
                                        ;         Child Loop BB4_9632 Depth 4
                                        ;           Child Loop BB4_9633 Depth 5
                                        ;         Child Loop BB4_9669 Depth 4
                                        ;         Child Loop BB4_9688 Depth 4
                                        ;       Child Loop BB4_9706 Depth 3
                                        ;         Child Loop BB4_9712 Depth 4
                                        ;         Child Loop BB4_9740 Depth 4
	;; [unrolled: 1-line block ×3, first 2 shown]
                                        ;     Child Loop BB4_9785 Depth 2
                                        ;       Child Loop BB4_9793 Depth 3
                                        ;       Child Loop BB4_9817 Depth 3
                                        ;       Child Loop BB4_9836 Depth 3
                                        ;       Child Loop BB4_9862 Depth 3
                                        ;       Child Loop BB4_9867 Depth 3
                                        ;       Child Loop BB4_9873 Depth 3
                                        ;       Child Loop BB4_9878 Depth 3
                                        ;       Child Loop BB4_9887 Depth 3
                                        ;       Child Loop BB4_9906 Depth 3
                                        ;     Child Loop BB4_9923 Depth 2
                                        ;       Child Loop BB4_9929 Depth 3
                                        ;       Child Loop BB4_9953 Depth 3
                                        ;       Child Loop BB4_9976 Depth 3
	v_sub_co_u32_e32 v0, vcc, v0, v6
	v_subb_co_u32_e32 v1, vcc, v1, v7, vcc
	buffer_store_dword v0, off, s[0:3], s33 offset:216 ; 4-byte Folded Spill
	s_nop 0
	buffer_store_dword v1, off, s[0:3], s33 offset:220 ; 4-byte Folded Spill
	v_cmp_lt_i64_e32 vcc, v[0:1], v[8:9]
	s_and_saveexec_b64 s[28:29], vcc
	s_cbranch_execz .LBB4_53
; %bb.48:                               ;   in Loop: Header=BB4_47 Depth=1
	buffer_load_dword v1, off, s[0:3], s33 offset:216 ; 4-byte Folded Reload
	buffer_load_dword v2, off, s[0:3], s33 offset:220 ; 4-byte Folded Reload
	v_mov_b32_e32 v0, s85
	v_mov_b32_e32 v4, v3
                                        ; implicit-def: $vgpr8_vgpr9
	s_waitcnt vmcnt(0)
	v_add_co_u32_e32 v1, vcc, s8, v1
	s_waitcnt vmcnt(0)
	v_addc_co_u32_e32 v2, vcc, v0, v2, vcc
	v_or_b32_e32 v5, s69, v2
	v_cmp_ne_u64_e32 vcc, 0, v[4:5]
	s_and_saveexec_b64 s[26:27], vcc
	s_xor_b64 s[40:41], exec, s[26:27]
	s_cbranch_execz .LBB4_50
; %bb.49:                               ;   in Loop: Header=BB4_47 Depth=1
	s_ashr_i32 s42, s69, 31
	s_add_u32 s26, s68, s42
	s_mov_b32 s43, s42
	s_addc_u32 s27, s69, s42
	s_xor_b64 s[44:45], s[26:27], s[42:43]
	v_cvt_f32_u32_e32 v0, s44
	v_cvt_f32_u32_e32 v4, s45
	s_sub_u32 s9, 0, s44
	s_subb_u32 s43, 0, s45
	v_mov_b32_e32 v13, v7
	v_mac_f32_e32 v0, 0x4f800000, v4
	v_rcp_f32_e32 v0, v0
	v_mov_b32_e32 v12, v6
	v_ashrrev_i32_e32 v6, 31, v2
	v_mul_f32_e32 v0, 0x5f7ffffc, v0
	v_mul_f32_e32 v4, 0x2f800000, v0
	v_trunc_f32_e32 v4, v4
	v_mac_f32_e32 v0, 0xcf800000, v4
	v_cvt_u32_f32_e32 v4, v4
	v_cvt_u32_f32_e32 v0, v0
	v_readfirstlane_b32 s46, v4
	v_readfirstlane_b32 s26, v0
	s_mul_i32 s27, s9, s46
	s_mul_hi_u32 s57, s9, s26
	s_mul_i32 s47, s43, s26
	s_add_i32 s27, s57, s27
	s_add_i32 s27, s27, s47
	s_mul_i32 vcc_lo, s9, s26
	s_mul_i32 s57, s26, s27
	s_mul_hi_u32 vcc_hi, s26, vcc_lo
	s_mul_hi_u32 s47, s26, s27
	s_add_u32 s57, vcc_hi, s57
	s_addc_u32 s47, 0, s47
	s_mul_hi_u32 s30, s46, vcc_lo
	s_mul_i32 vcc_lo, s46, vcc_lo
	s_add_u32 s57, s57, vcc_lo
	s_mul_hi_u32 vcc_hi, s46, s27
	s_addc_u32 s47, s47, s30
	s_addc_u32 s57, vcc_hi, 0
	s_mul_i32 s27, s46, s27
	s_add_u32 s27, s47, s27
	s_addc_u32 s47, 0, s57
	s_add_u32 s57, s26, s27
	s_cselect_b64 s[26:27], -1, 0
	s_cmp_lg_u64 s[26:27], 0
	s_addc_u32 s46, s46, s47
	s_mul_i32 s26, s9, s46
	s_mul_hi_u32 s27, s9, s57
	s_add_i32 s26, s27, s26
	s_mul_i32 s43, s43, s57
	s_add_i32 s26, s26, s43
	s_mul_i32 s9, s9, s57
	s_mul_hi_u32 s43, s46, s9
	s_mul_i32 s47, s46, s9
	s_mul_i32 vcc_hi, s57, s26
	s_mul_hi_u32 s9, s57, s9
	s_mul_hi_u32 vcc_lo, s57, s26
	s_add_u32 s9, s9, vcc_hi
	s_addc_u32 vcc_lo, 0, vcc_lo
	s_add_u32 s9, s9, s47
	s_mul_hi_u32 s27, s46, s26
	s_addc_u32 s9, vcc_lo, s43
	s_addc_u32 s27, s27, 0
	s_mul_i32 s26, s46, s26
	s_add_u32 s9, s9, s26
	s_addc_u32 s43, 0, s27
	s_add_u32 s9, s57, s9
	s_cselect_b64 s[26:27], -1, 0
	s_cmp_lg_u64 s[26:27], 0
	v_add_co_u32_e32 v0, vcc, v1, v6
	s_addc_u32 s43, s46, s43
	v_xor_b32_e32 v7, v0, v6
	v_mad_u64_u32 v[0:1], s[26:27], v7, s43, 0
	v_mul_hi_u32 v4, v7, s9
	v_addc_co_u32_e32 v2, vcc, v2, v6, vcc
	v_xor_b32_e32 v2, v2, v6
	v_add_co_u32_e32 v8, vcc, v4, v0
	v_addc_co_u32_e32 v9, vcc, 0, v1, vcc
	v_mad_u64_u32 v[0:1], s[26:27], v2, s9, 0
	v_mad_u64_u32 v[4:5], s[26:27], v2, s43, 0
	v_add_co_u32_e32 v0, vcc, v8, v0
	v_addc_co_u32_e32 v0, vcc, v9, v1, vcc
	v_addc_co_u32_e32 v1, vcc, 0, v5, vcc
	v_add_co_u32_e32 v4, vcc, v0, v4
	v_addc_co_u32_e32 v5, vcc, 0, v1, vcc
	v_mul_lo_u32 v8, s45, v4
	v_mul_lo_u32 v9, s44, v5
	v_mad_u64_u32 v[0:1], s[26:27], s44, v4, 0
	v_add3_u32 v1, v1, v9, v8
	v_sub_u32_e32 v8, v2, v1
	v_mov_b32_e32 v9, s45
	v_sub_co_u32_e32 v0, vcc, v7, v0
	v_subb_co_u32_e64 v7, s[26:27], v8, v9, vcc
	v_subrev_co_u32_e64 v8, s[26:27], s44, v0
	v_subbrev_co_u32_e64 v7, s[26:27], 0, v7, s[26:27]
	v_cmp_le_u32_e64 s[26:27], s45, v7
	v_cndmask_b32_e64 v9, 0, -1, s[26:27]
	v_cmp_le_u32_e64 s[26:27], s44, v8
	v_cndmask_b32_e64 v8, 0, -1, s[26:27]
	v_cmp_eq_u32_e64 s[26:27], s45, v7
	v_cndmask_b32_e64 v7, v9, v8, s[26:27]
	v_add_co_u32_e64 v8, s[26:27], 2, v4
	v_subb_co_u32_e32 v1, vcc, v2, v1, vcc
	v_addc_co_u32_e64 v9, s[26:27], 0, v5, s[26:27]
	v_cmp_le_u32_e32 vcc, s45, v1
	v_add_co_u32_e64 v10, s[26:27], 1, v4
	v_cndmask_b32_e64 v2, 0, -1, vcc
	v_cmp_le_u32_e32 vcc, s44, v0
	v_addc_co_u32_e64 v11, s[26:27], 0, v5, s[26:27]
	v_cndmask_b32_e64 v0, 0, -1, vcc
	v_cmp_eq_u32_e32 vcc, s45, v1
	v_cmp_ne_u32_e64 s[26:27], 0, v7
	v_cndmask_b32_e32 v0, v2, v0, vcc
	v_cmp_ne_u32_e32 vcc, 0, v0
	v_cndmask_b32_e64 v1, v10, v8, s[26:27]
	v_cndmask_b32_e64 v7, v11, v9, s[26:27]
	v_cndmask_b32_e32 v1, v4, v1, vcc
	v_xor_b32_e32 v2, s42, v6
	v_cndmask_b32_e32 v0, v5, v7, vcc
	v_xor_b32_e32 v1, v1, v2
	v_mov_b32_e32 v6, v12
	v_xor_b32_e32 v0, v0, v2
	v_sub_co_u32_e32 v8, vcc, v1, v2
	v_mov_b32_e32 v7, v13
	v_subb_co_u32_e32 v9, vcc, v0, v2, vcc
                                        ; implicit-def: $vgpr1
.LBB4_50:                               ;   in Loop: Header=BB4_47 Depth=1
	s_andn2_saveexec_b64 s[40:41], s[40:41]
	s_cbranch_execz .LBB4_52
; %bb.51:                               ;   in Loop: Header=BB4_47 Depth=1
	v_cvt_f32_u32_e32 v0, s68
	s_sub_i32 s9, 0, s68
	v_rcp_iflag_f32_e32 v0, v0
	v_mul_f32_e32 v0, 0x4f7ffffe, v0
	v_cvt_u32_f32_e32 v0, v0
	v_mul_lo_u32 v2, s9, v0
	v_mul_hi_u32 v2, v0, v2
	v_add_u32_e32 v0, v0, v2
	v_mul_hi_u32 v0, v1, v0
	v_mul_lo_u32 v2, v0, s68
	v_sub_u32_e32 v1, v1, v2
	v_cmp_le_u32_e32 vcc, s68, v1
	v_subrev_u32_e32 v2, s68, v1
	v_cndmask_b32_e32 v1, v1, v2, vcc
	v_cmp_le_u32_e64 s[26:27], s68, v1
	v_add_u32_e32 v1, 1, v0
	v_cndmask_b32_e32 v0, v0, v1, vcc
	v_add_u32_e32 v1, 1, v0
	v_cndmask_b32_e64 v2, v0, v1, s[26:27]
	v_mov_b32_e32 v9, v3
	v_mov_b32_e32 v8, v2
.LBB4_52:                               ;   in Loop: Header=BB4_47 Depth=1
	s_or_b64 exec, exec, s[40:41]
	v_add_co_u32_e32 v0, vcc, 15, v8
	v_addc_co_u32_e32 v1, vcc, 0, v9, vcc
	v_and_b32_e32 v0, -16, v0
	buffer_store_dword v0, off, s[0:3], s33 offset:224 ; 4-byte Folded Spill
	s_nop 0
	buffer_store_dword v1, off, s[0:3], s33 offset:228 ; 4-byte Folded Spill
.LBB4_53:                               ;   in Loop: Header=BB4_47 Depth=1
	s_or_b64 exec, exec, s[28:29]
	buffer_load_dword v4, off, s[0:3], s33 offset:224 ; 4-byte Folded Reload
	buffer_load_dword v5, off, s[0:3], s33 offset:228 ; 4-byte Folded Reload
	v_mov_b32_e32 v2, 0
	s_waitcnt vmcnt(0)
	v_mul_lo_u32 v1, v4, s96
	s_waitcnt vmcnt(0)
	v_mul_lo_u32 v0, v5, s87
	v_mad_u64_u32 v[10:11], s[26:27], v4, s87, 0
	v_add3_u32 v11, v11, v1, v0
	buffer_load_dword v0, off, s[0:3], s33 offset:292 ; 4-byte Folded Reload
	buffer_load_dword v1, off, s[0:3], s33 offset:296 ; 4-byte Folded Reload
	s_waitcnt vmcnt(0)
	v_add_co_u32_e32 v0, vcc, v6, v0
	buffer_store_dword v0, off, s[0:3], s33 offset:156 ; 4-byte Folded Spill
	buffer_store_dword v6, off, s[0:3], s33 offset:256 ; 4-byte Folded Spill
	s_nop 0
	buffer_store_dword v7, off, s[0:3], s33 offset:260 ; 4-byte Folded Spill
	v_mov_b32_e32 v6, 0
	s_waitcnt vmcnt(3)
	v_addc_co_u32_e32 v0, vcc, v7, v1, vcc
	buffer_store_dword v0, off, s[0:3], s33 offset:160 ; 4-byte Folded Spill
	buffer_load_dword v0, off, s[0:3], s33 offset:216 ; 4-byte Folded Reload
	s_nop 0
	buffer_load_dword v1, off, s[0:3], s33 offset:220 ; 4-byte Folded Reload
	s_waitcnt vmcnt(0)
	v_sub_co_u32_e32 v0, vcc, v0, v10
	s_waitcnt vmcnt(0)
	v_subb_co_u32_e32 v1, vcc, v1, v11, vcc
	v_cmp_lt_i64_e32 vcc, v[4:5], v[0:1]
	v_cndmask_b32_e32 v0, v0, v4, vcc
	v_max_i32_e32 v1, 0, v0
	v_add_u32_e32 v4, 31, v1
	v_lshrrev_b32_e32 v4, 1, v4
	v_and_b32_e32 v4, 0x3ffffff0, v4
	v_cmp_lt_i32_e32 vcc, 0, v0
	v_max_i32_e32 v8, s97, v4
	s_and_b64 s[26:27], s[94:95], vcc
	s_and_saveexec_b64 s[28:29], s[26:27]
	s_cbranch_execz .LBB4_193
; %bb.54:                               ;   in Loop: Header=BB4_47 Depth=1
	s_mov_b32 s9, 1
	s_mov_b64 s[42:43], -1
	v_mov_b32_e32 v6, 0
	s_mov_b64 s[40:41], 0
	s_branch .LBB4_57
.LBB4_55:                               ;   in Loop: Header=BB4_57 Depth=2
	s_or_b64 exec, exec, s[44:45]
	buffer_load_dword v4, off, s[0:3], s33 offset:56 ; 4-byte Folded Reload
	buffer_load_dword v5, off, s[0:3], s33 offset:60 ; 4-byte Folded Reload
	s_waitcnt vmcnt(0)
	v_add_co_u32_e32 v4, vcc, 2, v4
	v_addc_co_u32_e32 v5, vcc, 0, v5, vcc
	buffer_store_dword v4, off, s[0:3], s33 offset:56 ; 4-byte Folded Spill
	s_nop 0
	buffer_store_dword v5, off, s[0:3], s33 offset:60 ; 4-byte Folded Spill
	flat_store_dwordx2 v[32:33], v[4:5]
.LBB4_56:                               ;   in Loop: Header=BB4_57 Depth=2
	s_or_b64 exec, exec, s[26:27]
	v_add_u32_e32 v6, v8, v6
	v_cmp_ge_i32_e32 vcc, v6, v1
	s_xor_b64 s[26:27], s[42:43], -1
	s_or_b64 s[26:27], s[26:27], vcc
	s_and_b64 s[26:27], exec, s[26:27]
	s_or_b64 s[40:41], s[26:27], s[40:41]
	s_mov_b64 s[42:43], 0
	v_mov_b32_e32 v2, s9
	s_mov_b32 s9, 2
	s_andn2_b64 exec, exec, s[40:41]
	s_cbranch_execz .LBB4_192
.LBB4_57:                               ;   Parent Loop BB4_47 Depth=1
                                        ; =>  This Loop Header: Depth=2
                                        ;       Child Loop BB4_65 Depth 3
                                        ;       Child Loop BB4_89 Depth 3
	;; [unrolled: 1-line block ×9, first 2 shown]
	s_and_saveexec_b64 s[26:27], s[4:5]
	s_cbranch_execz .LBB4_59
; %bb.58:                               ;   in Loop: Header=BB4_57 Depth=2
	s_trap 2
	ds_read_b64 v[4:5], v0
	buffer_load_dword v0, off, s[0:3], s33 offset:156 ; 4-byte Folded Reload
	buffer_load_dword v2, off, s[0:3], s33 offset:160 ; 4-byte Folded Reload
	s_waitcnt vmcnt(0) lgkmcnt(0)
	v_add_co_u32_e32 v0, vcc, v4, v0
	s_waitcnt vmcnt(0)
	v_addc_co_u32_e32 v2, vcc, v5, v2, vcc
	v_add_co_u32_e32 v0, vcc, v0, v10
	v_addc_co_u32_e32 v2, vcc, v2, v11, vcc
	v_ashrrev_i32_e32 v5, 31, v6
	v_add_co_u32_e32 v4, vcc, v0, v6
	v_addc_co_u32_e32 v5, vcc, v2, v5, vcc
	v_mov_b32_e32 v2, v3
	ds_write_b64 v0, v[4:5]
	ds_write_b64 v0, v[2:3]
.LBB4_59:                               ;   in Loop: Header=BB4_57 Depth=2
	s_or_b64 exec, exec, s[26:27]
	v_sub_u32_e32 v0, v1, v6
	v_min_i32_e32 v8, v8, v0
	v_and_b32_e32 v0, 8, v52
	v_cmp_ne_u32_e32 vcc, 0, v0
	s_and_saveexec_b64 s[44:45], vcc
	s_cbranch_execz .LBB4_81
; %bb.60:                               ;   in Loop: Header=BB4_57 Depth=2
	buffer_load_dword v12, off, s[0:3], s33 offset:56 ; 4-byte Folded Reload
	buffer_load_dword v13, off, s[0:3], s33 offset:60 ; 4-byte Folded Reload
	s_waitcnt lgkmcnt(0)
	v_add_co_u32_e32 v4, vcc, 8, v48
	v_addc_co_u32_e32 v5, vcc, 0, v49, vcc
	s_waitcnt vmcnt(0)
	v_add_co_u32_e32 v12, vcc, 2, v12
	s_waitcnt vmcnt(0)
	v_addc_co_u32_e32 v13, vcc, 0, v13, vcc
	v_cmp_lt_u64_e32 vcc, v[4:5], v[12:13]
	s_and_saveexec_b64 s[46:47], vcc
	s_cbranch_execz .LBB4_72
; %bb.61:                               ;   in Loop: Header=BB4_57 Depth=2
	v_and_b32_e32 v0, 64, v52
	s_mov_b32 s57, 0
	v_cmp_eq_u32_e32 vcc, 0, v0
	s_mov_b64 s[30:31], 0
                                        ; implicit-def: $sgpr34_sgpr35
                                        ; implicit-def: $sgpr36_sgpr37
                                        ; implicit-def: $sgpr38_sgpr39
	s_branch .LBB4_65
.LBB4_62:                               ;   in Loop: Header=BB4_65 Depth=3
	s_waitcnt vmcnt(0) lgkmcnt(0)
	v_add_co_u32_e64 v4, s[26:27], 8, v48
	v_addc_co_u32_e64 v5, s[26:27], 0, v49, s[26:27]
	v_cmp_ge_u64_e64 s[26:27], v[4:5], v[12:13]
	s_or_b64 s[52:53], s[52:53], exec
	s_orn2_b64 s[50:51], s[26:27], exec
.LBB4_63:                               ;   in Loop: Header=BB4_65 Depth=3
	s_or_b64 exec, exec, s[64:65]
	s_andn2_b64 s[26:27], s[38:39], exec
	s_and_b64 s[38:39], s[52:53], exec
	s_or_b64 s[38:39], s[26:27], s[38:39]
	s_andn2_b64 s[26:27], s[36:37], exec
	s_and_b64 s[36:37], s[50:51], exec
	s_or_b64 s[36:37], s[26:27], s[36:37]
.LBB4_64:                               ;   in Loop: Header=BB4_65 Depth=3
	s_or_b64 exec, exec, s[48:49]
	s_and_b64 s[26:27], exec, s[36:37]
	s_or_b64 s[30:31], s[26:27], s[30:31]
	s_andn2_b64 s[26:27], s[34:35], exec
	s_and_b64 s[34:35], s[38:39], exec
	s_or_b64 s[34:35], s[26:27], s[34:35]
	s_andn2_b64 exec, exec, s[30:31]
	s_cbranch_execz .LBB4_69
.LBB4_65:                               ;   Parent Loop BB4_47 Depth=1
                                        ;     Parent Loop BB4_57 Depth=2
                                        ; =>    This Inner Loop Header: Depth=3
	s_sleep 1
	s_waitcnt vmcnt(0) lgkmcnt(0)
	flat_load_dwordx2 v[48:49], v[32:33] glc
	s_or_b64 s[38:39], s[38:39], exec
	s_or_b64 s[36:37], s[36:37], exec
                                        ; implicit-def: $vgpr2
	s_and_saveexec_b64 s[48:49], vcc
	s_cbranch_execz .LBB4_64
; %bb.66:                               ;   in Loop: Header=BB4_65 Depth=3
	s_cmpk_lt_i32 s57, 0x270f
	s_cselect_b64 s[54:55], -1, 0
	s_cmpk_gt_i32 s57, 0x270e
	s_mov_b64 s[50:51], -1
	s_cbranch_scc0 .LBB4_68
; %bb.67:                               ;   in Loop: Header=BB4_65 Depth=3
	s_trap 2
	ds_read_b64 v[4:5], v0
	s_andn2_b64 s[54:55], s[54:55], exec
	s_mov_b32 s57, 0
	s_mov_b64 s[52:53], 0
	s_waitcnt vmcnt(0) lgkmcnt(0)
	flat_load_dword v2, v[4:5] glc
	s_waitcnt vmcnt(0) lgkmcnt(0)
	buffer_wbinvl1_vol
	v_cmp_eq_u32_e64 s[26:27], 0, v2
	s_and_b64 s[26:27], s[26:27], exec
	s_or_b64 s[54:55], s[54:55], s[26:27]
	s_and_saveexec_b64 s[64:65], s[54:55]
	s_cbranch_execz .LBB4_63
	s_branch .LBB4_62
.LBB4_68:                               ;   in Loop: Header=BB4_65 Depth=3
	s_add_i32 s57, s57, 1
	s_mov_b64 s[52:53], -1
                                        ; implicit-def: $vgpr2
	s_and_saveexec_b64 s[64:65], s[54:55]
	s_cbranch_execz .LBB4_63
	s_branch .LBB4_62
.LBB4_69:                               ;   in Loop: Header=BB4_57 Depth=2
	s_or_b64 exec, exec, s[30:31]
	s_xor_b64 s[26:27], s[34:35], -1
	s_and_saveexec_b64 vcc, s[26:27]
	s_xor_b64 s[26:27], exec, vcc
	s_cbranch_execz .LBB4_71
; %bb.70:                               ;   in Loop: Header=BB4_57 Depth=2
	v_or_b32_e32 v52, 64, v52
	s_waitcnt lgkmcnt(0)
	ds_write_b32 v0, v2
	s_trap 2
.LBB4_71:                               ;   in Loop: Header=BB4_57 Depth=2
	s_or_b64 exec, exec, s[26:27]
.LBB4_72:                               ;   in Loop: Header=BB4_57 Depth=2
	s_or_b64 exec, exec, s[46:47]
	;;#ASMSTART
	s_wakeup
	;;#ASMEND
	buffer_load_dword v4, off, s[0:3], s33 offset:56 ; 4-byte Folded Reload
	buffer_load_dword v5, off, s[0:3], s33 offset:60 ; 4-byte Folded Reload
	v_and_b32_e32 v0, 0x100, v52
	v_cmp_ne_u32_e32 vcc, 0, v0
	s_mov_b64 s[26:27], -1
                                        ; implicit-def: $vgpr14_vgpr15
	s_waitcnt vmcnt(0)
	v_and_b32_e32 v2, 7, v4
	s_and_saveexec_b64 s[46:47], vcc
	s_cbranch_execz .LBB4_76
; %bb.73:                               ;   in Loop: Header=BB4_57 Depth=2
	buffer_load_dword v14, off, s[0:3], s33 offset:88 ; 4-byte Folded Reload
	buffer_load_dword v15, off, s[0:3], s33 offset:92 ; 4-byte Folded Reload
	buffer_load_dword v16, off, s[0:3], s33 offset:96 ; 4-byte Folded Reload
	buffer_load_dword v17, off, s[0:3], s33 offset:100 ; 4-byte Folded Reload
	v_ashrrev_i32_e32 v9, 31, v8
	s_waitcnt vmcnt(0)
	v_mad_u64_u32 v[4:5], s[26:27], v2, 24, v[14:15]
                                        ; implicit-def: $vgpr14_vgpr15
	flat_load_dword v0, v[4:5]
	s_nop 0
	flat_store_dwordx2 v[4:5], v[8:9] offset:8
	s_waitcnt vmcnt(0) lgkmcnt(0)
	v_cmp_ne_u32_e32 vcc, 1, v0
	v_cmp_eq_u32_e64 s[26:27], 1, v0
	s_and_saveexec_b64 s[30:31], s[26:27]
	s_cbranch_execz .LBB4_75
; %bb.74:                               ;   in Loop: Header=BB4_57 Depth=2
	flat_load_dword v14, v[4:5] offset:4 glc
	s_waitcnt vmcnt(0) lgkmcnt(0)
	v_ashrrev_i32_e32 v15, 31, v14
.LBB4_75:                               ;   in Loop: Header=BB4_57 Depth=2
	s_or_b64 exec, exec, s[30:31]
	s_orn2_b64 s[26:27], vcc, exec
.LBB4_76:                               ;   in Loop: Header=BB4_57 Depth=2
	s_or_b64 exec, exec, s[46:47]
	s_and_saveexec_b64 s[46:47], s[26:27]
	s_cbranch_execz .LBB4_78
; %bb.77:                               ;   in Loop: Header=BB4_57 Depth=2
	buffer_load_dword v0, off, s[0:3], s33 offset:112 ; 4-byte Folded Reload
	s_waitcnt vmcnt(0)
	v_mad_i64_i32 v[14:15], s[26:27], v2, v0, 0
.LBB4_78:                               ;   in Loop: Header=BB4_57 Depth=2
	s_or_b64 exec, exec, s[46:47]
	buffer_load_dword v4, off, s[0:3], s33 offset:80 ; 4-byte Folded Reload
	buffer_load_dword v5, off, s[0:3], s33 offset:84 ; 4-byte Folded Reload
	s_waitcnt vmcnt(0)
	v_add_co_u32_e32 v4, vcc, v4, v14
	v_addc_co_u32_e32 v5, vcc, v5, v15, vcc
	ds_write_b64 v0, v[4:5] offset:784
	v_and_b32_e32 v0, 0x2000, v52
	v_cmp_ne_u32_e32 vcc, 0, v0
	s_and_saveexec_b64 s[26:27], vcc
	s_cbranch_execz .LBB4_80
; %bb.79:                               ;   in Loop: Header=BB4_57 Depth=2
	ds_read_b64 v[4:5], v0 offset:872
	s_waitcnt lgkmcnt(0)
	v_add_co_u32_e32 v4, vcc, 1, v4
	v_addc_co_u32_e32 v5, vcc, 0, v5, vcc
	ds_write_b64 v0, v[4:5] offset:872
.LBB4_80:                               ;   in Loop: Header=BB4_57 Depth=2
	s_or_b64 exec, exec, s[26:27]
	buffer_store_dword v12, off, s[0:3], s33 offset:56 ; 4-byte Folded Spill
	s_nop 0
	buffer_store_dword v13, off, s[0:3], s33 offset:60 ; 4-byte Folded Spill
.LBB4_81:                               ;   in Loop: Header=BB4_57 Depth=2
	s_or_b64 exec, exec, s[44:45]
	s_and_saveexec_b64 s[26:27], s[10:11]
	s_cbranch_execz .LBB4_100
; %bb.82:                               ;   in Loop: Header=BB4_57 Depth=2
	s_and_saveexec_b64 s[44:45], s[72:73]
	s_xor_b64 s[44:45], exec, s[44:45]
	s_cbranch_execz .LBB4_97
; %bb.83:                               ;   in Loop: Header=BB4_57 Depth=2
	s_and_saveexec_b64 s[46:47], s[16:17]
	s_cbranch_execz .LBB4_96
; %bb.84:                               ;   in Loop: Header=BB4_57 Depth=2
	s_mov_b64 s[34:35], exec
	v_mbcnt_lo_u32_b32 v0, s34, 0
	v_mbcnt_hi_u32_b32 v0, s35, v0
	v_cmp_eq_u32_e32 vcc, 0, v0
	s_waitcnt vmcnt(0) lgkmcnt(0)
	buffer_wbinvl1_vol
	s_and_saveexec_b64 s[30:31], vcc
	s_cbranch_execz .LBB4_86
; %bb.85:                               ;   in Loop: Header=BB4_57 Depth=2
	s_bcnt1_i32_b64 s57, s[34:35]
	v_mov_b32_e32 v2, s57
	ds_add_u64 v0, v[2:3]
	s_trap 2
.LBB4_86:                               ;   in Loop: Header=BB4_57 Depth=2
	s_or_b64 exec, exec, s[30:31]
	s_trap 2
	ds_read_b64 v[4:5], v0
	s_waitcnt lgkmcnt(0)
	v_add_co_u32_e32 v38, vcc, v38, v57
	v_addc_co_u32_e32 v39, vcc, 0, v39, vcc
	v_cmp_lt_u64_e32 vcc, v[4:5], v[38:39]
	s_and_saveexec_b64 s[30:31], vcc
	s_cbranch_execz .LBB4_95
; %bb.87:                               ;   in Loop: Header=BB4_57 Depth=2
	s_mov_b32 s57, 0
	s_mov_b64 s[34:35], 0
                                        ; implicit-def: $sgpr36_sgpr37
                                        ; implicit-def: $sgpr38_sgpr39
	s_branch .LBB4_89
.LBB4_88:                               ;   in Loop: Header=BB4_89 Depth=3
	s_or_b64 exec, exec, s[50:51]
	s_and_b64 vcc, exec, vcc
	s_or_b64 s[34:35], vcc, s[34:35]
	s_andn2_b64 vcc, s[36:37], exec
	s_and_b64 s[36:37], s[38:39], exec
	s_or_b64 s[36:37], vcc, s[36:37]
	s_andn2_b64 exec, exec, s[34:35]
	s_cbranch_execz .LBB4_93
.LBB4_89:                               ;   Parent Loop BB4_47 Depth=1
                                        ;     Parent Loop BB4_57 Depth=2
                                        ; =>    This Inner Loop Header: Depth=3
	s_add_i32 s57, s57, 1
	s_cmpk_lg_i32 s57, 0x2710
	s_cselect_b64 s[48:49], -1, 0
	s_and_b64 vcc, exec, s[48:49]
	s_cbranch_vccz .LBB4_91
; %bb.90:                               ;   in Loop: Header=BB4_89 Depth=3
	s_mov_b64 vcc, -1
	s_or_b64 s[38:39], s[38:39], exec
	s_and_saveexec_b64 s[50:51], s[48:49]
	s_cbranch_execz .LBB4_88
	s_branch .LBB4_92
.LBB4_91:                               ;   in Loop: Header=BB4_89 Depth=3
	s_trap 2
	ds_read_b64 v[4:5], v0
	s_andn2_b64 s[48:49], s[48:49], exec
	s_mov_b32 s57, 0
	s_waitcnt lgkmcnt(0)
	flat_load_dword v0, v[4:5] glc
	s_waitcnt vmcnt(0) lgkmcnt(0)
	buffer_wbinvl1_vol
	v_cmp_eq_u32_e32 vcc, 0, v0
	s_and_b64 vcc, vcc, exec
	s_or_b64 s[48:49], s[48:49], vcc
	s_mov_b64 vcc, -1
	s_or_b64 s[38:39], s[38:39], exec
	s_and_saveexec_b64 s[50:51], s[48:49]
	s_cbranch_execz .LBB4_88
.LBB4_92:                               ;   in Loop: Header=BB4_89 Depth=3
	s_sleep 1
	s_trap 2
	ds_read_b64 v[4:5], v0
	s_waitcnt lgkmcnt(0)
	s_andn2_b64 s[38:39], s[38:39], exec
	v_cmp_ge_u64_e32 vcc, v[4:5], v[38:39]
	s_orn2_b64 vcc, vcc, exec
	s_branch .LBB4_88
.LBB4_93:                               ;   in Loop: Header=BB4_57 Depth=2
	s_or_b64 exec, exec, s[34:35]
	s_and_saveexec_b64 vcc, s[36:37]
	s_xor_b64 vcc, exec, vcc
	s_cbranch_execz .LBB4_95
; %bb.94:                               ;   in Loop: Header=BB4_57 Depth=2
	v_mov_b32_e32 v0, 1
	ds_write_b32 v0, v0
	s_trap 2
.LBB4_95:                               ;   in Loop: Header=BB4_57 Depth=2
	s_or_b64 exec, exec, s[30:31]
	;;#ASMSTART
	s_wakeup
	;;#ASMEND
.LBB4_96:                               ;   in Loop: Header=BB4_57 Depth=2
	s_or_b64 exec, exec, s[46:47]
.LBB4_97:                               ;   in Loop: Header=BB4_57 Depth=2
	s_andn2_saveexec_b64 s[44:45], s[44:45]
	s_cbranch_execz .LBB4_99
; %bb.98:                               ;   in Loop: Header=BB4_57 Depth=2
	s_waitcnt vmcnt(0) lgkmcnt(0)
	buffer_wbinvl1_vol
	s_barrier
.LBB4_99:                               ;   in Loop: Header=BB4_57 Depth=2
	s_or_b64 exec, exec, s[44:45]
.LBB4_100:                              ;   in Loop: Header=BB4_57 Depth=2
	s_or_b64 exec, exec, s[26:27]
	s_trap 2
	ds_read_b32 v4, v0
	v_and_b32_e32 v0, 0x4000, v52
	v_cmp_ne_u32_e32 vcc, 0, v0
	s_xor_b64 s[26:27], s[6:7], -1
	s_and_b64 s[44:45], s[26:27], vcc
	s_and_saveexec_b64 s[26:27], s[44:45]
	s_cbranch_execz .LBB4_119
; %bb.101:                              ;   in Loop: Header=BB4_57 Depth=2
	s_and_saveexec_b64 s[44:45], s[72:73]
	s_xor_b64 s[44:45], exec, s[44:45]
	s_cbranch_execz .LBB4_116
; %bb.102:                              ;   in Loop: Header=BB4_57 Depth=2
	s_and_saveexec_b64 s[46:47], s[16:17]
	s_cbranch_execz .LBB4_115
; %bb.103:                              ;   in Loop: Header=BB4_57 Depth=2
	s_mov_b64 s[34:35], exec
	v_mbcnt_lo_u32_b32 v0, s34, 0
	v_mbcnt_hi_u32_b32 v0, s35, v0
	v_cmp_eq_u32_e32 vcc, 0, v0
	s_waitcnt vmcnt(0) lgkmcnt(0)
	buffer_wbinvl1_vol
	s_and_saveexec_b64 s[30:31], vcc
	s_cbranch_execz .LBB4_105
; %bb.104:                              ;   in Loop: Header=BB4_57 Depth=2
	s_bcnt1_i32_b64 s57, s[34:35]
	v_mov_b32_e32 v2, s57
	ds_add_u64 v0, v[2:3]
	s_trap 2
.LBB4_105:                              ;   in Loop: Header=BB4_57 Depth=2
	s_or_b64 exec, exec, s[30:31]
	s_trap 2
	ds_read_b64 v[12:13], v0
	s_waitcnt lgkmcnt(0)
	v_add_co_u32_e32 v38, vcc, v38, v57
	v_addc_co_u32_e32 v39, vcc, 0, v39, vcc
	v_cmp_lt_u64_e32 vcc, v[12:13], v[38:39]
	s_and_saveexec_b64 s[30:31], vcc
	s_cbranch_execz .LBB4_114
; %bb.106:                              ;   in Loop: Header=BB4_57 Depth=2
	s_mov_b32 s57, 0
	s_mov_b64 s[34:35], 0
                                        ; implicit-def: $sgpr36_sgpr37
                                        ; implicit-def: $sgpr38_sgpr39
	s_branch .LBB4_108
.LBB4_107:                              ;   in Loop: Header=BB4_108 Depth=3
	s_or_b64 exec, exec, s[50:51]
	s_and_b64 vcc, exec, vcc
	s_or_b64 s[34:35], vcc, s[34:35]
	s_andn2_b64 vcc, s[36:37], exec
	s_and_b64 s[36:37], s[38:39], exec
	s_or_b64 s[36:37], vcc, s[36:37]
	s_andn2_b64 exec, exec, s[34:35]
	s_cbranch_execz .LBB4_112
.LBB4_108:                              ;   Parent Loop BB4_47 Depth=1
                                        ;     Parent Loop BB4_57 Depth=2
                                        ; =>    This Inner Loop Header: Depth=3
	s_add_i32 s57, s57, 1
	s_cmpk_lg_i32 s57, 0x2710
	s_cselect_b64 s[48:49], -1, 0
	s_and_b64 vcc, exec, s[48:49]
	s_cbranch_vccz .LBB4_110
; %bb.109:                              ;   in Loop: Header=BB4_108 Depth=3
	s_mov_b64 vcc, -1
	s_or_b64 s[38:39], s[38:39], exec
	s_and_saveexec_b64 s[50:51], s[48:49]
	s_cbranch_execz .LBB4_107
	s_branch .LBB4_111
.LBB4_110:                              ;   in Loop: Header=BB4_108 Depth=3
	s_trap 2
	ds_read_b64 v[12:13], v0
	s_andn2_b64 s[48:49], s[48:49], exec
	s_mov_b32 s57, 0
	s_waitcnt lgkmcnt(0)
	flat_load_dword v0, v[12:13] glc
	s_waitcnt vmcnt(0) lgkmcnt(0)
	buffer_wbinvl1_vol
	v_cmp_eq_u32_e32 vcc, 0, v0
	s_and_b64 vcc, vcc, exec
	s_or_b64 s[48:49], s[48:49], vcc
	s_mov_b64 vcc, -1
	s_or_b64 s[38:39], s[38:39], exec
	s_and_saveexec_b64 s[50:51], s[48:49]
	s_cbranch_execz .LBB4_107
.LBB4_111:                              ;   in Loop: Header=BB4_108 Depth=3
	s_sleep 1
	s_trap 2
	ds_read_b64 v[12:13], v0
	s_waitcnt lgkmcnt(0)
	s_andn2_b64 s[38:39], s[38:39], exec
	v_cmp_ge_u64_e32 vcc, v[12:13], v[38:39]
	s_orn2_b64 vcc, vcc, exec
	s_branch .LBB4_107
.LBB4_112:                              ;   in Loop: Header=BB4_57 Depth=2
	s_or_b64 exec, exec, s[34:35]
	s_and_saveexec_b64 vcc, s[36:37]
	s_xor_b64 vcc, exec, vcc
	s_cbranch_execz .LBB4_114
; %bb.113:                              ;   in Loop: Header=BB4_57 Depth=2
	v_mov_b32_e32 v0, 1
	ds_write_b32 v0, v0
	s_trap 2
.LBB4_114:                              ;   in Loop: Header=BB4_57 Depth=2
	s_or_b64 exec, exec, s[30:31]
	;;#ASMSTART
	s_wakeup
	;;#ASMEND
.LBB4_115:                              ;   in Loop: Header=BB4_57 Depth=2
	s_or_b64 exec, exec, s[46:47]
.LBB4_116:                              ;   in Loop: Header=BB4_57 Depth=2
	s_andn2_saveexec_b64 s[44:45], s[44:45]
	s_cbranch_execz .LBB4_118
; %bb.117:                              ;   in Loop: Header=BB4_57 Depth=2
	s_waitcnt vmcnt(0) lgkmcnt(0)
	buffer_wbinvl1_vol
	s_barrier
.LBB4_118:                              ;   in Loop: Header=BB4_57 Depth=2
	s_or_b64 exec, exec, s[44:45]
.LBB4_119:                              ;   in Loop: Header=BB4_57 Depth=2
	s_or_b64 exec, exec, s[26:27]
	s_trap 2
	ds_read_b64 v[12:13], v0
	s_waitcnt lgkmcnt(0)
	v_cmp_eq_u64_e32 vcc, 0, v[12:13]
	s_cbranch_vccnz .LBB4_127
; %bb.120:                              ;   in Loop: Header=BB4_57 Depth=2
	s_trap 2
	ds_read_b64 v[14:15], v0
	s_waitcnt lgkmcnt(0)
	v_cmp_eq_u64_e32 vcc, 0, v[14:15]
	s_cbranch_vccnz .LBB4_127
; %bb.121:                              ;   in Loop: Header=BB4_57 Depth=2
	s_mov_b64 s[26:27], -1
	s_and_saveexec_b64 s[44:45], s[18:19]
	s_cbranch_execz .LBB4_123
; %bb.122:                              ;   in Loop: Header=BB4_57 Depth=2
	ds_read_b32 v0, v0 offset:720
	s_waitcnt lgkmcnt(0)
	v_and_b32_e32 v0, 15, v0
	v_cmp_eq_u32_e32 vcc, 0, v0
	s_orn2_b64 s[26:27], vcc, exec
.LBB4_123:                              ;   in Loop: Header=BB4_57 Depth=2
	s_or_b64 exec, exec, s[44:45]
	s_and_saveexec_b64 s[44:45], s[20:21]
	s_cbranch_execz .LBB4_125
; %bb.124:                              ;   in Loop: Header=BB4_57 Depth=2
	ds_read_b32 v0, v0 offset:784
	s_waitcnt lgkmcnt(0)
	v_and_b32_e32 v0, 15, v0
	v_cmp_eq_u32_e32 vcc, 0, v0
	s_and_b64 s[46:47], s[26:27], vcc
	s_andn2_b64 s[26:27], s[26:27], exec
	s_and_b64 s[46:47], s[46:47], exec
	s_or_b64 s[26:27], s[26:27], s[46:47]
.LBB4_125:                              ;   in Loop: Header=BB4_57 Depth=2
	s_or_b64 exec, exec, s[44:45]
	buffer_load_dword v7, off, s[0:3], s33 offset:136 ; 4-byte Folded Reload
	v_cmp_eq_u32_e32 vcc, 0, v4
	s_xor_b64 s[26:27], s[26:27], -1
	v_cndmask_b32_e32 v2, 0, v8, vcc
	v_cndmask_b32_e64 v0, 0, 1, s[26:27]
	s_mov_b64 s[46:47], -1
	v_cmp_ne_u32_e32 vcc, 0, v0
	v_mov_b32_e32 v4, 0
	v_mov_b32_e32 v5, v2
	s_cbranch_vccz .LBB4_133
; %bb.126:                              ;   in Loop: Header=BB4_57 Depth=2
	s_and_saveexec_b64 s[26:27], s[46:47]
	s_cbranch_execnz .LBB4_144
	s_branch .LBB4_152
.LBB4_127:                              ;   in Loop: Header=BB4_57 Depth=2
	s_mov_b64 s[26:27], 0
	s_and_saveexec_b64 s[44:45], s[10:11]
	s_cbranch_execnz .LBB4_153
.LBB4_128:                              ;   in Loop: Header=BB4_57 Depth=2
	s_or_b64 exec, exec, s[44:45]
                                        ; implicit-def: $vgpr0
	s_and_saveexec_b64 s[44:45], s[24:25]
	s_xor_b64 s[44:45], exec, s[44:45]
	s_cbranch_execz .LBB4_171
.LBB4_129:                              ;   in Loop: Header=BB4_57 Depth=2
	v_and_b32_e32 v2, 16, v52
	v_cmp_ne_u32_e32 vcc, 0, v2
	s_waitcnt vmcnt(0)
	v_and_b32_e32 v0, 16, v52
	s_and_b64 s[46:47], vcc, s[26:27]
	s_and_saveexec_b64 s[26:27], s[46:47]
	s_cbranch_execz .LBB4_131
; %bb.130:                              ;   in Loop: Header=BB4_57 Depth=2
	v_mov_b32_e32 v0, 1
	s_waitcnt lgkmcnt(0)
	buffer_wbinvl1_vol
.LBB4_131:                              ;   in Loop: Header=BB4_57 Depth=2
	s_or_b64 exec, exec, s[26:27]
	s_andn2_saveexec_b64 s[26:27], s[44:45]
	s_cbranch_execnz .LBB4_172
.LBB4_132:                              ;   in Loop: Header=BB4_57 Depth=2
	s_or_b64 exec, exec, s[26:27]
	s_waitcnt vmcnt(0)
	v_cmp_ne_u32_e32 vcc, 0, v0
	s_and_saveexec_b64 s[26:27], vcc
	s_cbranch_execz .LBB4_56
	s_branch .LBB4_190
.LBB4_133:                              ;   in Loop: Header=BB4_57 Depth=2
	v_ashrrev_i32_e32 v0, 31, v2
	v_lshrrev_b32_e32 v0, 20, v0
	v_add_u32_e32 v0, v2, v0
	v_ashrrev_i32_e32 v4, 12, v0
	buffer_load_dword v0, off, s[0:3], s33 offset:184 ; 4-byte Folded Reload
	s_waitcnt vmcnt(0)
	v_sub_u32_e32 v20, v4, v0
	v_cmp_lt_i32_e32 vcc, 0, v20
	s_mov_b64 s[26:27], exec
	buffer_load_dword v0, off, s[0:3], s33 offset:236 ; 4-byte Folded Reload
	s_and_b64 s[44:45], s[26:27], vcc
	s_mov_b64 exec, s[44:45]
	s_cbranch_execz .LBB4_137
; %bb.134:                              ;   in Loop: Header=BB4_57 Depth=2
	buffer_load_dword v5, off, s[0:3], s33 offset:240 ; 4-byte Folded Reload
	v_mov_b32_e32 v17, v15
	v_mov_b32_e32 v19, v13
	s_mov_b64 s[44:45], 0
	v_mov_b32_e32 v16, v14
	v_mov_b32_e32 v18, v12
.LBB4_135:                              ;   Parent Loop BB4_47 Depth=1
                                        ;     Parent Loop BB4_57 Depth=2
                                        ; =>    This Inner Loop Header: Depth=3
	s_waitcnt vmcnt(0)
	v_add_co_u32_e32 v29, vcc, v5, v18
	v_addc_co_u32_e32 v30, vcc, 0, v19, vcc
	global_load_dwordx4 v[21:24], v[29:30], off glc slc
	global_load_dwordx4 v[25:28], v[29:30], off offset:1024 glc slc
	global_load_dwordx4 v[34:37], v[29:30], off offset:2048 glc slc
	global_load_dwordx4 v[42:45], v[29:30], off offset:3072 glc slc
	v_add_co_u32_e32 v29, vcc, v5, v16
	v_addc_co_u32_e32 v30, vcc, 0, v17, vcc
	v_add_co_u32_e32 v18, vcc, v18, v0
	v_addc_co_u32_e32 v19, vcc, 0, v19, vcc
	v_add_co_u32_e32 v16, vcc, v16, v0
	v_sub_u32_e32 v20, v20, v57
	v_addc_co_u32_e32 v17, vcc, 0, v17, vcc
	v_cmp_gt_i32_e32 vcc, 1, v20
	s_or_b64 s[44:45], vcc, s[44:45]
	s_waitcnt vmcnt(3)
	global_store_dwordx4 v[29:30], v[21:24], off glc slc
	s_waitcnt vmcnt(3)
	global_store_dwordx4 v[29:30], v[25:28], off offset:1024 glc slc
	s_waitcnt vmcnt(3)
	global_store_dwordx4 v[29:30], v[34:37], off offset:2048 glc slc
	;; [unrolled: 2-line block ×3, first 2 shown]
	s_andn2_b64 exec, exec, s[44:45]
	s_cbranch_execnz .LBB4_135
; %bb.136:                              ;   in Loop: Header=BB4_57 Depth=2
	s_or_b64 exec, exec, s[44:45]
	buffer_load_dword v30, off, s[0:3], s33 offset:64 ; 4-byte Folded Reload
.LBB4_137:                              ;   in Loop: Header=BB4_57 Depth=2
	s_or_b64 exec, exec, s[26:27]
	v_lshlrev_b32_e32 v9, 12, v4
	v_cmp_ne_u32_e32 vcc, v2, v9
	s_mov_b64 s[46:47], 0
	v_mov_b32_e32 v4, 0
                                        ; implicit-def: $vgpr5
                                        ; implicit-def: $vgpr7
	s_and_saveexec_b64 s[44:45], vcc
	s_cbranch_execz .LBB4_143
; %bb.138:                              ;   in Loop: Header=BB4_57 Depth=2
	buffer_load_dword v4, off, s[0:3], s33 offset:196 ; 4-byte Folded Reload
	s_waitcnt vmcnt(1)
	v_lshlrev_b32_e32 v0, 6, v20
	v_sub_u32_e32 v5, v2, v9
	s_waitcnt vmcnt(0)
	v_sub_u32_e32 v0, v4, v0
	v_ashrrev_i32_e32 v4, 31, v0
	v_lshrrev_b32_e32 v4, 26, v4
	v_add_u32_e32 v4, v0, v4
	v_ashrrev_i32_e32 v16, 6, v4
	v_and_b32_e32 v4, 0xffffffc0, v4
	v_sub_u32_e32 v7, v0, v4
	v_ashrrev_i32_e32 v4, 31, v5
	v_lshrrev_b32_e32 v4, 22, v4
	v_lshlrev_b32_e32 v0, 4, v7
	v_add_u32_e32 v4, v5, v4
	v_lshl_add_u32 v0, v16, 10, v0
	v_ashrrev_i32_e32 v18, 10, v4
	v_and_b32_e32 v4, 0xfffffc00, v4
	v_sub_u32_e32 v17, v5, v0
	v_sub_u32_e32 v5, v5, v4
	v_cmp_lt_i32_e32 vcc, 15, v5
	v_addc_co_u32_e64 v18, s[26:27], 0, v18, vcc
	v_sub_u32_e32 v16, v18, v16
	v_cmp_lt_i32_e64 s[26:27], 15, v17
	s_and_saveexec_b64 s[46:47], s[26:27]
	s_cbranch_execz .LBB4_142
; %bb.139:                              ;   in Loop: Header=BB4_57 Depth=2
	v_add_u32_e32 v18, v0, v9
	v_ashrrev_i32_e32 v0, 31, v18
	s_mov_b64 s[30:31], 0
.LBB4_140:                              ;   Parent Loop BB4_47 Depth=1
                                        ;     Parent Loop BB4_57 Depth=2
                                        ; =>    This Inner Loop Header: Depth=3
	v_add_co_u32_e64 v19, s[26:27], v12, v18
	v_addc_co_u32_e64 v20, s[26:27], v13, v0, s[26:27]
	global_load_dwordx4 v[19:22], v[19:20], off glc slc
	v_add_co_u32_e64 v23, s[26:27], v14, v18
	v_addc_co_u32_e64 v24, s[26:27], v15, v0, s[26:27]
	v_add_co_u32_e64 v18, s[26:27], v18, v30
	v_sub_u32_e32 v17, v17, v30
	v_addc_co_u32_e64 v0, s[26:27], 0, v0, s[26:27]
	v_cmp_gt_i32_e64 s[26:27], 16, v17
	v_sub_u32_e32 v16, v16, v57
	s_or_b64 s[30:31], s[26:27], s[30:31]
	s_waitcnt vmcnt(0)
	global_store_dwordx4 v[23:24], v[19:22], off glc slc
	s_andn2_b64 exec, exec, s[30:31]
	s_cbranch_execnz .LBB4_140
; %bb.141:                              ;   in Loop: Header=BB4_57 Depth=2
	s_or_b64 exec, exec, s[30:31]
.LBB4_142:                              ;   in Loop: Header=BB4_57 Depth=2
	s_or_b64 exec, exec, s[46:47]
	v_and_b32_e32 v0, 15, v2
	v_sub_u32_e32 v17, v5, v0
	v_cndmask_b32_e32 v17, 0, v17, vcc
	v_cndmask_b32_e32 v5, v5, v0, vcc
	v_cmp_lt_i32_e32 vcc, 0, v16
	v_cndmask_b32_e32 v0, 0, v57, vcc
	v_sub_u32_e32 v0, v0, v16
	v_cmp_ne_u32_e32 vcc, 0, v5
	v_add3_u32 v4, v4, v9, v17
	v_lshl_add_u32 v7, v0, 6, v7
	s_and_b64 s[46:47], vcc, exec
.LBB4_143:                              ;   in Loop: Header=BB4_57 Depth=2
	s_or_b64 exec, exec, s[44:45]
	s_and_saveexec_b64 s[26:27], s[46:47]
	s_cbranch_execz .LBB4_152
.LBB4_144:                              ;   in Loop: Header=BB4_57 Depth=2
	s_waitcnt vmcnt(0)
	v_ashrrev_i32_e32 v0, 31, v7
	v_ashrrev_i32_e32 v16, 31, v5
	v_lshrrev_b32_e32 v0, 26, v0
	v_lshrrev_b32_e32 v16, 22, v16
	v_add_u32_e32 v0, v7, v0
	v_add_u32_e32 v16, v5, v16
	v_ashrrev_i32_e32 v9, 6, v0
	v_ashrrev_i32_e32 v17, 10, v16
	v_sub_u32_e32 v16, v17, v9
	v_cmp_lt_i32_e32 vcc, 0, v16
	s_and_saveexec_b64 s[44:45], vcc
	s_cbranch_execz .LBB4_148
; %bb.145:                              ;   in Loop: Header=BB4_57 Depth=2
	v_and_b32_e32 v0, 0xffffffc0, v0
	v_sub_u32_e32 v0, v7, v0
	v_lshlrev_b32_e32 v18, 10, v9
	v_add3_u32 v18, v4, v0, v18
	v_ashrrev_i32_e32 v19, 31, v18
	s_mov_b64 s[46:47], 0
	v_mov_b32_e32 v51, v30
.LBB4_146:                              ;   Parent Loop BB4_47 Depth=1
                                        ;     Parent Loop BB4_57 Depth=2
                                        ; =>    This Inner Loop Header: Depth=3
	v_add_co_u32_e32 v20, vcc, v18, v12
	v_addc_co_u32_e32 v21, vcc, v19, v13, vcc
	flat_load_ubyte v0, v[20:21] glc slc
	flat_load_ubyte v22, v[20:21] offset:64 glc slc
	flat_load_ubyte v23, v[20:21] offset:128 glc slc
	;; [unrolled: 1-line block ×15, first 2 shown]
	v_add_co_u32_e32 v20, vcc, v18, v14
	v_addc_co_u32_e32 v21, vcc, v19, v15, vcc
	v_add_co_u32_e32 v12, vcc, v12, v51
	v_addc_co_u32_e32 v13, vcc, 0, v13, vcc
	v_add_co_u32_e32 v14, vcc, v14, v51
	v_sub_u32_e32 v16, v16, v57
	v_addc_co_u32_e32 v15, vcc, 0, v15, vcc
	v_cmp_gt_i32_e32 vcc, 1, v16
	s_or_b64 s[46:47], vcc, s[46:47]
	s_waitcnt vmcnt(0) lgkmcnt(0)
	flat_store_byte v[20:21], v0 glc slc
	flat_store_byte v[20:21], v22 offset:64 glc slc
	flat_store_byte v[20:21], v23 offset:128 glc slc
	;; [unrolled: 1-line block ×15, first 2 shown]
	s_andn2_b64 exec, exec, s[46:47]
	s_cbranch_execnz .LBB4_146
; %bb.147:                              ;   in Loop: Header=BB4_57 Depth=2
	s_or_b64 exec, exec, s[46:47]
	v_mov_b32_e32 v30, v51
.LBB4_148:                              ;   in Loop: Header=BB4_57 Depth=2
	s_or_b64 exec, exec, s[44:45]
	v_lshlrev_b32_e32 v0, 10, v17
	buffer_load_dword v17, off, s[0:3], s33 offset:72 ; 4-byte Folded Reload
	v_cmp_ne_u32_e32 vcc, v5, v0
	s_and_b64 s[44:45], exec, vcc
	s_mov_b64 exec, s[44:45]
	s_cbranch_execz .LBB4_152
; %bb.149:                              ;   in Loop: Header=BB4_57 Depth=2
	v_lshlrev_b32_e32 v9, 6, v9
	v_sub_u32_e32 v7, v7, v9
	v_lshlrev_b32_e32 v9, 6, v16
	v_sub_u32_e32 v7, v7, v9
	v_add_u32_e32 v0, v0, v7
	v_sub_u32_e32 v5, v5, v0
	v_cmp_lt_i32_e32 vcc, 0, v5
	s_and_b64 exec, exec, vcc
	s_cbranch_execz .LBB4_152
; %bb.150:                              ;   in Loop: Header=BB4_57 Depth=2
	v_add_u32_e32 v0, v0, v4
	s_trap 2
	ds_read_b64 v[12:13], v0
	v_ashrrev_i32_e32 v4, 31, v0
	s_mov_b64 s[44:45], 0
.LBB4_151:                              ;   Parent Loop BB4_47 Depth=1
                                        ;     Parent Loop BB4_57 Depth=2
                                        ; =>    This Inner Loop Header: Depth=3
	s_waitcnt lgkmcnt(0)
	v_add_co_u32_e32 v14, vcc, v12, v0
	v_addc_co_u32_e32 v15, vcc, v13, v4, vcc
	flat_load_ubyte v7, v[14:15] glc slc
	s_waitcnt vmcnt(0)
	v_add_co_u32_e32 v0, vcc, v0, v17
	v_sub_u32_e32 v5, v5, v17
	v_addc_co_u32_e32 v4, vcc, 0, v4, vcc
	v_cmp_gt_i32_e32 vcc, 1, v5
	s_or_b64 s[44:45], vcc, s[44:45]
	s_waitcnt lgkmcnt(0)
	flat_store_byte v[14:15], v7 glc slc
	s_andn2_b64 exec, exec, s[44:45]
	s_cbranch_execnz .LBB4_151
.LBB4_152:                              ;   in Loop: Header=BB4_57 Depth=2
	s_or_b64 exec, exec, s[26:27]
	v_cmp_lt_i32_e64 s[26:27], 0, v2
	s_and_saveexec_b64 s[44:45], s[10:11]
	s_cbranch_execz .LBB4_128
.LBB4_153:                              ;   in Loop: Header=BB4_57 Depth=2
	s_and_saveexec_b64 s[46:47], s[72:73]
	s_xor_b64 s[46:47], exec, s[46:47]
	s_cbranch_execz .LBB4_168
; %bb.154:                              ;   in Loop: Header=BB4_57 Depth=2
	s_and_saveexec_b64 s[30:31], s[16:17]
	s_cbranch_execz .LBB4_167
; %bb.155:                              ;   in Loop: Header=BB4_57 Depth=2
	s_mov_b64 s[36:37], exec
	s_waitcnt vmcnt(0)
	v_mbcnt_lo_u32_b32 v0, s36, 0
	v_mbcnt_hi_u32_b32 v0, s37, v0
	v_cmp_eq_u32_e32 vcc, 0, v0
	s_waitcnt lgkmcnt(0)
	buffer_wbinvl1_vol
	s_and_saveexec_b64 s[34:35], vcc
	s_cbranch_execz .LBB4_157
; %bb.156:                              ;   in Loop: Header=BB4_57 Depth=2
	s_bcnt1_i32_b64 s57, s[36:37]
	v_mov_b32_e32 v2, s57
	ds_add_u64 v0, v[2:3]
	s_trap 2
.LBB4_157:                              ;   in Loop: Header=BB4_57 Depth=2
	s_or_b64 exec, exec, s[34:35]
	s_trap 2
	ds_read_b64 v[4:5], v0
	s_waitcnt lgkmcnt(0)
	v_add_co_u32_e32 v38, vcc, v38, v57
	v_addc_co_u32_e32 v39, vcc, 0, v39, vcc
	v_cmp_lt_u64_e32 vcc, v[4:5], v[38:39]
	s_and_saveexec_b64 s[34:35], vcc
	s_cbranch_execz .LBB4_166
; %bb.158:                              ;   in Loop: Header=BB4_57 Depth=2
	s_mov_b32 s57, 0
	s_mov_b64 s[36:37], 0
                                        ; implicit-def: $sgpr38_sgpr39
                                        ; implicit-def: $sgpr48_sgpr49
	s_branch .LBB4_160
.LBB4_159:                              ;   in Loop: Header=BB4_160 Depth=3
	s_or_b64 exec, exec, s[52:53]
	s_and_b64 vcc, exec, vcc
	s_or_b64 s[36:37], vcc, s[36:37]
	s_andn2_b64 vcc, s[38:39], exec
	s_and_b64 s[38:39], s[48:49], exec
	s_or_b64 s[38:39], vcc, s[38:39]
	s_andn2_b64 exec, exec, s[36:37]
	s_cbranch_execz .LBB4_164
.LBB4_160:                              ;   Parent Loop BB4_47 Depth=1
                                        ;     Parent Loop BB4_57 Depth=2
                                        ; =>    This Inner Loop Header: Depth=3
	s_add_i32 s57, s57, 1
	s_cmpk_lg_i32 s57, 0x2710
	s_cselect_b64 s[50:51], -1, 0
	s_and_b64 vcc, exec, s[50:51]
	s_cbranch_vccz .LBB4_162
; %bb.161:                              ;   in Loop: Header=BB4_160 Depth=3
	s_mov_b64 vcc, -1
	s_or_b64 s[48:49], s[48:49], exec
	s_and_saveexec_b64 s[52:53], s[50:51]
	s_cbranch_execz .LBB4_159
	s_branch .LBB4_163
.LBB4_162:                              ;   in Loop: Header=BB4_160 Depth=3
	s_trap 2
	ds_read_b64 v[4:5], v0
	s_andn2_b64 s[50:51], s[50:51], exec
	s_mov_b32 s57, 0
	s_waitcnt lgkmcnt(0)
	flat_load_dword v0, v[4:5] glc
	s_waitcnt vmcnt(0) lgkmcnt(0)
	buffer_wbinvl1_vol
	v_cmp_eq_u32_e32 vcc, 0, v0
	s_and_b64 vcc, vcc, exec
	s_or_b64 s[50:51], s[50:51], vcc
	s_mov_b64 vcc, -1
	s_or_b64 s[48:49], s[48:49], exec
	s_and_saveexec_b64 s[52:53], s[50:51]
	s_cbranch_execz .LBB4_159
.LBB4_163:                              ;   in Loop: Header=BB4_160 Depth=3
	s_sleep 1
	s_trap 2
	ds_read_b64 v[4:5], v0
	s_waitcnt lgkmcnt(0)
	s_andn2_b64 s[48:49], s[48:49], exec
	v_cmp_ge_u64_e32 vcc, v[4:5], v[38:39]
	s_orn2_b64 vcc, vcc, exec
	s_branch .LBB4_159
.LBB4_164:                              ;   in Loop: Header=BB4_57 Depth=2
	s_or_b64 exec, exec, s[36:37]
	s_and_saveexec_b64 vcc, s[38:39]
	s_xor_b64 vcc, exec, vcc
	s_cbranch_execz .LBB4_166
; %bb.165:                              ;   in Loop: Header=BB4_57 Depth=2
	v_mov_b32_e32 v0, 1
	ds_write_b32 v0, v0
	s_trap 2
.LBB4_166:                              ;   in Loop: Header=BB4_57 Depth=2
	s_or_b64 exec, exec, s[34:35]
	;;#ASMSTART
	s_wakeup
	;;#ASMEND
.LBB4_167:                              ;   in Loop: Header=BB4_57 Depth=2
	s_or_b64 exec, exec, s[30:31]
.LBB4_168:                              ;   in Loop: Header=BB4_57 Depth=2
	s_andn2_saveexec_b64 s[46:47], s[46:47]
	s_cbranch_execz .LBB4_170
; %bb.169:                              ;   in Loop: Header=BB4_57 Depth=2
	s_waitcnt vmcnt(0) lgkmcnt(0)
	buffer_wbinvl1_vol
	s_barrier
.LBB4_170:                              ;   in Loop: Header=BB4_57 Depth=2
	s_or_b64 exec, exec, s[46:47]
	s_or_b64 exec, exec, s[44:45]
                                        ; implicit-def: $vgpr0
	s_and_saveexec_b64 s[44:45], s[24:25]
	s_xor_b64 s[44:45], exec, s[44:45]
	s_cbranch_execnz .LBB4_129
.LBB4_171:                              ;   in Loop: Header=BB4_57 Depth=2
	s_andn2_saveexec_b64 s[26:27], s[44:45]
	s_cbranch_execz .LBB4_132
.LBB4_172:                              ;   in Loop: Header=BB4_57 Depth=2
	s_and_saveexec_b64 s[44:45], s[72:73]
	s_xor_b64 s[44:45], exec, s[44:45]
	s_cbranch_execz .LBB4_187
; %bb.173:                              ;   in Loop: Header=BB4_57 Depth=2
	s_and_saveexec_b64 s[46:47], s[16:17]
	s_cbranch_execz .LBB4_186
; %bb.174:                              ;   in Loop: Header=BB4_57 Depth=2
	s_mov_b64 s[34:35], exec
	s_waitcnt vmcnt(0)
	v_mbcnt_lo_u32_b32 v0, s34, 0
	v_mbcnt_hi_u32_b32 v0, s35, v0
	v_cmp_eq_u32_e32 vcc, 0, v0
	;;#ASMSTART
	s_waitcnt lgkmcnt(0) vmcnt(0)
	;;#ASMEND
	s_and_saveexec_b64 s[30:31], vcc
	s_cbranch_execz .LBB4_176
; %bb.175:                              ;   in Loop: Header=BB4_57 Depth=2
	s_bcnt1_i32_b64 s57, s[34:35]
	v_mov_b32_e32 v2, s57
	s_waitcnt lgkmcnt(0)
	ds_add_u64 v0, v[2:3]
	s_trap 2
.LBB4_176:                              ;   in Loop: Header=BB4_57 Depth=2
	s_or_b64 exec, exec, s[30:31]
	s_trap 2
	ds_read_b64 v[4:5], v0
	s_waitcnt lgkmcnt(0)
	v_add_co_u32_e32 v38, vcc, v38, v57
	v_addc_co_u32_e32 v39, vcc, 0, v39, vcc
	v_cmp_lt_u64_e32 vcc, v[4:5], v[38:39]
	s_and_saveexec_b64 s[30:31], vcc
	s_cbranch_execz .LBB4_185
; %bb.177:                              ;   in Loop: Header=BB4_57 Depth=2
	s_mov_b32 s57, 0
	s_mov_b64 s[34:35], 0
                                        ; implicit-def: $sgpr36_sgpr37
                                        ; implicit-def: $sgpr38_sgpr39
	s_branch .LBB4_179
.LBB4_178:                              ;   in Loop: Header=BB4_179 Depth=3
	s_or_b64 exec, exec, s[50:51]
	s_and_b64 vcc, exec, vcc
	s_or_b64 s[34:35], vcc, s[34:35]
	s_andn2_b64 vcc, s[36:37], exec
	s_and_b64 s[36:37], s[38:39], exec
	s_or_b64 s[36:37], vcc, s[36:37]
	s_andn2_b64 exec, exec, s[34:35]
	s_cbranch_execz .LBB4_183
.LBB4_179:                              ;   Parent Loop BB4_47 Depth=1
                                        ;     Parent Loop BB4_57 Depth=2
                                        ; =>    This Inner Loop Header: Depth=3
	s_add_i32 s57, s57, 1
	s_cmpk_lg_i32 s57, 0x2710
	s_cselect_b64 s[48:49], -1, 0
	s_and_b64 vcc, exec, s[48:49]
	s_cbranch_vccz .LBB4_181
; %bb.180:                              ;   in Loop: Header=BB4_179 Depth=3
	s_mov_b64 vcc, -1
	s_or_b64 s[38:39], s[38:39], exec
	s_and_saveexec_b64 s[50:51], s[48:49]
	s_cbranch_execz .LBB4_178
	s_branch .LBB4_182
.LBB4_181:                              ;   in Loop: Header=BB4_179 Depth=3
	s_trap 2
	ds_read_b64 v[4:5], v0
	s_andn2_b64 s[48:49], s[48:49], exec
	s_mov_b32 s57, 0
	s_waitcnt lgkmcnt(0)
	flat_load_dword v0, v[4:5] glc
	s_waitcnt vmcnt(0) lgkmcnt(0)
	buffer_wbinvl1_vol
	v_cmp_eq_u32_e32 vcc, 0, v0
	s_and_b64 vcc, vcc, exec
	s_or_b64 s[48:49], s[48:49], vcc
	s_mov_b64 vcc, -1
	s_or_b64 s[38:39], s[38:39], exec
	s_and_saveexec_b64 s[50:51], s[48:49]
	s_cbranch_execz .LBB4_178
.LBB4_182:                              ;   in Loop: Header=BB4_179 Depth=3
	s_sleep 1
	s_trap 2
	ds_read_b64 v[4:5], v0
	s_waitcnt lgkmcnt(0)
	s_andn2_b64 s[38:39], s[38:39], exec
	v_cmp_ge_u64_e32 vcc, v[4:5], v[38:39]
	s_orn2_b64 vcc, vcc, exec
	s_branch .LBB4_178
.LBB4_183:                              ;   in Loop: Header=BB4_57 Depth=2
	s_or_b64 exec, exec, s[34:35]
	s_and_saveexec_b64 vcc, s[36:37]
	s_xor_b64 vcc, exec, vcc
	s_cbranch_execz .LBB4_185
; %bb.184:                              ;   in Loop: Header=BB4_57 Depth=2
	v_mov_b32_e32 v0, 1
	ds_write_b32 v0, v0
	s_trap 2
.LBB4_185:                              ;   in Loop: Header=BB4_57 Depth=2
	s_or_b64 exec, exec, s[30:31]
	;;#ASMSTART
	s_wakeup
	;;#ASMEND
.LBB4_186:                              ;   in Loop: Header=BB4_57 Depth=2
	s_or_b64 exec, exec, s[46:47]
.LBB4_187:                              ;   in Loop: Header=BB4_57 Depth=2
	s_andn2_saveexec_b64 s[44:45], s[44:45]
	s_cbranch_execz .LBB4_189
; %bb.188:                              ;   in Loop: Header=BB4_57 Depth=2
	;;#ASMSTART
	s_waitcnt lgkmcnt(0) vmcnt(0)
	;;#ASMEND
	s_waitcnt vmcnt(0) lgkmcnt(0)
	s_barrier
.LBB4_189:                              ;   in Loop: Header=BB4_57 Depth=2
	s_or_b64 exec, exec, s[44:45]
	s_waitcnt vmcnt(0)
	v_and_b32_e32 v0, 16, v52
	s_or_b64 exec, exec, s[26:27]
	v_cmp_ne_u32_e32 vcc, 0, v0
	s_and_saveexec_b64 s[26:27], vcc
	s_cbranch_execz .LBB4_56
.LBB4_190:                              ;   in Loop: Header=BB4_57 Depth=2
	s_and_saveexec_b64 s[44:45], s[14:15]
	s_cbranch_execz .LBB4_55
; %bb.191:                              ;   in Loop: Header=BB4_57 Depth=2
	buffer_load_dword v4, off, s[0:3], s33 offset:104 ; 4-byte Folded Reload
	buffer_load_dword v5, off, s[0:3], s33 offset:108 ; 4-byte Folded Reload
	v_mov_b32_e32 v0, 1
	s_waitcnt vmcnt(0)
	flat_store_dword v[4:5], v0
	s_branch .LBB4_55
.LBB4_192:                              ;   in Loop: Header=BB4_47 Depth=1
	s_or_b64 exec, exec, s[40:41]
.LBB4_193:                              ;   in Loop: Header=BB4_47 Depth=1
	s_or_b64 exec, exec, s[28:29]
	v_cmp_gt_i32_e32 vcc, 2, v2
	s_and_saveexec_b64 s[28:29], vcc
	s_cbranch_execz .LBB4_265
; %bb.194:                              ;   in Loop: Header=BB4_47 Depth=1
	v_cmp_eq_u32_e64 s[42:43], 0, v2
	s_mov_b64 s[40:41], 0
	s_branch .LBB4_197
.LBB4_195:                              ;   in Loop: Header=BB4_197 Depth=2
	s_or_b64 exec, exec, s[42:43]
	buffer_load_dword v4, off, s[0:3], s33 offset:56 ; 4-byte Folded Reload
	buffer_load_dword v5, off, s[0:3], s33 offset:60 ; 4-byte Folded Reload
	s_waitcnt vmcnt(0)
	v_add_co_u32_e32 v4, vcc, 2, v4
	v_addc_co_u32_e32 v5, vcc, 0, v5, vcc
	buffer_store_dword v4, off, s[0:3], s33 offset:56 ; 4-byte Folded Spill
	s_nop 0
	buffer_store_dword v5, off, s[0:3], s33 offset:60 ; 4-byte Folded Spill
	flat_store_dwordx2 v[32:33], v[4:5]
.LBB4_196:                              ;   in Loop: Header=BB4_197 Depth=2
	s_or_b64 exec, exec, s[26:27]
	v_add_u32_e32 v6, v8, v6
	s_mov_b64 s[42:43], 0
	s_andn2_b64 exec, exec, s[40:41]
	s_cbranch_execz .LBB4_264
.LBB4_197:                              ;   Parent Loop BB4_47 Depth=1
                                        ; =>  This Loop Header: Depth=2
                                        ;       Child Loop BB4_203 Depth 3
                                        ;       Child Loop BB4_227 Depth 3
	;; [unrolled: 1-line block ×3, first 2 shown]
	v_sub_u32_e32 v0, v1, v6
	v_min_i32_e32 v8, v8, v0
	v_and_b32_e32 v0, 8, v52
	v_cmp_ne_u32_e32 vcc, 0, v0
	s_and_saveexec_b64 s[44:45], vcc
	s_cbranch_execz .LBB4_219
; %bb.198:                              ;   in Loop: Header=BB4_197 Depth=2
	buffer_load_dword v10, off, s[0:3], s33 offset:56 ; 4-byte Folded Reload
	buffer_load_dword v11, off, s[0:3], s33 offset:60 ; 4-byte Folded Reload
	s_waitcnt lgkmcnt(0)
	v_add_co_u32_e32 v4, vcc, 8, v48
	v_addc_co_u32_e32 v5, vcc, 0, v49, vcc
	s_waitcnt vmcnt(0)
	v_add_co_u32_e32 v10, vcc, 2, v10
	v_addc_co_u32_e32 v11, vcc, 0, v11, vcc
	v_cmp_lt_u64_e32 vcc, v[4:5], v[10:11]
	s_and_saveexec_b64 s[46:47], vcc
	s_cbranch_execz .LBB4_210
; %bb.199:                              ;   in Loop: Header=BB4_197 Depth=2
	v_and_b32_e32 v0, 64, v52
	s_mov_b32 s9, 0
	v_cmp_eq_u32_e32 vcc, 0, v0
	s_mov_b64 s[30:31], 0
                                        ; implicit-def: $sgpr34_sgpr35
                                        ; implicit-def: $sgpr36_sgpr37
                                        ; implicit-def: $sgpr38_sgpr39
	s_branch .LBB4_203
.LBB4_200:                              ;   in Loop: Header=BB4_203 Depth=3
	s_waitcnt vmcnt(0) lgkmcnt(0)
	v_add_co_u32_e64 v4, s[26:27], 8, v48
	v_addc_co_u32_e64 v5, s[26:27], 0, v49, s[26:27]
	v_cmp_ge_u64_e64 s[26:27], v[4:5], v[10:11]
	s_or_b64 s[52:53], s[52:53], exec
	s_orn2_b64 s[50:51], s[26:27], exec
.LBB4_201:                              ;   in Loop: Header=BB4_203 Depth=3
	s_or_b64 exec, exec, s[64:65]
	s_andn2_b64 s[26:27], s[38:39], exec
	s_and_b64 s[38:39], s[52:53], exec
	s_or_b64 s[38:39], s[26:27], s[38:39]
	s_andn2_b64 s[26:27], s[36:37], exec
	s_and_b64 s[36:37], s[50:51], exec
	s_or_b64 s[36:37], s[26:27], s[36:37]
.LBB4_202:                              ;   in Loop: Header=BB4_203 Depth=3
	s_or_b64 exec, exec, s[48:49]
	s_and_b64 s[26:27], exec, s[36:37]
	s_or_b64 s[30:31], s[26:27], s[30:31]
	s_andn2_b64 s[26:27], s[34:35], exec
	s_and_b64 s[34:35], s[38:39], exec
	s_or_b64 s[34:35], s[26:27], s[34:35]
	s_andn2_b64 exec, exec, s[30:31]
	s_cbranch_execz .LBB4_207
.LBB4_203:                              ;   Parent Loop BB4_47 Depth=1
                                        ;     Parent Loop BB4_197 Depth=2
                                        ; =>    This Inner Loop Header: Depth=3
	s_sleep 1
	s_waitcnt vmcnt(0) lgkmcnt(0)
	flat_load_dwordx2 v[48:49], v[32:33] glc
	s_or_b64 s[38:39], s[38:39], exec
	s_or_b64 s[36:37], s[36:37], exec
                                        ; implicit-def: $vgpr2
	s_and_saveexec_b64 s[48:49], vcc
	s_cbranch_execz .LBB4_202
; %bb.204:                              ;   in Loop: Header=BB4_203 Depth=3
	s_cmpk_lt_i32 s9, 0x270f
	s_cselect_b64 s[54:55], -1, 0
	s_cmpk_gt_i32 s9, 0x270e
	s_mov_b64 s[50:51], -1
	s_cbranch_scc0 .LBB4_206
; %bb.205:                              ;   in Loop: Header=BB4_203 Depth=3
	s_trap 2
	ds_read_b64 v[4:5], v0
	s_andn2_b64 s[54:55], s[54:55], exec
	s_mov_b32 s9, 0
	s_mov_b64 s[52:53], 0
	s_waitcnt vmcnt(0) lgkmcnt(0)
	flat_load_dword v2, v[4:5] glc
	s_waitcnt vmcnt(0) lgkmcnt(0)
	buffer_wbinvl1_vol
	v_cmp_eq_u32_e64 s[26:27], 0, v2
	s_and_b64 s[26:27], s[26:27], exec
	s_or_b64 s[54:55], s[54:55], s[26:27]
	s_and_saveexec_b64 s[64:65], s[54:55]
	s_cbranch_execz .LBB4_201
	s_branch .LBB4_200
.LBB4_206:                              ;   in Loop: Header=BB4_203 Depth=3
	s_add_i32 s9, s9, 1
	s_mov_b64 s[52:53], -1
                                        ; implicit-def: $vgpr2
	s_and_saveexec_b64 s[64:65], s[54:55]
	s_cbranch_execz .LBB4_201
	s_branch .LBB4_200
.LBB4_207:                              ;   in Loop: Header=BB4_197 Depth=2
	s_or_b64 exec, exec, s[30:31]
	s_xor_b64 s[26:27], s[34:35], -1
	s_and_saveexec_b64 vcc, s[26:27]
	s_xor_b64 s[26:27], exec, vcc
	s_cbranch_execz .LBB4_209
; %bb.208:                              ;   in Loop: Header=BB4_197 Depth=2
	v_or_b32_e32 v52, 64, v52
	s_waitcnt lgkmcnt(0)
	ds_write_b32 v0, v2
	s_trap 2
.LBB4_209:                              ;   in Loop: Header=BB4_197 Depth=2
	s_or_b64 exec, exec, s[26:27]
.LBB4_210:                              ;   in Loop: Header=BB4_197 Depth=2
	s_or_b64 exec, exec, s[46:47]
	;;#ASMSTART
	s_wakeup
	;;#ASMEND
	buffer_load_dword v4, off, s[0:3], s33 offset:56 ; 4-byte Folded Reload
	buffer_load_dword v5, off, s[0:3], s33 offset:60 ; 4-byte Folded Reload
	v_and_b32_e32 v0, 0x100, v52
	v_cmp_ne_u32_e32 vcc, 0, v0
	s_mov_b64 s[26:27], -1
                                        ; implicit-def: $vgpr12_vgpr13
	s_waitcnt vmcnt(0)
	v_and_b32_e32 v2, 7, v4
	s_and_saveexec_b64 s[46:47], vcc
	s_cbranch_execz .LBB4_214
; %bb.211:                              ;   in Loop: Header=BB4_197 Depth=2
	buffer_load_dword v12, off, s[0:3], s33 offset:88 ; 4-byte Folded Reload
	buffer_load_dword v13, off, s[0:3], s33 offset:92 ; 4-byte Folded Reload
	;; [unrolled: 1-line block ×4, first 2 shown]
	v_ashrrev_i32_e32 v9, 31, v8
	s_waitcnt vmcnt(0)
	v_mad_u64_u32 v[4:5], s[26:27], v2, 24, v[12:13]
                                        ; implicit-def: $vgpr12_vgpr13
	flat_load_dword v0, v[4:5]
	s_nop 0
	flat_store_dwordx2 v[4:5], v[8:9] offset:8
	s_waitcnt vmcnt(0) lgkmcnt(0)
	v_cmp_ne_u32_e32 vcc, 1, v0
	v_cmp_eq_u32_e64 s[26:27], 1, v0
	s_and_saveexec_b64 s[30:31], s[26:27]
	s_cbranch_execz .LBB4_213
; %bb.212:                              ;   in Loop: Header=BB4_197 Depth=2
	flat_load_dword v12, v[4:5] offset:4 glc
	s_waitcnt vmcnt(0) lgkmcnt(0)
	v_ashrrev_i32_e32 v13, 31, v12
.LBB4_213:                              ;   in Loop: Header=BB4_197 Depth=2
	s_or_b64 exec, exec, s[30:31]
	s_orn2_b64 s[26:27], vcc, exec
.LBB4_214:                              ;   in Loop: Header=BB4_197 Depth=2
	s_or_b64 exec, exec, s[46:47]
	s_and_saveexec_b64 s[46:47], s[26:27]
	s_cbranch_execz .LBB4_216
; %bb.215:                              ;   in Loop: Header=BB4_197 Depth=2
	buffer_load_dword v0, off, s[0:3], s33 offset:112 ; 4-byte Folded Reload
	s_waitcnt vmcnt(0)
	v_mad_i64_i32 v[12:13], s[26:27], v2, v0, 0
.LBB4_216:                              ;   in Loop: Header=BB4_197 Depth=2
	s_or_b64 exec, exec, s[46:47]
	buffer_load_dword v4, off, s[0:3], s33 offset:80 ; 4-byte Folded Reload
	buffer_load_dword v5, off, s[0:3], s33 offset:84 ; 4-byte Folded Reload
	s_waitcnt vmcnt(0)
	v_add_co_u32_e32 v4, vcc, v4, v12
	v_addc_co_u32_e32 v5, vcc, v5, v13, vcc
	ds_write_b64 v0, v[4:5] offset:784
	v_and_b32_e32 v0, 0x2000, v52
	v_cmp_ne_u32_e32 vcc, 0, v0
	s_and_saveexec_b64 s[26:27], vcc
	s_cbranch_execz .LBB4_218
; %bb.217:                              ;   in Loop: Header=BB4_197 Depth=2
	ds_read_b64 v[4:5], v0 offset:872
	s_waitcnt lgkmcnt(0)
	v_add_co_u32_e32 v4, vcc, 1, v4
	v_addc_co_u32_e32 v5, vcc, 0, v5, vcc
	ds_write_b64 v0, v[4:5] offset:872
.LBB4_218:                              ;   in Loop: Header=BB4_197 Depth=2
	s_or_b64 exec, exec, s[26:27]
	buffer_store_dword v10, off, s[0:3], s33 offset:56 ; 4-byte Folded Spill
	s_nop 0
	buffer_store_dword v11, off, s[0:3], s33 offset:60 ; 4-byte Folded Spill
.LBB4_219:                              ;   in Loop: Header=BB4_197 Depth=2
	s_or_b64 exec, exec, s[44:45]
	s_xor_b64 s[26:27], s[42:43], -1
	s_and_b64 s[26:27], exec, s[26:27]
	s_or_b64 s[40:41], s[26:27], s[40:41]
	s_and_saveexec_b64 s[26:27], s[10:11]
	s_cbranch_execz .LBB4_238
; %bb.220:                              ;   in Loop: Header=BB4_197 Depth=2
	s_and_saveexec_b64 s[42:43], s[72:73]
	s_xor_b64 s[42:43], exec, s[42:43]
	s_cbranch_execz .LBB4_235
; %bb.221:                              ;   in Loop: Header=BB4_197 Depth=2
	s_and_saveexec_b64 s[44:45], s[16:17]
	s_cbranch_execz .LBB4_234
; %bb.222:                              ;   in Loop: Header=BB4_197 Depth=2
	s_mov_b64 s[30:31], exec
	v_mbcnt_lo_u32_b32 v0, s30, 0
	v_mbcnt_hi_u32_b32 v0, s31, v0
	v_cmp_eq_u32_e32 vcc, 0, v0
	s_waitcnt vmcnt(0) lgkmcnt(0)
	buffer_wbinvl1_vol
	s_and_saveexec_b64 s[46:47], vcc
	s_cbranch_execz .LBB4_224
; %bb.223:                              ;   in Loop: Header=BB4_197 Depth=2
	s_bcnt1_i32_b64 s9, s[30:31]
	v_mov_b32_e32 v2, s9
	ds_add_u64 v0, v[2:3]
	s_trap 2
.LBB4_224:                              ;   in Loop: Header=BB4_197 Depth=2
	s_or_b64 exec, exec, s[46:47]
	s_trap 2
	ds_read_b64 v[4:5], v0
	s_waitcnt lgkmcnt(0)
	v_add_co_u32_e32 v38, vcc, v38, v57
	v_addc_co_u32_e32 v39, vcc, 0, v39, vcc
	v_cmp_lt_u64_e32 vcc, v[4:5], v[38:39]
	s_and_saveexec_b64 s[46:47], vcc
	s_cbranch_execz .LBB4_233
; %bb.225:                              ;   in Loop: Header=BB4_197 Depth=2
	s_mov_b32 s9, 0
	s_mov_b64 s[30:31], 0
                                        ; implicit-def: $sgpr34_sgpr35
                                        ; implicit-def: $sgpr36_sgpr37
	s_branch .LBB4_227
.LBB4_226:                              ;   in Loop: Header=BB4_227 Depth=3
	s_or_b64 exec, exec, s[48:49]
	s_and_b64 vcc, exec, vcc
	s_or_b64 s[30:31], vcc, s[30:31]
	s_andn2_b64 vcc, s[34:35], exec
	s_and_b64 s[34:35], s[36:37], exec
	s_or_b64 s[34:35], vcc, s[34:35]
	s_andn2_b64 exec, exec, s[30:31]
	s_cbranch_execz .LBB4_231
.LBB4_227:                              ;   Parent Loop BB4_47 Depth=1
                                        ;     Parent Loop BB4_197 Depth=2
                                        ; =>    This Inner Loop Header: Depth=3
	s_add_i32 s9, s9, 1
	s_cmpk_lg_i32 s9, 0x2710
	s_cselect_b64 s[38:39], -1, 0
	s_and_b64 vcc, exec, s[38:39]
	s_cbranch_vccz .LBB4_229
; %bb.228:                              ;   in Loop: Header=BB4_227 Depth=3
	s_mov_b64 vcc, -1
	s_or_b64 s[36:37], s[36:37], exec
	s_and_saveexec_b64 s[48:49], s[38:39]
	s_cbranch_execz .LBB4_226
	s_branch .LBB4_230
.LBB4_229:                              ;   in Loop: Header=BB4_227 Depth=3
	s_trap 2
	ds_read_b64 v[4:5], v0
	s_andn2_b64 s[38:39], s[38:39], exec
	s_mov_b32 s9, 0
	s_waitcnt lgkmcnt(0)
	flat_load_dword v0, v[4:5] glc
	s_waitcnt vmcnt(0) lgkmcnt(0)
	buffer_wbinvl1_vol
	v_cmp_eq_u32_e32 vcc, 0, v0
	s_and_b64 vcc, vcc, exec
	s_or_b64 s[38:39], s[38:39], vcc
	s_mov_b64 vcc, -1
	s_or_b64 s[36:37], s[36:37], exec
	s_and_saveexec_b64 s[48:49], s[38:39]
	s_cbranch_execz .LBB4_226
.LBB4_230:                              ;   in Loop: Header=BB4_227 Depth=3
	s_sleep 1
	s_trap 2
	ds_read_b64 v[4:5], v0
	s_waitcnt lgkmcnt(0)
	s_andn2_b64 s[36:37], s[36:37], exec
	v_cmp_ge_u64_e32 vcc, v[4:5], v[38:39]
	s_orn2_b64 vcc, vcc, exec
	s_branch .LBB4_226
.LBB4_231:                              ;   in Loop: Header=BB4_197 Depth=2
	s_or_b64 exec, exec, s[30:31]
	s_and_saveexec_b64 vcc, s[34:35]
	s_xor_b64 vcc, exec, vcc
	s_cbranch_execz .LBB4_233
; %bb.232:                              ;   in Loop: Header=BB4_197 Depth=2
	v_mov_b32_e32 v0, 1
	ds_write_b32 v0, v0
	s_trap 2
.LBB4_233:                              ;   in Loop: Header=BB4_197 Depth=2
	s_or_b64 exec, exec, s[46:47]
	;;#ASMSTART
	s_wakeup
	;;#ASMEND
.LBB4_234:                              ;   in Loop: Header=BB4_197 Depth=2
	s_or_b64 exec, exec, s[44:45]
.LBB4_235:                              ;   in Loop: Header=BB4_197 Depth=2
	s_andn2_saveexec_b64 s[42:43], s[42:43]
	s_cbranch_execz .LBB4_237
; %bb.236:                              ;   in Loop: Header=BB4_197 Depth=2
	s_waitcnt vmcnt(0) lgkmcnt(0)
	buffer_wbinvl1_vol
	s_barrier
.LBB4_237:                              ;   in Loop: Header=BB4_197 Depth=2
	s_or_b64 exec, exec, s[42:43]
.LBB4_238:                              ;   in Loop: Header=BB4_197 Depth=2
	s_or_b64 exec, exec, s[26:27]
                                        ; implicit-def: $vgpr2
	s_and_saveexec_b64 s[26:27], s[24:25]
	s_xor_b64 s[26:27], exec, s[26:27]
	s_cbranch_execz .LBB4_243
; %bb.239:                              ;   in Loop: Header=BB4_197 Depth=2
	s_trap 2
	ds_read_b32 v0, v0
	v_cmp_lt_i32_e32 vcc, 0, v8
	v_and_b32_e32 v2, 16, v52
	s_waitcnt lgkmcnt(0)
	v_readfirstlane_b32 s9, v0
	s_cmp_eq_u32 s9, 0
	s_cselect_b64 s[42:43], -1, 0
	v_and_b32_e32 v0, 16, v52
	s_and_b64 s[42:43], vcc, s[42:43]
	v_cmp_ne_u32_e32 vcc, 0, v0
	s_and_b64 s[44:45], vcc, s[42:43]
	s_and_saveexec_b64 s[42:43], s[44:45]
	s_cbranch_execz .LBB4_241
; %bb.240:                              ;   in Loop: Header=BB4_197 Depth=2
	v_mov_b32_e32 v2, 1
	s_waitcnt vmcnt(0)
	buffer_wbinvl1_vol
.LBB4_241:                              ;   in Loop: Header=BB4_197 Depth=2
	s_or_b64 exec, exec, s[42:43]
	s_andn2_saveexec_b64 s[26:27], s[26:27]
	s_cbranch_execnz .LBB4_244
.LBB4_242:                              ;   in Loop: Header=BB4_197 Depth=2
	s_or_b64 exec, exec, s[26:27]
	v_cmp_ne_u32_e32 vcc, 0, v2
	s_and_saveexec_b64 s[26:27], vcc
	s_cbranch_execz .LBB4_196
	s_branch .LBB4_262
.LBB4_243:                              ;   in Loop: Header=BB4_197 Depth=2
	s_andn2_saveexec_b64 s[26:27], s[26:27]
	s_cbranch_execz .LBB4_242
.LBB4_244:                              ;   in Loop: Header=BB4_197 Depth=2
	s_and_saveexec_b64 s[42:43], s[72:73]
	s_xor_b64 s[42:43], exec, s[42:43]
	s_cbranch_execz .LBB4_259
; %bb.245:                              ;   in Loop: Header=BB4_197 Depth=2
	s_and_saveexec_b64 s[44:45], s[16:17]
	s_cbranch_execz .LBB4_258
; %bb.246:                              ;   in Loop: Header=BB4_197 Depth=2
	s_mov_b64 s[30:31], exec
	v_mbcnt_lo_u32_b32 v0, s30, 0
	v_mbcnt_hi_u32_b32 v0, s31, v0
	v_cmp_eq_u32_e32 vcc, 0, v0
	;;#ASMSTART
	s_waitcnt lgkmcnt(0) vmcnt(0)
	;;#ASMEND
	s_and_saveexec_b64 s[46:47], vcc
	s_cbranch_execz .LBB4_248
; %bb.247:                              ;   in Loop: Header=BB4_197 Depth=2
	s_bcnt1_i32_b64 s9, s[30:31]
	v_mov_b32_e32 v2, s9
	s_waitcnt lgkmcnt(0)
	ds_add_u64 v0, v[2:3]
	s_trap 2
.LBB4_248:                              ;   in Loop: Header=BB4_197 Depth=2
	s_or_b64 exec, exec, s[46:47]
	s_trap 2
	ds_read_b64 v[4:5], v0
	s_waitcnt lgkmcnt(0)
	v_add_co_u32_e32 v38, vcc, v38, v57
	v_addc_co_u32_e32 v39, vcc, 0, v39, vcc
	v_cmp_lt_u64_e32 vcc, v[4:5], v[38:39]
	s_and_saveexec_b64 s[46:47], vcc
	s_cbranch_execz .LBB4_257
; %bb.249:                              ;   in Loop: Header=BB4_197 Depth=2
	s_mov_b32 s9, 0
	s_mov_b64 s[30:31], 0
                                        ; implicit-def: $sgpr34_sgpr35
                                        ; implicit-def: $sgpr36_sgpr37
	s_branch .LBB4_251
.LBB4_250:                              ;   in Loop: Header=BB4_251 Depth=3
	s_or_b64 exec, exec, s[48:49]
	s_and_b64 vcc, exec, vcc
	s_or_b64 s[30:31], vcc, s[30:31]
	s_andn2_b64 vcc, s[34:35], exec
	s_and_b64 s[34:35], s[36:37], exec
	s_or_b64 s[34:35], vcc, s[34:35]
	s_andn2_b64 exec, exec, s[30:31]
	s_cbranch_execz .LBB4_255
.LBB4_251:                              ;   Parent Loop BB4_47 Depth=1
                                        ;     Parent Loop BB4_197 Depth=2
                                        ; =>    This Inner Loop Header: Depth=3
	s_add_i32 s9, s9, 1
	s_cmpk_lg_i32 s9, 0x2710
	s_cselect_b64 s[38:39], -1, 0
	s_and_b64 vcc, exec, s[38:39]
	s_cbranch_vccz .LBB4_253
; %bb.252:                              ;   in Loop: Header=BB4_251 Depth=3
	s_mov_b64 vcc, -1
	s_or_b64 s[36:37], s[36:37], exec
	s_and_saveexec_b64 s[48:49], s[38:39]
	s_cbranch_execz .LBB4_250
	s_branch .LBB4_254
.LBB4_253:                              ;   in Loop: Header=BB4_251 Depth=3
	s_trap 2
	ds_read_b64 v[4:5], v0
	s_andn2_b64 s[38:39], s[38:39], exec
	s_mov_b32 s9, 0
	s_waitcnt vmcnt(0) lgkmcnt(0)
	flat_load_dword v0, v[4:5] glc
	s_waitcnt vmcnt(0) lgkmcnt(0)
	buffer_wbinvl1_vol
	v_cmp_eq_u32_e32 vcc, 0, v0
	s_and_b64 vcc, vcc, exec
	s_or_b64 s[38:39], s[38:39], vcc
	s_mov_b64 vcc, -1
	s_or_b64 s[36:37], s[36:37], exec
	s_and_saveexec_b64 s[48:49], s[38:39]
	s_cbranch_execz .LBB4_250
.LBB4_254:                              ;   in Loop: Header=BB4_251 Depth=3
	s_sleep 1
	s_trap 2
	ds_read_b64 v[4:5], v0
	s_waitcnt lgkmcnt(0)
	s_andn2_b64 s[36:37], s[36:37], exec
	v_cmp_ge_u64_e32 vcc, v[4:5], v[38:39]
	s_orn2_b64 vcc, vcc, exec
	s_branch .LBB4_250
.LBB4_255:                              ;   in Loop: Header=BB4_197 Depth=2
	s_or_b64 exec, exec, s[30:31]
	s_and_saveexec_b64 vcc, s[34:35]
	s_xor_b64 vcc, exec, vcc
	s_cbranch_execz .LBB4_257
; %bb.256:                              ;   in Loop: Header=BB4_197 Depth=2
	v_mov_b32_e32 v0, 1
	ds_write_b32 v0, v0
	s_trap 2
.LBB4_257:                              ;   in Loop: Header=BB4_197 Depth=2
	s_or_b64 exec, exec, s[46:47]
	;;#ASMSTART
	s_wakeup
	;;#ASMEND
.LBB4_258:                              ;   in Loop: Header=BB4_197 Depth=2
	s_or_b64 exec, exec, s[44:45]
.LBB4_259:                              ;   in Loop: Header=BB4_197 Depth=2
	s_andn2_saveexec_b64 s[42:43], s[42:43]
	s_cbranch_execz .LBB4_261
; %bb.260:                              ;   in Loop: Header=BB4_197 Depth=2
	;;#ASMSTART
	s_waitcnt lgkmcnt(0) vmcnt(0)
	;;#ASMEND
	s_waitcnt vmcnt(0) lgkmcnt(0)
	s_barrier
.LBB4_261:                              ;   in Loop: Header=BB4_197 Depth=2
	s_or_b64 exec, exec, s[42:43]
	v_and_b32_e32 v2, 16, v52
	s_or_b64 exec, exec, s[26:27]
	v_cmp_ne_u32_e32 vcc, 0, v2
	s_and_saveexec_b64 s[26:27], vcc
	s_cbranch_execz .LBB4_196
.LBB4_262:                              ;   in Loop: Header=BB4_197 Depth=2
	s_and_saveexec_b64 s[42:43], s[14:15]
	s_cbranch_execz .LBB4_195
; %bb.263:                              ;   in Loop: Header=BB4_197 Depth=2
	buffer_load_dword v4, off, s[0:3], s33 offset:104 ; 4-byte Folded Reload
	buffer_load_dword v5, off, s[0:3], s33 offset:108 ; 4-byte Folded Reload
	v_mov_b32_e32 v0, 1
	s_waitcnt vmcnt(0)
	flat_store_dword v[4:5], v0
	s_branch .LBB4_195
.LBB4_264:                              ;   in Loop: Header=BB4_47 Depth=1
	s_or_b64 exec, exec, s[40:41]
.LBB4_265:                              ;   in Loop: Header=BB4_47 Depth=1
	s_or_b64 exec, exec, s[28:29]
	v_cndmask_b32_e64 v0, 0, 1, s[90:91]
	v_cmp_ne_u32_e64 s[26:27], 1, v0
	s_andn2_b64 vcc, exec, s[90:91]
	s_cbranch_vccnz .LBB4_3416
; %bb.266:                              ;   in Loop: Header=BB4_47 Depth=1
	s_mov_b32 s9, 2
	s_branch .LBB4_269
.LBB4_267:                              ;   in Loop: Header=BB4_269 Depth=2
	s_or_b64 exec, exec, s[42:43]
.LBB4_268:                              ;   in Loop: Header=BB4_269 Depth=2
	s_or_b64 exec, exec, s[40:41]
	s_add_i32 s9, s9, 1
	s_cmp_eq_u32 s9, s68
	s_cbranch_scc1 .LBB4_3416
.LBB4_269:                              ;   Parent Loop BB4_47 Depth=1
                                        ; =>  This Loop Header: Depth=2
                                        ;       Child Loop BB4_272 Depth 3
                                        ;         Child Loop BB4_280 Depth 4
                                        ;         Child Loop BB4_308 Depth 4
	;; [unrolled: 1-line block ×9, first 2 shown]
                                        ;       Child Loop BB4_3344 Depth 3
                                        ;         Child Loop BB4_3350 Depth 4
                                        ;         Child Loop BB4_3378 Depth 4
	;; [unrolled: 1-line block ×3, first 2 shown]
	buffer_load_dword v4, off, s[0:3], s33 offset:224 ; 4-byte Folded Reload
	buffer_load_dword v5, off, s[0:3], s33 offset:228 ; 4-byte Folded Reload
	s_sub_i32 s28, s86, s9
	s_cmp_ge_i32 s28, s68
	s_cselect_b32 s29, s68, 0
	s_sub_i32 s28, s28, s29
	s_ashr_i32 s40, s28, 31
	v_mov_b32_e32 v51, 0
	s_waitcnt vmcnt(0)
	v_mul_lo_u32 v1, v4, s40
	v_mul_lo_u32 v0, v5, s28
	v_mad_u64_u32 v[6:7], s[28:29], v4, s28, 0
	v_add3_u32 v7, v7, v1, v0
	buffer_load_dword v0, off, s[0:3], s33 offset:216 ; 4-byte Folded Reload
	buffer_load_dword v1, off, s[0:3], s33 offset:220 ; 4-byte Folded Reload
	s_waitcnt vmcnt(0)
	v_sub_co_u32_e32 v0, vcc, v0, v6
	buffer_store_dword v6, off, s[0:3], s33 offset:164 ; 4-byte Folded Spill
	s_nop 0
	buffer_store_dword v7, off, s[0:3], s33 offset:168 ; 4-byte Folded Spill
	v_subb_co_u32_e32 v1, vcc, v1, v7, vcc
	v_cmp_lt_i64_e32 vcc, v[4:5], v[0:1]
	v_cndmask_b32_e32 v0, v0, v4, vcc
	v_max_i32_e32 v20, 0, v0
	v_add_u32_e32 v1, 31, v20
	v_lshrrev_b32_e32 v1, 1, v1
	v_and_b32_e32 v1, 0x3ffffff0, v1
	v_cmp_lt_i32_e32 vcc, 0, v0
	v_max_i32_e32 v44, s97, v1
	s_and_b64 s[28:29], s[94:95], vcc
	v_mov_b32_e32 v1, 0
	s_and_saveexec_b64 s[30:31], s[28:29]
	s_cbranch_execz .LBB4_3341
; %bb.270:                              ;   in Loop: Header=BB4_269 Depth=2
	s_mov_b32 s57, 1
	s_mov_b64 s[36:37], -1
	v_mov_b32_e32 v51, 0
	s_mov_b64 s[34:35], 0
	buffer_store_dword v20, off, s[0:3], s33 offset:188 ; 4-byte Folded Spill
	s_branch .LBB4_272
.LBB4_271:                              ;   in Loop: Header=BB4_272 Depth=3
	s_or_b64 exec, exec, s[28:29]
	v_add_u32_e32 v51, v44, v51
	v_cmp_ge_i32_e32 vcc, v51, v20
	s_xor_b64 s[28:29], s[36:37], -1
	s_or_b64 s[28:29], s[28:29], vcc
	s_and_b64 s[28:29], exec, s[28:29]
	s_or_b64 s[34:35], s[28:29], s[34:35]
	s_mov_b64 s[36:37], 0
	v_mov_b32_e32 v1, s57
	s_mov_b32 s57, 2
	s_andn2_b64 exec, exec, s[34:35]
	s_cbranch_execz .LBB4_3340
.LBB4_272:                              ;   Parent Loop BB4_47 Depth=1
                                        ;     Parent Loop BB4_269 Depth=2
                                        ; =>    This Loop Header: Depth=3
                                        ;         Child Loop BB4_280 Depth 4
                                        ;         Child Loop BB4_308 Depth 4
	;; [unrolled: 1-line block ×9, first 2 shown]
	s_and_saveexec_b64 s[28:29], s[4:5]
	s_cbranch_execz .LBB4_274
; %bb.273:                              ;   in Loop: Header=BB4_272 Depth=3
	s_trap 2
	buffer_load_dword v2, off, s[0:3], s33 offset:156 ; 4-byte Folded Reload
	ds_read_b64 v[0:1], v0
	s_waitcnt vmcnt(0) lgkmcnt(0)
	v_add_co_u32_e32 v0, vcc, v0, v2
	buffer_load_dword v2, off, s[0:3], s33 offset:160 ; 4-byte Folded Reload
	buffer_load_dword v4, off, s[0:3], s33 offset:164 ; 4-byte Folded Reload
	buffer_load_dword v5, off, s[0:3], s33 offset:168 ; 4-byte Folded Reload
	s_waitcnt vmcnt(2)
	v_addc_co_u32_e32 v1, vcc, v1, v2, vcc
	s_waitcnt vmcnt(1)
	v_add_co_u32_e32 v0, vcc, v0, v4
	s_waitcnt vmcnt(0)
	v_addc_co_u32_e32 v1, vcc, v1, v5, vcc
	v_ashrrev_i32_e32 v2, 31, v51
	v_add_co_u32_e32 v0, vcc, v0, v51
	v_addc_co_u32_e32 v1, vcc, v1, v2, vcc
	v_mov_b32_e32 v2, v3
	ds_write_b64 v0, v[0:1]
	ds_write_b64 v0, v[2:3]
.LBB4_274:                              ;   in Loop: Header=BB4_272 Depth=3
	s_or_b64 exec, exec, s[28:29]
	v_sub_u32_e32 v0, v20, v51
	v_min_i32_e32 v44, v44, v0
	v_and_b32_e32 v0, 12, v52
	v_cmp_ne_u32_e32 vcc, 0, v0
	s_and_saveexec_b64 s[40:41], vcc
	s_cbranch_execz .LBB4_300
; %bb.275:                              ;   in Loop: Header=BB4_272 Depth=3
	buffer_load_dword v6, off, s[0:3], s33 offset:56 ; 4-byte Folded Reload
	buffer_load_dword v7, off, s[0:3], s33 offset:60 ; 4-byte Folded Reload
	v_and_b32_e32 v1, 8, v52
	s_waitcnt lgkmcnt(0)
	v_add_co_u32_e32 v4, vcc, v48, v1
	v_addc_co_u32_e32 v5, vcc, 0, v49, vcc
	s_waitcnt vmcnt(0)
	v_add_co_u32_e32 v8, vcc, 2, v6
	s_waitcnt vmcnt(0)
	v_addc_co_u32_e32 v9, vcc, 0, v7, vcc
	v_cmp_lt_u64_e32 vcc, v[4:5], v[8:9]
	s_and_saveexec_b64 s[42:43], vcc
	s_cbranch_execz .LBB4_287
; %bb.276:                              ;   in Loop: Header=BB4_272 Depth=3
	v_and_b32_e32 v0, 64, v52
	s_mov_b32 s84, 0
	v_cmp_eq_u32_e32 vcc, 0, v0
	s_mov_b64 s[44:45], 0
                                        ; implicit-def: $sgpr46_sgpr47
                                        ; implicit-def: $sgpr38_sgpr39
                                        ; implicit-def: $sgpr48_sgpr49
	s_branch .LBB4_280
.LBB4_277:                              ;   in Loop: Header=BB4_280 Depth=4
	s_waitcnt vmcnt(0) lgkmcnt(0)
	v_add_co_u32_e64 v4, s[28:29], v48, v1
	v_addc_co_u32_e64 v5, s[28:29], 0, v49, s[28:29]
	v_cmp_ge_u64_e64 s[28:29], v[4:5], v[8:9]
	s_or_b64 s[54:55], s[54:55], exec
	s_orn2_b64 s[52:53], s[28:29], exec
.LBB4_278:                              ;   in Loop: Header=BB4_280 Depth=4
	s_or_b64 exec, exec, s[66:67]
	s_andn2_b64 s[28:29], s[48:49], exec
	s_and_b64 s[48:49], s[54:55], exec
	s_or_b64 s[48:49], s[28:29], s[48:49]
	s_andn2_b64 s[28:29], s[38:39], exec
	s_and_b64 s[38:39], s[52:53], exec
	s_or_b64 s[38:39], s[28:29], s[38:39]
.LBB4_279:                              ;   in Loop: Header=BB4_280 Depth=4
	s_or_b64 exec, exec, s[50:51]
	s_and_b64 s[28:29], exec, s[38:39]
	s_or_b64 s[44:45], s[28:29], s[44:45]
	s_andn2_b64 s[28:29], s[46:47], exec
	s_and_b64 s[46:47], s[48:49], exec
	s_or_b64 s[46:47], s[28:29], s[46:47]
	s_andn2_b64 exec, exec, s[44:45]
	s_cbranch_execz .LBB4_284
.LBB4_280:                              ;   Parent Loop BB4_47 Depth=1
                                        ;     Parent Loop BB4_269 Depth=2
                                        ;       Parent Loop BB4_272 Depth=3
                                        ; =>      This Inner Loop Header: Depth=4
	s_sleep 1
	s_waitcnt vmcnt(0) lgkmcnt(0)
	flat_load_dwordx2 v[48:49], v[32:33] glc
	s_or_b64 s[48:49], s[48:49], exec
	s_or_b64 s[38:39], s[38:39], exec
                                        ; implicit-def: $vgpr2
	s_and_saveexec_b64 s[50:51], vcc
	s_cbranch_execz .LBB4_279
; %bb.281:                              ;   in Loop: Header=BB4_280 Depth=4
	s_cmpk_lt_i32 s84, 0x270f
	s_cselect_b64 s[64:65], -1, 0
	s_cmpk_gt_i32 s84, 0x270e
	s_mov_b64 s[52:53], -1
	s_cbranch_scc0 .LBB4_283
; %bb.282:                              ;   in Loop: Header=BB4_280 Depth=4
	s_trap 2
	ds_read_b64 v[4:5], v0
	s_andn2_b64 s[64:65], s[64:65], exec
	s_mov_b32 s84, 0
	s_mov_b64 s[54:55], 0
	s_waitcnt vmcnt(0) lgkmcnt(0)
	flat_load_dword v2, v[4:5] glc
	s_waitcnt vmcnt(0) lgkmcnt(0)
	buffer_wbinvl1_vol
	v_cmp_eq_u32_e64 s[28:29], 0, v2
	s_and_b64 s[28:29], s[28:29], exec
	s_or_b64 s[64:65], s[64:65], s[28:29]
	s_and_saveexec_b64 s[66:67], s[64:65]
	s_cbranch_execz .LBB4_278
	s_branch .LBB4_277
.LBB4_283:                              ;   in Loop: Header=BB4_280 Depth=4
	s_add_i32 s84, s84, 1
	s_mov_b64 s[54:55], -1
                                        ; implicit-def: $vgpr2
	s_and_saveexec_b64 s[66:67], s[64:65]
	s_cbranch_execz .LBB4_278
	s_branch .LBB4_277
.LBB4_284:                              ;   in Loop: Header=BB4_272 Depth=3
	s_or_b64 exec, exec, s[44:45]
	s_xor_b64 s[28:29], s[46:47], -1
	s_and_saveexec_b64 s[44:45], s[28:29]
	s_xor_b64 s[28:29], exec, s[44:45]
	s_cbranch_execz .LBB4_286
; %bb.285:                              ;   in Loop: Header=BB4_272 Depth=3
	v_or_b32_e32 v52, 64, v52
	s_waitcnt lgkmcnt(0)
	ds_write_b32 v0, v2
	s_trap 2
.LBB4_286:                              ;   in Loop: Header=BB4_272 Depth=3
	s_or_b64 exec, exec, s[28:29]
.LBB4_287:                              ;   in Loop: Header=BB4_272 Depth=3
	s_or_b64 exec, exec, s[42:43]
	v_and_b32_e32 v0, 0x108, v52
	v_cmp_ne_u32_e32 vcc, s71, v0
	;;#ASMSTART
	s_wakeup
	;;#ASMEND
	s_and_saveexec_b64 s[28:29], vcc
	s_xor_b64 s[28:29], exec, s[28:29]
                                        ; implicit-def: $vgpr2
	s_cbranch_execz .LBB4_289
; %bb.288:                              ;   in Loop: Header=BB4_272 Depth=3
	buffer_load_dword v4, off, s[0:3], s33 offset:56 ; 4-byte Folded Reload
	buffer_load_dword v5, off, s[0:3], s33 offset:60 ; 4-byte Folded Reload
	s_waitcnt vmcnt(0)
	v_and_b32_e32 v2, 7, v4
                                        ; implicit-def: $vgpr4_vgpr5
                                        ; kill: killed $vgpr4_vgpr5
.LBB4_289:                              ;   in Loop: Header=BB4_272 Depth=3
	s_andn2_saveexec_b64 s[28:29], s[28:29]
	s_cbranch_execz .LBB4_291
; %bb.290:                              ;   in Loop: Header=BB4_272 Depth=3
	buffer_load_dword v4, off, s[0:3], s33 offset:56 ; 4-byte Folded Reload
	buffer_load_dword v5, off, s[0:3], s33 offset:60 ; 4-byte Folded Reload
	v_ashrrev_i32_e32 v45, 31, v44
	s_waitcnt vmcnt(0)
	v_and_b32_e32 v2, 7, v4
	buffer_load_dword v4, off, s[0:3], s33 offset:88 ; 4-byte Folded Reload
	buffer_load_dword v5, off, s[0:3], s33 offset:92 ; 4-byte Folded Reload
	;; [unrolled: 1-line block ×4, first 2 shown]
	s_waitcnt vmcnt(0)
	v_mad_u64_u32 v[4:5], s[42:43], v2, 24, v[4:5]
	flat_store_dwordx2 v[4:5], v[44:45] offset:8
.LBB4_291:                              ;   in Loop: Header=BB4_272 Depth=3
	s_or_b64 exec, exec, s[28:29]
	v_and_b32_e32 v0, 0x100, v52
	v_cmp_ne_u32_e32 vcc, 0, v0
	s_mov_b64 s[28:29], -1
                                        ; implicit-def: $vgpr10_vgpr11
	s_and_saveexec_b64 s[42:43], vcc
	s_cbranch_execz .LBB4_295
; %bb.292:                              ;   in Loop: Header=BB4_272 Depth=3
	buffer_load_dword v4, off, s[0:3], s33 offset:88 ; 4-byte Folded Reload
	buffer_load_dword v5, off, s[0:3], s33 offset:92 ; 4-byte Folded Reload
	;; [unrolled: 1-line block ×4, first 2 shown]
                                        ; implicit-def: $vgpr10_vgpr11
	s_waitcnt vmcnt(0)
	v_mad_u64_u32 v[4:5], s[28:29], v2, 24, v[4:5]
	v_mov_b32_e32 v0, v5
	v_mad_u64_u32 v[5:6], s[28:29], v3, 24, v[0:1]
	flat_load_dword v0, v[4:5]
	s_waitcnt vmcnt(0) lgkmcnt(0)
	v_cmp_ne_u32_e32 vcc, 1, v0
	v_cmp_eq_u32_e64 s[28:29], 1, v0
	s_and_saveexec_b64 s[44:45], s[28:29]
	s_cbranch_execz .LBB4_294
; %bb.293:                              ;   in Loop: Header=BB4_272 Depth=3
	flat_load_dword v10, v[4:5] offset:4 glc
	s_waitcnt vmcnt(0) lgkmcnt(0)
	v_ashrrev_i32_e32 v11, 31, v10
.LBB4_294:                              ;   in Loop: Header=BB4_272 Depth=3
	s_or_b64 exec, exec, s[44:45]
	s_orn2_b64 s[28:29], vcc, exec
.LBB4_295:                              ;   in Loop: Header=BB4_272 Depth=3
	s_or_b64 exec, exec, s[42:43]
	s_and_saveexec_b64 s[42:43], s[28:29]
	s_cbranch_execz .LBB4_297
; %bb.296:                              ;   in Loop: Header=BB4_272 Depth=3
	buffer_load_dword v5, off, s[0:3], s33 offset:112 ; 4-byte Folded Reload
	buffer_load_dword v4, off, s[0:3], s33 offset:132 ; 4-byte Folded Reload
	s_waitcnt vmcnt(0)
	v_mul_lo_u32 v0, v3, v5
	v_mul_lo_u32 v4, v2, v4
	v_mad_u64_u32 v[10:11], s[28:29], v2, v5, 0
	v_add3_u32 v11, v11, v4, v0
.LBB4_297:                              ;   in Loop: Header=BB4_272 Depth=3
	s_or_b64 exec, exec, s[42:43]
	v_cmp_eq_u32_e32 vcc, 0, v1
	v_mov_b32_e32 v0, 0xc8
	v_mov_b32_e32 v1, 0x90
	v_cndmask_b32_e32 v2, v0, v1, vcc
	buffer_load_dword v0, off, s[0:3], s33 offset:80 ; 4-byte Folded Reload
	buffer_load_dword v1, off, s[0:3], s33 offset:84 ; 4-byte Folded Reload
	s_waitcnt vmcnt(0)
	v_add_co_u32_e32 v0, vcc, v0, v10
	v_addc_co_u32_e32 v1, vcc, v1, v11, vcc
	v_add_u32_e32 v2, v0, v2
	ds_write_b64 v2, v[0:1] offset:584
	v_and_b32_e32 v0, 0x2000, v52
	v_cmp_ne_u32_e32 vcc, 0, v0
	s_and_saveexec_b64 s[28:29], vcc
	s_cbranch_execz .LBB4_299
; %bb.298:                              ;   in Loop: Header=BB4_272 Depth=3
	ds_read_b64 v[0:1], v0 offset:872
	s_waitcnt lgkmcnt(0)
	v_add_co_u32_e32 v0, vcc, 1, v0
	v_addc_co_u32_e32 v1, vcc, 0, v1, vcc
	ds_write_b64 v0, v[0:1] offset:872
.LBB4_299:                              ;   in Loop: Header=BB4_272 Depth=3
	s_or_b64 exec, exec, s[28:29]
	buffer_store_dword v8, off, s[0:3], s33 offset:56 ; 4-byte Folded Spill
	s_nop 0
	buffer_store_dword v9, off, s[0:3], s33 offset:60 ; 4-byte Folded Spill
.LBB4_300:                              ;   in Loop: Header=BB4_272 Depth=3
	s_or_b64 exec, exec, s[40:41]
	s_and_saveexec_b64 s[28:29], s[10:11]
	s_cbranch_execz .LBB4_319
; %bb.301:                              ;   in Loop: Header=BB4_272 Depth=3
	s_and_saveexec_b64 s[40:41], s[72:73]
	s_xor_b64 s[40:41], exec, s[40:41]
	s_cbranch_execz .LBB4_316
; %bb.302:                              ;   in Loop: Header=BB4_272 Depth=3
	s_and_saveexec_b64 s[42:43], s[16:17]
	s_cbranch_execz .LBB4_315
; %bb.303:                              ;   in Loop: Header=BB4_272 Depth=3
	s_mov_b64 s[46:47], exec
	v_mbcnt_lo_u32_b32 v0, s46, 0
	v_mbcnt_hi_u32_b32 v0, s47, v0
	v_cmp_eq_u32_e32 vcc, 0, v0
	s_waitcnt vmcnt(0) lgkmcnt(0)
	buffer_wbinvl1_vol
	s_and_saveexec_b64 s[44:45], vcc
	s_cbranch_execz .LBB4_305
; %bb.304:                              ;   in Loop: Header=BB4_272 Depth=3
	s_bcnt1_i32_b64 s46, s[46:47]
	v_mov_b32_e32 v2, s46
	ds_add_u64 v0, v[2:3]
	s_trap 2
.LBB4_305:                              ;   in Loop: Header=BB4_272 Depth=3
	s_or_b64 exec, exec, s[44:45]
	s_trap 2
	ds_read_b64 v[0:1], v0
	s_waitcnt lgkmcnt(0)
	v_add_co_u32_e32 v38, vcc, v38, v57
	v_addc_co_u32_e32 v39, vcc, 0, v39, vcc
	v_cmp_lt_u64_e32 vcc, v[0:1], v[38:39]
	s_and_saveexec_b64 s[44:45], vcc
	s_cbranch_execz .LBB4_314
; %bb.306:                              ;   in Loop: Header=BB4_272 Depth=3
	s_mov_b32 s54, 0
	s_mov_b64 s[46:47], 0
                                        ; implicit-def: $sgpr38_sgpr39
                                        ; implicit-def: $sgpr48_sgpr49
	s_branch .LBB4_308
.LBB4_307:                              ;   in Loop: Header=BB4_308 Depth=4
	s_or_b64 exec, exec, s[52:53]
	s_and_b64 vcc, exec, vcc
	s_or_b64 s[46:47], vcc, s[46:47]
	s_andn2_b64 vcc, s[38:39], exec
	s_and_b64 s[38:39], s[48:49], exec
	s_or_b64 s[38:39], vcc, s[38:39]
	s_andn2_b64 exec, exec, s[46:47]
	s_cbranch_execz .LBB4_312
.LBB4_308:                              ;   Parent Loop BB4_47 Depth=1
                                        ;     Parent Loop BB4_269 Depth=2
                                        ;       Parent Loop BB4_272 Depth=3
                                        ; =>      This Inner Loop Header: Depth=4
	s_add_i32 s54, s54, 1
	s_cmpk_lg_i32 s54, 0x2710
	s_cselect_b64 s[50:51], -1, 0
	s_and_b64 vcc, exec, s[50:51]
	s_cbranch_vccz .LBB4_310
; %bb.309:                              ;   in Loop: Header=BB4_308 Depth=4
	s_mov_b64 vcc, -1
	s_or_b64 s[48:49], s[48:49], exec
	s_and_saveexec_b64 s[52:53], s[50:51]
	s_cbranch_execz .LBB4_307
	s_branch .LBB4_311
.LBB4_310:                              ;   in Loop: Header=BB4_308 Depth=4
	s_trap 2
	ds_read_b64 v[0:1], v0
	s_andn2_b64 s[50:51], s[50:51], exec
	s_mov_b32 s54, 0
	s_waitcnt lgkmcnt(0)
	flat_load_dword v0, v[0:1] glc
	s_waitcnt vmcnt(0) lgkmcnt(0)
	buffer_wbinvl1_vol
	v_cmp_eq_u32_e32 vcc, 0, v0
	s_and_b64 vcc, vcc, exec
	s_or_b64 s[50:51], s[50:51], vcc
	s_mov_b64 vcc, -1
	s_or_b64 s[48:49], s[48:49], exec
	s_and_saveexec_b64 s[52:53], s[50:51]
	s_cbranch_execz .LBB4_307
.LBB4_311:                              ;   in Loop: Header=BB4_308 Depth=4
	s_sleep 1
	s_trap 2
	ds_read_b64 v[0:1], v0
	s_waitcnt lgkmcnt(0)
	s_andn2_b64 s[48:49], s[48:49], exec
	v_cmp_ge_u64_e32 vcc, v[0:1], v[38:39]
	s_orn2_b64 vcc, vcc, exec
	s_branch .LBB4_307
.LBB4_312:                              ;   in Loop: Header=BB4_272 Depth=3
	s_or_b64 exec, exec, s[46:47]
	s_and_saveexec_b64 s[46:47], s[38:39]
	s_xor_b64 s[46:47], exec, s[46:47]
	s_cbranch_execz .LBB4_314
; %bb.313:                              ;   in Loop: Header=BB4_272 Depth=3
	v_mov_b32_e32 v0, 1
	ds_write_b32 v0, v0
	s_trap 2
.LBB4_314:                              ;   in Loop: Header=BB4_272 Depth=3
	s_or_b64 exec, exec, s[44:45]
	;;#ASMSTART
	s_wakeup
	;;#ASMEND
.LBB4_315:                              ;   in Loop: Header=BB4_272 Depth=3
	s_or_b64 exec, exec, s[42:43]
.LBB4_316:                              ;   in Loop: Header=BB4_272 Depth=3
	s_andn2_saveexec_b64 s[40:41], s[40:41]
	s_cbranch_execz .LBB4_318
; %bb.317:                              ;   in Loop: Header=BB4_272 Depth=3
	s_waitcnt vmcnt(0) lgkmcnt(0)
	buffer_wbinvl1_vol
	s_barrier
.LBB4_318:                              ;   in Loop: Header=BB4_272 Depth=3
	s_or_b64 exec, exec, s[40:41]
.LBB4_319:                              ;   in Loop: Header=BB4_272 Depth=3
	s_or_b64 exec, exec, s[28:29]
	s_trap 2
	ds_read_b32 v1, v0
	v_and_b32_e32 v0, 0x4000, v52
	v_cmp_ne_u32_e32 vcc, 0, v0
	s_xor_b64 s[28:29], s[6:7], -1
	s_and_b64 s[40:41], s[28:29], vcc
	s_and_saveexec_b64 s[28:29], s[40:41]
	s_cbranch_execz .LBB4_338
; %bb.320:                              ;   in Loop: Header=BB4_272 Depth=3
	s_and_saveexec_b64 s[40:41], s[72:73]
	s_xor_b64 s[40:41], exec, s[40:41]
	s_cbranch_execz .LBB4_335
; %bb.321:                              ;   in Loop: Header=BB4_272 Depth=3
	s_and_saveexec_b64 s[42:43], s[16:17]
	s_cbranch_execz .LBB4_334
; %bb.322:                              ;   in Loop: Header=BB4_272 Depth=3
	s_mov_b64 s[46:47], exec
	v_mbcnt_lo_u32_b32 v0, s46, 0
	v_mbcnt_hi_u32_b32 v0, s47, v0
	v_cmp_eq_u32_e32 vcc, 0, v0
	s_waitcnt vmcnt(0) lgkmcnt(0)
	buffer_wbinvl1_vol
	s_and_saveexec_b64 s[44:45], vcc
	s_cbranch_execz .LBB4_324
; %bb.323:                              ;   in Loop: Header=BB4_272 Depth=3
	s_bcnt1_i32_b64 s46, s[46:47]
	v_mov_b32_e32 v2, s46
	ds_add_u64 v0, v[2:3]
	s_trap 2
.LBB4_324:                              ;   in Loop: Header=BB4_272 Depth=3
	s_or_b64 exec, exec, s[44:45]
	s_trap 2
	ds_read_b64 v[4:5], v0
	s_waitcnt lgkmcnt(0)
	v_add_co_u32_e32 v38, vcc, v38, v57
	v_addc_co_u32_e32 v39, vcc, 0, v39, vcc
	v_cmp_lt_u64_e32 vcc, v[4:5], v[38:39]
	s_and_saveexec_b64 s[44:45], vcc
	s_cbranch_execz .LBB4_333
; %bb.325:                              ;   in Loop: Header=BB4_272 Depth=3
	s_mov_b32 s54, 0
	s_mov_b64 s[46:47], 0
                                        ; implicit-def: $sgpr38_sgpr39
                                        ; implicit-def: $sgpr48_sgpr49
	s_branch .LBB4_327
.LBB4_326:                              ;   in Loop: Header=BB4_327 Depth=4
	s_or_b64 exec, exec, s[52:53]
	s_and_b64 vcc, exec, vcc
	s_or_b64 s[46:47], vcc, s[46:47]
	s_andn2_b64 vcc, s[38:39], exec
	s_and_b64 s[38:39], s[48:49], exec
	s_or_b64 s[38:39], vcc, s[38:39]
	s_andn2_b64 exec, exec, s[46:47]
	s_cbranch_execz .LBB4_331
.LBB4_327:                              ;   Parent Loop BB4_47 Depth=1
                                        ;     Parent Loop BB4_269 Depth=2
                                        ;       Parent Loop BB4_272 Depth=3
                                        ; =>      This Inner Loop Header: Depth=4
	s_add_i32 s54, s54, 1
	s_cmpk_lg_i32 s54, 0x2710
	s_cselect_b64 s[50:51], -1, 0
	s_and_b64 vcc, exec, s[50:51]
	s_cbranch_vccz .LBB4_329
; %bb.328:                              ;   in Loop: Header=BB4_327 Depth=4
	s_mov_b64 vcc, -1
	s_or_b64 s[48:49], s[48:49], exec
	s_and_saveexec_b64 s[52:53], s[50:51]
	s_cbranch_execz .LBB4_326
	s_branch .LBB4_330
.LBB4_329:                              ;   in Loop: Header=BB4_327 Depth=4
	s_trap 2
	ds_read_b64 v[4:5], v0
	s_andn2_b64 s[50:51], s[50:51], exec
	s_mov_b32 s54, 0
	s_waitcnt lgkmcnt(0)
	flat_load_dword v0, v[4:5] glc
	s_waitcnt vmcnt(0) lgkmcnt(0)
	buffer_wbinvl1_vol
	v_cmp_eq_u32_e32 vcc, 0, v0
	s_and_b64 vcc, vcc, exec
	s_or_b64 s[50:51], s[50:51], vcc
	s_mov_b64 vcc, -1
	s_or_b64 s[48:49], s[48:49], exec
	s_and_saveexec_b64 s[52:53], s[50:51]
	s_cbranch_execz .LBB4_326
.LBB4_330:                              ;   in Loop: Header=BB4_327 Depth=4
	s_sleep 1
	s_trap 2
	ds_read_b64 v[4:5], v0
	s_waitcnt lgkmcnt(0)
	s_andn2_b64 s[48:49], s[48:49], exec
	v_cmp_ge_u64_e32 vcc, v[4:5], v[38:39]
	s_orn2_b64 vcc, vcc, exec
	s_branch .LBB4_326
.LBB4_331:                              ;   in Loop: Header=BB4_272 Depth=3
	s_or_b64 exec, exec, s[46:47]
	s_and_saveexec_b64 s[46:47], s[38:39]
	s_xor_b64 s[46:47], exec, s[46:47]
	s_cbranch_execz .LBB4_333
; %bb.332:                              ;   in Loop: Header=BB4_272 Depth=3
	v_mov_b32_e32 v0, 1
	ds_write_b32 v0, v0
	s_trap 2
.LBB4_333:                              ;   in Loop: Header=BB4_272 Depth=3
	s_or_b64 exec, exec, s[44:45]
	;;#ASMSTART
	s_wakeup
	;;#ASMEND
.LBB4_334:                              ;   in Loop: Header=BB4_272 Depth=3
	s_or_b64 exec, exec, s[42:43]
.LBB4_335:                              ;   in Loop: Header=BB4_272 Depth=3
	s_andn2_saveexec_b64 s[40:41], s[40:41]
	s_cbranch_execz .LBB4_337
; %bb.336:                              ;   in Loop: Header=BB4_272 Depth=3
	s_waitcnt vmcnt(0) lgkmcnt(0)
	buffer_wbinvl1_vol
	s_barrier
.LBB4_337:                              ;   in Loop: Header=BB4_272 Depth=3
	s_or_b64 exec, exec, s[40:41]
.LBB4_338:                              ;   in Loop: Header=BB4_272 Depth=3
	s_or_b64 exec, exec, s[28:29]
	s_trap 2
	ds_read_b64 v[58:59], v0
	s_waitcnt lgkmcnt(0)
	v_cmp_eq_u64_e32 vcc, 0, v[58:59]
	s_cbranch_vccnz .LBB4_346
; %bb.339:                              ;   in Loop: Header=BB4_272 Depth=3
	s_trap 2
	ds_read_b64 v[12:13], v0
	s_waitcnt lgkmcnt(0)
	v_cmp_eq_u64_e32 vcc, 0, v[12:13]
	s_cbranch_vccnz .LBB4_346
; %bb.340:                              ;   in Loop: Header=BB4_272 Depth=3
	s_trap 2
	ds_read_b64 v[4:5], v0
	s_mov_b64 s[40:41], -1
	s_waitcnt lgkmcnt(0)
	v_readfirstlane_b32 s84, v4
	s_and_saveexec_b64 s[28:29], s[22:23]
	s_cbranch_execz .LBB4_342
; %bb.341:                              ;   in Loop: Header=BB4_272 Depth=3
	ds_read_b32 v0, v0 offset:720
	s_waitcnt lgkmcnt(0)
	v_and_b32_e32 v0, 15, v0
	v_cmp_eq_u32_e32 vcc, 0, v0
	s_orn2_b64 s[40:41], vcc, exec
.LBB4_342:                              ;   in Loop: Header=BB4_272 Depth=3
	s_or_b64 exec, exec, s[28:29]
	s_and_saveexec_b64 s[28:29], s[20:21]
	s_cbranch_execz .LBB4_344
; %bb.343:                              ;   in Loop: Header=BB4_272 Depth=3
	ds_read_b32 v0, v0 offset:784
	s_waitcnt lgkmcnt(0)
	v_and_b32_e32 v0, 15, v0
	v_cmp_eq_u32_e32 vcc, 0, v0
	s_and_b64 s[42:43], s[40:41], vcc
	s_andn2_b64 s[40:41], s[40:41], exec
	s_and_b64 s[42:43], s[42:43], exec
	s_or_b64 s[40:41], s[40:41], s[42:43]
.LBB4_344:                              ;   in Loop: Header=BB4_272 Depth=3
	s_or_b64 exec, exec, s[28:29]
	buffer_load_dword v16, off, s[0:3], s33 offset:136 ; 4-byte Folded Reload
	v_cmp_eq_u32_e32 vcc, 0, v1
	s_xor_b64 s[40:41], s[40:41], -1
	v_cndmask_b32_e32 v21, 0, v44, vcc
	v_cndmask_b32_e64 v0, 0, 1, s[40:41]
	s_mov_b64 s[28:29], -1
	v_cmp_ne_u32_e32 vcc, 0, v0
	v_mov_b32_e32 v1, 0
	v_mov_b32_e32 v7, v21
	s_cbranch_vccz .LBB4_351
; %bb.345:                              ;   in Loop: Header=BB4_272 Depth=3
	s_and_saveexec_b64 s[44:45], s[28:29]
	s_cbranch_execnz .LBB4_2474
	s_branch .LBB4_3298
.LBB4_346:                              ;   in Loop: Header=BB4_272 Depth=3
	s_mov_b64 s[28:29], 0
	s_and_saveexec_b64 s[40:41], s[10:11]
	s_cbranch_execnz .LBB4_3299
.LBB4_347:                              ;   in Loop: Header=BB4_272 Depth=3
	s_or_b64 exec, exec, s[40:41]
                                        ; implicit-def: $vgpr0
	s_and_saveexec_b64 s[40:41], s[24:25]
	s_xor_b64 s[40:41], exec, s[40:41]
	s_cbranch_execz .LBB4_3317
.LBB4_348:                              ;   in Loop: Header=BB4_272 Depth=3
	v_and_b32_e32 v1, 16, v52
	v_cmp_ne_u32_e32 vcc, 0, v1
	v_and_b32_e32 v0, 16, v52
	s_and_b64 s[42:43], vcc, s[28:29]
	s_and_saveexec_b64 s[28:29], s[42:43]
	s_cbranch_execz .LBB4_350
; %bb.349:                              ;   in Loop: Header=BB4_272 Depth=3
	v_mov_b32_e32 v0, 1
	s_waitcnt vmcnt(0) lgkmcnt(0)
	buffer_wbinvl1_vol
.LBB4_350:                              ;   in Loop: Header=BB4_272 Depth=3
	s_or_b64 exec, exec, s[28:29]
	s_andn2_saveexec_b64 s[28:29], s[40:41]
	s_cbranch_execz .LBB4_3336
	s_branch .LBB4_3318
.LBB4_351:                              ;   in Loop: Header=BB4_272 Depth=3
	v_ashrrev_i32_e32 v0, 31, v21
	v_lshrrev_b32_e32 v0, 21, v0
	buffer_store_dword v12, off, s[0:3], s33 offset:172 ; 4-byte Folded Spill
	s_nop 0
	buffer_store_dword v13, off, s[0:3], s33 offset:176 ; 4-byte Folded Spill
	v_add_u32_e32 v0, v21, v0
	v_ashrrev_i32_e32 v1, 11, v0
	buffer_load_dword v0, off, s[0:3], s33 offset:184 ; 4-byte Folded Reload
	s_waitcnt vmcnt(0)
	v_sub_u32_e32 v53, v1, v0
	v_cmp_lt_i32_e32 vcc, 0, v53
	s_and_saveexec_b64 s[42:43], vcc
	s_cbranch_execz .LBB4_1763
; %bb.352:                              ;   in Loop: Header=BB4_272 Depth=3
	buffer_store_dword v1, off, s[0:3], s33 offset:208 ; 4-byte Folded Spill
	buffer_store_dword v21, off, s[0:3], s33 offset:180 ; 4-byte Folded Spill
	s_trap 2
	buffer_load_dword v2, off, s[0:3], s33 offset:232 ; 4-byte Folded Reload
	ds_read_b64 v[0:1], v0
	s_bitcmp1_b32 s84, 0
	s_mov_b64 s[44:45], 0
	s_cselect_b64 s[46:47], -1, 0
	s_waitcnt vmcnt(0)
	v_add_co_u32_e32 v26, vcc, v58, v2
	buffer_store_dword v58, off, s[0:3], s33 offset:200 ; 4-byte Folded Spill
	s_nop 0
	buffer_store_dword v59, off, s[0:3], s33 offset:204 ; 4-byte Folded Spill
	v_addc_co_u32_e32 v27, vcc, 0, v59, vcc
	s_waitcnt lgkmcnt(0)
	v_add_co_u32_e32 v28, vcc, v0, v2
	v_addc_co_u32_e32 v29, vcc, 0, v1, vcc
	buffer_load_dword v0, off, s[0:3], s33 offset:172 ; 4-byte Folded Reload
	buffer_load_dword v1, off, s[0:3], s33 offset:176 ; 4-byte Folded Reload
	s_waitcnt vmcnt(1)
	v_add_co_u32_e32 v30, vcc, v0, v2
	s_waitcnt vmcnt(0)
	v_addc_co_u32_e32 v31, vcc, 0, v1, vcc
	s_branch .LBB4_354
.LBB4_353:                              ;   in Loop: Header=BB4_354 Depth=4
	s_or_b64 exec, exec, s[28:29]
	v_lshl_or_b32 v0, v60, 8, v61
	v_lshlrev_b32_e32 v4, 16, v25
	v_lshlrev_b32_e32 v5, 24, v24
	v_or3_b32 v8, v0, v4, v5
	v_lshl_or_b32 v0, v7, 8, v37
	v_lshlrev_b32_e32 v4, 16, v46
	v_lshlrev_b32_e32 v5, 24, v47
	v_or3_b32 v7, v0, v4, v5
	;; [unrolled: 4-line block ×3, first 2 shown]
	v_lshlrev_b32_e32 v0, 24, v19
	v_lshlrev_b32_e32 v1, 16, v45
	v_lshl_or_b32 v4, v20, 8, v21
	v_or3_b32 v10, v4, v1, v0
	v_lshl_or_b32 v0, v18, 8, v57
	v_lshlrev_b32_e32 v1, 16, v17
	v_lshlrev_b32_e32 v4, 24, v16
	v_or3_b32 v15, v0, v1, v4
	v_lshl_or_b32 v0, v23, 8, v22
	v_lshlrev_b32_e32 v1, 16, v6
	v_lshlrev_b32_e32 v4, 24, v56
	;; [unrolled: 4-line block ×3, first 2 shown]
	v_or3_b32 v16, v0, v1, v4
	v_lshlrev_b32_e32 v0, 24, v2
	v_lshlrev_b32_e32 v1, 16, v58
	v_lshl_or_b32 v2, v12, 8, v13
	v_or3_b32 v17, v2, v1, v0
	global_store_dwordx4 v[30:31], v[7:10], off glc slc
	global_store_dwordx4 v[30:31], v[14:17], off offset:1024 glc slc
	buffer_load_dword v46, off, s[0:3], s33 offset:76 ; 4-byte Folded Reload
	buffer_load_dword v57, off, s[0:3], s33 offset:68 ; 4-byte Folded Reload
	s_waitcnt vmcnt(1)
	v_add_co_u32_e32 v26, vcc, v26, v46
	v_addc_co_u32_e32 v27, vcc, 0, v27, vcc
	v_add_co_u32_e32 v28, vcc, v28, v46
	v_addc_co_u32_e32 v29, vcc, 0, v29, vcc
	s_waitcnt vmcnt(0)
	v_sub_u32_e32 v53, v53, v57
	v_cmp_gt_i32_e32 vcc, 1, v53
	s_or_b64 s[44:45], vcc, s[44:45]
	v_add_co_u32_e32 v30, vcc, v30, v46
	v_addc_co_u32_e32 v31, vcc, 0, v31, vcc
	s_andn2_b64 exec, exec, s[44:45]
	s_cbranch_execz .LBB4_1762
.LBB4_354:                              ;   Parent Loop BB4_47 Depth=1
                                        ;     Parent Loop BB4_269 Depth=2
                                        ;       Parent Loop BB4_272 Depth=3
                                        ; =>      This Inner Loop Header: Depth=4
	global_load_dwordx4 v[20:23], v[26:27], off glc slc
	global_load_dwordx4 v[12:15], v[26:27], off offset:1024 glc slc
	global_load_dwordx4 v[16:19], v[28:29], off glc slc
	global_load_dwordx4 v[8:11], v[28:29], off offset:1024 glc slc
	s_mov_b64 s[40:41], -1
	s_and_b64 vcc, exec, s[46:47]
                                        ; implicit-def: $vgpr4
	s_waitcnt vmcnt(3)
	v_cmp_ne_u16_sdwa s[28:29], v20, v3 src0_sel:BYTE_0 src1_sel:DWORD
	s_cbranch_vccz .LBB4_368
; %bb.355:                              ;   in Loop: Header=BB4_354 Depth=4
	v_mov_b32_e32 v2, 0
	v_mov_b32_e32 v1, 0
	s_and_saveexec_b64 s[40:41], s[28:29]
	s_cbranch_execz .LBB4_361
; %bb.356:                              ;   in Loop: Header=BB4_354 Depth=4
	v_cmp_ne_u16_sdwa vcc, v20, s80 src0_sel:BYTE_0 src1_sel:DWORD
	v_bfrev_b32_e32 v1, 1
	s_and_saveexec_b64 s[38:39], vcc
	s_cbranch_execz .LBB4_360
; %bb.357:                              ;   in Loop: Header=BB4_354 Depth=4
	v_and_b32_e32 v0, 0x7f, v20
	v_cmp_ne_u32_e32 vcc, s81, v0
	v_mov_b32_e32 v1, 0x7f800001
	s_and_saveexec_b64 s[48:49], vcc
	s_cbranch_execz .LBB4_359
; %bb.358:                              ;   in Loop: Header=BB4_354 Depth=4
	v_and_b32_e32 v1, 7, v20
	v_lshrrev_b32_e32 v4, 3, v0
	v_cmp_gt_u32_e32 vcc, 8, v0
	v_ffbh_u32_e32 v0, v1
	v_min_u32_e32 v0, 32, v0
	v_subrev_u32_e32 v1, 28, v0
	v_sub_u32_e32 v0, 29, v0
	v_cndmask_b32_e32 v4, v4, v0, vcc
	v_cndmask_b32_e32 v0, 0, v1, vcc
	v_lshlrev_b64 v[0:1], v0, v[20:21]
	v_lshlrev_b32_e32 v1, 24, v20
	v_lshlrev_b32_e32 v0, 20, v0
	v_and_b32_e32 v0, 0x700000, v0
	v_and_b32_e32 v1, 0x80000000, v1
	v_lshl_add_u32 v4, v4, 23, v54
	v_or3_b32 v1, v1, v4, v0
.LBB4_359:                              ;   in Loop: Header=BB4_354 Depth=4
	s_or_b64 exec, exec, s[48:49]
.LBB4_360:                              ;   in Loop: Header=BB4_354 Depth=4
	s_or_b64 exec, exec, s[38:39]
.LBB4_361:                              ;   in Loop: Header=BB4_354 Depth=4
	s_or_b64 exec, exec, s[40:41]
	s_waitcnt vmcnt(1)
	v_cmp_ne_u16_sdwa vcc, v16, v3 src0_sel:BYTE_0 src1_sel:DWORD
	s_and_saveexec_b64 s[40:41], vcc
	s_cbranch_execz .LBB4_367
; %bb.362:                              ;   in Loop: Header=BB4_354 Depth=4
	v_cmp_ne_u16_sdwa vcc, v16, s80 src0_sel:BYTE_0 src1_sel:DWORD
	v_bfrev_b32_e32 v2, 1
	s_and_saveexec_b64 s[38:39], vcc
	s_cbranch_execz .LBB4_366
; %bb.363:                              ;   in Loop: Header=BB4_354 Depth=4
	v_and_b32_e32 v0, 0x7f, v16
	v_cmp_ne_u32_e32 vcc, s81, v0
	v_mov_b32_e32 v2, 0x7f800001
	s_and_saveexec_b64 s[48:49], vcc
	s_cbranch_execz .LBB4_365
; %bb.364:                              ;   in Loop: Header=BB4_354 Depth=4
	v_and_b32_e32 v2, 7, v16
	v_lshrrev_b32_e32 v4, 3, v0
	v_cmp_gt_u32_e32 vcc, 8, v0
	v_ffbh_u32_e32 v0, v2
	v_min_u32_e32 v0, 32, v0
	v_subrev_u32_e32 v2, 28, v0
	v_sub_u32_e32 v0, 29, v0
	v_cndmask_b32_e32 v2, 0, v2, vcc
	v_cndmask_b32_e32 v0, v4, v0, vcc
	v_lshlrev_b64 v[4:5], v2, v[16:17]
	v_lshl_add_u32 v0, v0, 23, v54
	v_lshlrev_b32_e32 v2, 20, v4
	v_lshlrev_b32_e32 v4, 24, v16
	v_and_b32_e32 v2, 0x700000, v2
	v_and_b32_e32 v4, 0x80000000, v4
	v_or3_b32 v2, v4, v0, v2
.LBB4_365:                              ;   in Loop: Header=BB4_354 Depth=4
	s_or_b64 exec, exec, s[48:49]
.LBB4_366:                              ;   in Loop: Header=BB4_354 Depth=4
	s_or_b64 exec, exec, s[38:39]
.LBB4_367:                              ;   in Loop: Header=BB4_354 Depth=4
	s_or_b64 exec, exec, s[40:41]
	v_max_f32_e32 v0, v2, v2
	v_max_f32_e32 v1, v1, v1
	;; [unrolled: 1-line block ×3, first 2 shown]
	s_mov_b64 s[40:41], 0
.LBB4_368:                              ;   in Loop: Header=BB4_354 Depth=4
	s_and_b64 vcc, exec, s[40:41]
	s_cbranch_vccz .LBB4_382
; %bb.369:                              ;   in Loop: Header=BB4_354 Depth=4
	v_mov_b32_e32 v2, 0
	v_mov_b32_e32 v1, 0
	s_and_saveexec_b64 s[40:41], s[28:29]
	s_cbranch_execz .LBB4_375
; %bb.370:                              ;   in Loop: Header=BB4_354 Depth=4
	v_cmp_ne_u16_sdwa vcc, v20, s80 src0_sel:BYTE_0 src1_sel:DWORD
	v_bfrev_b32_e32 v1, 1
	s_and_saveexec_b64 s[28:29], vcc
	s_cbranch_execz .LBB4_374
; %bb.371:                              ;   in Loop: Header=BB4_354 Depth=4
	v_and_b32_e32 v0, 0x7f, v20
	v_cmp_ne_u32_e32 vcc, s81, v0
	v_mov_b32_e32 v1, 0x7f800001
	s_and_saveexec_b64 s[38:39], vcc
	s_cbranch_execz .LBB4_373
; %bb.372:                              ;   in Loop: Header=BB4_354 Depth=4
	v_and_b32_e32 v1, 7, v20
	v_lshrrev_b32_e32 v4, 3, v0
	v_cmp_gt_u32_e32 vcc, 8, v0
	v_ffbh_u32_e32 v0, v1
	v_min_u32_e32 v0, 32, v0
	v_subrev_u32_e32 v1, 28, v0
	v_sub_u32_e32 v0, 29, v0
	v_cndmask_b32_e32 v4, v4, v0, vcc
	v_cndmask_b32_e32 v0, 0, v1, vcc
	v_lshlrev_b64 v[0:1], v0, v[20:21]
	v_lshlrev_b32_e32 v1, 24, v20
	v_lshlrev_b32_e32 v0, 20, v0
	v_and_b32_e32 v0, 0x700000, v0
	v_and_b32_e32 v1, 0x80000000, v1
	v_lshl_add_u32 v4, v4, 23, v54
	v_or3_b32 v1, v1, v4, v0
.LBB4_373:                              ;   in Loop: Header=BB4_354 Depth=4
	s_or_b64 exec, exec, s[38:39]
.LBB4_374:                              ;   in Loop: Header=BB4_354 Depth=4
	s_or_b64 exec, exec, s[28:29]
.LBB4_375:                              ;   in Loop: Header=BB4_354 Depth=4
	s_or_b64 exec, exec, s[40:41]
	s_waitcnt vmcnt(1)
	v_cmp_ne_u16_sdwa s[40:41], v16, v3 src0_sel:BYTE_0 src1_sel:DWORD
	s_and_saveexec_b64 s[28:29], s[40:41]
	s_cbranch_execz .LBB4_381
; %bb.376:                              ;   in Loop: Header=BB4_354 Depth=4
	v_cmp_ne_u16_sdwa vcc, v16, s80 src0_sel:BYTE_0 src1_sel:DWORD
	v_bfrev_b32_e32 v2, 1
	s_and_saveexec_b64 s[40:41], vcc
	s_cbranch_execz .LBB4_380
; %bb.377:                              ;   in Loop: Header=BB4_354 Depth=4
	v_and_b32_e32 v0, 0x7f, v16
	v_cmp_ne_u32_e32 vcc, s81, v0
	v_mov_b32_e32 v2, 0x7f800001
	s_and_saveexec_b64 s[38:39], vcc
	s_cbranch_execz .LBB4_379
; %bb.378:                              ;   in Loop: Header=BB4_354 Depth=4
	v_and_b32_e32 v2, 7, v16
	v_lshrrev_b32_e32 v4, 3, v0
	v_cmp_gt_u32_e32 vcc, 8, v0
	v_ffbh_u32_e32 v0, v2
	v_min_u32_e32 v0, 32, v0
	v_subrev_u32_e32 v2, 28, v0
	v_sub_u32_e32 v0, 29, v0
	v_cndmask_b32_e32 v2, 0, v2, vcc
	v_cndmask_b32_e32 v0, v4, v0, vcc
	v_lshlrev_b64 v[4:5], v2, v[16:17]
	v_lshl_add_u32 v0, v0, 23, v54
	v_lshlrev_b32_e32 v2, 20, v4
	v_lshlrev_b32_e32 v4, 24, v16
	v_and_b32_e32 v2, 0x700000, v2
	v_and_b32_e32 v4, 0x80000000, v4
	v_or3_b32 v2, v4, v0, v2
.LBB4_379:                              ;   in Loop: Header=BB4_354 Depth=4
	s_or_b64 exec, exec, s[38:39]
.LBB4_380:                              ;   in Loop: Header=BB4_354 Depth=4
	s_or_b64 exec, exec, s[40:41]
.LBB4_381:                              ;   in Loop: Header=BB4_354 Depth=4
	s_or_b64 exec, exec, s[28:29]
	v_max_f32_e32 v0, v2, v2
	v_max_f32_e32 v1, v1, v1
	v_min_f32_e32 v4, v1, v0
.LBB4_382:                              ;   in Loop: Header=BB4_354 Depth=4
	v_and_b32_e32 v2, 0x7f800000, v4
	v_cmp_ne_u64_e32 vcc, s[76:77], v[2:3]
                                        ; implicit-def: $vgpr37
	s_and_saveexec_b64 s[28:29], vcc
	s_xor_b64 s[40:41], exec, s[28:29]
	s_cbranch_execz .LBB4_396
; %bb.383:                              ;   in Loop: Header=BB4_354 Depth=4
	v_and_b32_e32 v2, 0x7fffffff, v4
	v_cmp_gt_u64_e32 vcc, s[78:79], v[2:3]
	v_and_b32_sdwa v1, v4, s80 dst_sel:DWORD dst_unused:UNUSED_PAD src0_sel:BYTE_3 src1_sel:DWORD
                                        ; implicit-def: $vgpr37
	s_and_saveexec_b64 s[28:29], vcc
	s_xor_b64 s[38:39], exec, s[28:29]
	s_cbranch_execz .LBB4_393
; %bb.384:                              ;   in Loop: Header=BB4_354 Depth=4
	v_mov_b32_e32 v37, 0
	v_cmp_ne_u32_e32 vcc, 0, v4
	s_and_saveexec_b64 s[48:49], vcc
	s_cbranch_execz .LBB4_392
; %bb.385:                              ;   in Loop: Header=BB4_354 Depth=4
	v_bfe_u32 v6, v4, 23, 8
	v_cmp_gt_u32_e64 s[28:29], s83, v6
	v_sub_u32_e32 v2, 0x79, v6
	v_and_b32_e32 v0, 0x7fffff, v4
	v_cmp_eq_u32_e32 vcc, 0, v6
	v_cndmask_b32_e64 v2, 0, v2, s[28:29]
	v_mov_b32_e32 v5, 0x78
	v_or_b32_e32 v4, 0x800000, v0
	v_cndmask_b32_e32 v7, v2, v5, vcc
	v_cndmask_b32_e32 v2, v4, v0, vcc
	v_add_u32_e32 v0, 20, v7
	v_lshlrev_b64 v[4:5], v0, -1
	v_add_u32_e32 v0, 19, v7
	v_lshlrev_b64 v[24:25], v0, 1
	v_bfi_b32 v5, v5, 0, 0
	v_bfi_b32 v4, v4, 0, v2
	v_cmp_eq_u64_e64 s[28:29], v[4:5], v[24:25]
	v_lshrrev_b64 v[24:25], v7, v[2:3]
	v_mov_b32_e32 v4, v24
	v_mov_b32_e32 v5, v25
	s_and_saveexec_b64 s[50:51], s[28:29]
; %bb.386:                              ;   in Loop: Header=BB4_354 Depth=4
	v_bfe_u32 v0, v24, 20, 1
	v_add_co_u32_e64 v0, s[28:29], v24, v0
	v_add_co_u32_e64 v4, s[28:29], -1, v0
; %bb.387:                              ;   in Loop: Header=BB4_354 Depth=4
	s_or_b64 exec, exec, s[50:51]
	v_add_u32_e32 v0, 0xffffff81, v6
	v_mov_b32_e32 v2, 0xffffff82
	v_cndmask_b32_e32 v0, v0, v2, vcc
	v_lshrrev_b32_e32 v2, 23, v24
	v_add3_u32 v5, v7, v0, v2
	v_add_u32_e32 v0, 6, v5
	v_and_b32_e32 v2, 0xfffff, v4
	v_add_u32_e32 v2, v2, v24
	v_cmp_ne_u32_e32 vcc, 0, v0
                                        ; implicit-def: $vgpr24_vgpr25
                                        ; implicit-def: $vgpr4
	s_and_saveexec_b64 s[28:29], vcc
	s_xor_b64 s[28:29], exec, s[28:29]
; %bb.388:                              ;   in Loop: Header=BB4_354 Depth=4
	v_cmp_lt_u64_e32 vcc, s[88:89], v[2:3]
	v_add_u32_e32 v4, 7, v5
	v_cndmask_b32_e32 v4, v0, v4, vcc
	v_cndmask_b32_e64 v0, 0, 1, vcc
	v_lshrrev_b64 v[24:25], v0, v[2:3]
; %bb.389:                              ;   in Loop: Header=BB4_354 Depth=4
	s_andn2_saveexec_b64 s[28:29], s[28:29]
; %bb.390:                              ;   in Loop: Header=BB4_354 Depth=4
	v_mov_b32_e32 v25, v3
	v_bfe_u32 v4, v2, 23, 1
	v_mov_b32_e32 v24, v2
; %bb.391:                              ;   in Loop: Header=BB4_354 Depth=4
	s_or_b64 exec, exec, s[28:29]
	v_lshrrev_b64 v[5:6], 20, v[24:25]
	v_cmp_gt_i32_e32 vcc, 16, v4
	v_cndmask_b32_e32 v6, 0, v6, vcc
	v_cndmask_b32_e32 v5, 7, v5, vcc
	v_min_i32_e32 v0, 15, v4
	v_cmp_eq_u64_e64 s[28:29], 0, v[5:6]
	v_lshlrev_b32_e32 v0, 3, v0
	v_cmp_eq_u32_e32 vcc, 0, v4
	v_and_b32_e32 v0, 0xf8, v0
	v_and_or_b32 v0, v5, 7, v0
	s_and_b64 s[28:29], vcc, s[28:29]
	v_cndmask_b32_e64 v0, v0, 0, s[28:29]
	v_or_b32_e32 v37, v0, v1
.LBB4_392:                              ;   in Loop: Header=BB4_354 Depth=4
	s_or_b64 exec, exec, s[48:49]
                                        ; implicit-def: $vgpr1
.LBB4_393:                              ;   in Loop: Header=BB4_354 Depth=4
	s_andn2_saveexec_b64 s[28:29], s[38:39]
; %bb.394:                              ;   in Loop: Header=BB4_354 Depth=4
	v_or_b32_e32 v37, 0x7e, v1
; %bb.395:                              ;   in Loop: Header=BB4_354 Depth=4
	s_or_b64 exec, exec, s[28:29]
                                        ; implicit-def: $vgpr4
.LBB4_396:                              ;   in Loop: Header=BB4_354 Depth=4
	s_andn2_saveexec_b64 s[28:29], s[40:41]
; %bb.397:                              ;   in Loop: Header=BB4_354 Depth=4
	v_or_b32_sdwa v37, v4, s81 dst_sel:DWORD dst_unused:UNUSED_PAD src0_sel:BYTE_3 src1_sel:DWORD
; %bb.398:                              ;   in Loop: Header=BB4_354 Depth=4
	s_or_b64 exec, exec, s[28:29]
	v_lshrrev_b16_e32 v24, 8, v20
	s_waitcnt vmcnt(1)
	v_lshrrev_b16_e32 v2, 8, v16
	v_cmp_ne_u16_e64 s[28:29], 0, v24
	s_mov_b64 s[40:41], -1
	s_and_b64 vcc, exec, s[46:47]
                                        ; implicit-def: $vgpr4
	s_cbranch_vccz .LBB4_412
; %bb.399:                              ;   in Loop: Header=BB4_354 Depth=4
	v_mov_b32_e32 v4, 0
	v_mov_b32_e32 v1, 0
	s_and_saveexec_b64 s[40:41], s[28:29]
	s_cbranch_execz .LBB4_405
; %bb.400:                              ;   in Loop: Header=BB4_354 Depth=4
	v_cmp_ne_u16_e32 vcc, s80, v24
	v_bfrev_b32_e32 v1, 1
	s_and_saveexec_b64 s[38:39], vcc
	s_cbranch_execz .LBB4_404
; %bb.401:                              ;   in Loop: Header=BB4_354 Depth=4
	v_and_b32_e32 v0, 0x7f, v24
	v_cmp_ne_u32_e32 vcc, s81, v0
	v_mov_b32_e32 v1, 0x7f800001
	s_and_saveexec_b64 s[48:49], vcc
	s_cbranch_execz .LBB4_403
; %bb.402:                              ;   in Loop: Header=BB4_354 Depth=4
	v_and_b32_e32 v5, 7, v24
	v_lshrrev_b32_e32 v6, 3, v0
	v_cmp_gt_u32_e32 vcc, 8, v0
	v_ffbh_u32_e32 v0, v5
	v_min_u32_e32 v7, 32, v0
	v_subrev_u32_e32 v0, 28, v7
	v_lshlrev_b64 v[0:1], v0, v[24:25]
	v_sub_u32_e32 v1, 29, v7
	v_and_b32_e32 v0, 7, v0
	v_cndmask_b32_e32 v1, v6, v1, vcc
	v_cndmask_b32_e32 v0, v5, v0, vcc
	v_lshlrev_b32_e32 v5, 16, v20
	v_lshlrev_b32_e32 v0, 20, v0
	v_and_b32_e32 v5, 0x80000000, v5
	v_lshl_add_u32 v1, v1, 23, v54
	v_or3_b32 v1, v5, v1, v0
.LBB4_403:                              ;   in Loop: Header=BB4_354 Depth=4
	s_or_b64 exec, exec, s[48:49]
.LBB4_404:                              ;   in Loop: Header=BB4_354 Depth=4
	s_or_b64 exec, exec, s[38:39]
.LBB4_405:                              ;   in Loop: Header=BB4_354 Depth=4
	s_or_b64 exec, exec, s[40:41]
	v_cmp_ne_u16_e32 vcc, 0, v2
	s_and_saveexec_b64 s[40:41], vcc
	s_cbranch_execz .LBB4_411
; %bb.406:                              ;   in Loop: Header=BB4_354 Depth=4
	v_cmp_ne_u16_e32 vcc, s80, v2
	v_bfrev_b32_e32 v4, 1
	s_and_saveexec_b64 s[38:39], vcc
	s_cbranch_execz .LBB4_410
; %bb.407:                              ;   in Loop: Header=BB4_354 Depth=4
	v_and_b32_e32 v0, 0x7f, v2
	v_cmp_ne_u32_e32 vcc, s81, v0
	v_mov_b32_e32 v4, 0x7f800001
	s_and_saveexec_b64 s[48:49], vcc
	s_cbranch_execz .LBB4_409
; %bb.408:                              ;   in Loop: Header=BB4_354 Depth=4
	v_and_b32_e32 v6, 7, v2
	v_lshrrev_b32_e32 v7, 3, v0
	v_cmp_gt_u32_e32 vcc, 8, v0
	v_ffbh_u32_e32 v0, v6
	v_min_u32_e32 v0, 32, v0
	v_subrev_u32_e32 v4, 28, v0
	v_lshlrev_b64 v[4:5], v4, v[2:3]
	v_sub_u32_e32 v0, 29, v0
	v_and_b32_e32 v4, 7, v4
	v_cndmask_b32_e32 v0, v7, v0, vcc
	v_cndmask_b32_e32 v4, v6, v4, vcc
	v_lshlrev_b32_e32 v5, 16, v16
	v_lshlrev_b32_e32 v4, 20, v4
	v_and_b32_e32 v5, 0x80000000, v5
	v_lshl_add_u32 v0, v0, 23, v54
	v_or3_b32 v4, v5, v0, v4
.LBB4_409:                              ;   in Loop: Header=BB4_354 Depth=4
	s_or_b64 exec, exec, s[48:49]
.LBB4_410:                              ;   in Loop: Header=BB4_354 Depth=4
	s_or_b64 exec, exec, s[38:39]
.LBB4_411:                              ;   in Loop: Header=BB4_354 Depth=4
	s_or_b64 exec, exec, s[40:41]
	v_max_f32_e32 v0, v4, v4
	v_max_f32_e32 v1, v1, v1
	;; [unrolled: 1-line block ×3, first 2 shown]
	s_mov_b64 s[40:41], 0
.LBB4_412:                              ;   in Loop: Header=BB4_354 Depth=4
	s_and_b64 vcc, exec, s[40:41]
	s_cbranch_vccz .LBB4_426
; %bb.413:                              ;   in Loop: Header=BB4_354 Depth=4
	v_mov_b32_e32 v4, 0
	v_mov_b32_e32 v1, 0
	s_and_saveexec_b64 s[40:41], s[28:29]
	s_cbranch_execz .LBB4_419
; %bb.414:                              ;   in Loop: Header=BB4_354 Depth=4
	v_cmp_ne_u16_e32 vcc, s80, v24
	v_bfrev_b32_e32 v1, 1
	s_and_saveexec_b64 s[28:29], vcc
	s_cbranch_execz .LBB4_418
; %bb.415:                              ;   in Loop: Header=BB4_354 Depth=4
	v_and_b32_e32 v0, 0x7f, v24
	v_cmp_ne_u32_e32 vcc, s81, v0
	v_mov_b32_e32 v1, 0x7f800001
	s_and_saveexec_b64 s[38:39], vcc
	s_cbranch_execz .LBB4_417
; %bb.416:                              ;   in Loop: Header=BB4_354 Depth=4
	v_and_b32_e32 v5, 7, v24
	v_lshrrev_b32_e32 v6, 3, v0
	v_cmp_gt_u32_e32 vcc, 8, v0
	v_ffbh_u32_e32 v0, v5
	v_min_u32_e32 v7, 32, v0
	v_subrev_u32_e32 v0, 28, v7
	v_lshlrev_b64 v[0:1], v0, v[24:25]
	v_sub_u32_e32 v1, 29, v7
	v_and_b32_e32 v0, 7, v0
	v_cndmask_b32_e32 v1, v6, v1, vcc
	v_cndmask_b32_e32 v0, v5, v0, vcc
	v_lshlrev_b32_e32 v5, 16, v20
	v_lshlrev_b32_e32 v0, 20, v0
	v_and_b32_e32 v5, 0x80000000, v5
	v_lshl_add_u32 v1, v1, 23, v54
	v_or3_b32 v1, v5, v1, v0
.LBB4_417:                              ;   in Loop: Header=BB4_354 Depth=4
	s_or_b64 exec, exec, s[38:39]
.LBB4_418:                              ;   in Loop: Header=BB4_354 Depth=4
	s_or_b64 exec, exec, s[28:29]
.LBB4_419:                              ;   in Loop: Header=BB4_354 Depth=4
	s_or_b64 exec, exec, s[40:41]
	v_cmp_ne_u16_e32 vcc, 0, v2
	s_and_saveexec_b64 s[28:29], vcc
	s_cbranch_execz .LBB4_425
; %bb.420:                              ;   in Loop: Header=BB4_354 Depth=4
	v_cmp_ne_u16_e32 vcc, s80, v2
	v_bfrev_b32_e32 v4, 1
	s_and_saveexec_b64 s[40:41], vcc
	s_cbranch_execz .LBB4_424
; %bb.421:                              ;   in Loop: Header=BB4_354 Depth=4
	v_and_b32_e32 v0, 0x7f, v2
	v_cmp_ne_u32_e32 vcc, s81, v0
	v_mov_b32_e32 v4, 0x7f800001
	s_and_saveexec_b64 s[38:39], vcc
	s_cbranch_execz .LBB4_423
; %bb.422:                              ;   in Loop: Header=BB4_354 Depth=4
	v_and_b32_e32 v6, 7, v2
	v_lshrrev_b32_e32 v7, 3, v0
	v_cmp_gt_u32_e32 vcc, 8, v0
	v_ffbh_u32_e32 v0, v6
	v_min_u32_e32 v0, 32, v0
	v_subrev_u32_e32 v4, 28, v0
	v_lshlrev_b64 v[4:5], v4, v[2:3]
	v_sub_u32_e32 v0, 29, v0
	v_and_b32_e32 v2, 7, v4
	v_cndmask_b32_e32 v0, v7, v0, vcc
	v_cndmask_b32_e32 v2, v6, v2, vcc
	v_lshlrev_b32_e32 v4, 16, v16
	v_lshlrev_b32_e32 v2, 20, v2
	v_and_b32_e32 v4, 0x80000000, v4
	v_lshl_add_u32 v0, v0, 23, v54
	v_or3_b32 v4, v4, v0, v2
.LBB4_423:                              ;   in Loop: Header=BB4_354 Depth=4
	s_or_b64 exec, exec, s[38:39]
.LBB4_424:                              ;   in Loop: Header=BB4_354 Depth=4
	s_or_b64 exec, exec, s[40:41]
.LBB4_425:                              ;   in Loop: Header=BB4_354 Depth=4
	s_or_b64 exec, exec, s[28:29]
	v_max_f32_e32 v0, v4, v4
	v_max_f32_e32 v1, v1, v1
	v_min_f32_e32 v4, v1, v0
.LBB4_426:                              ;   in Loop: Header=BB4_354 Depth=4
	v_and_b32_e32 v2, 0x7f800000, v4
	v_cmp_ne_u64_e32 vcc, s[76:77], v[2:3]
                                        ; implicit-def: $vgpr7
	s_and_saveexec_b64 s[28:29], vcc
	s_xor_b64 s[40:41], exec, s[28:29]
	s_cbranch_execz .LBB4_440
; %bb.427:                              ;   in Loop: Header=BB4_354 Depth=4
	v_and_b32_e32 v2, 0x7fffffff, v4
	v_cmp_gt_u64_e32 vcc, s[78:79], v[2:3]
	v_and_b32_sdwa v1, v4, s80 dst_sel:DWORD dst_unused:UNUSED_PAD src0_sel:BYTE_3 src1_sel:DWORD
                                        ; implicit-def: $vgpr7
	s_and_saveexec_b64 s[28:29], vcc
	s_xor_b64 s[38:39], exec, s[28:29]
	s_cbranch_execz .LBB4_437
; %bb.428:                              ;   in Loop: Header=BB4_354 Depth=4
	v_mov_b32_e32 v7, 0
	v_cmp_ne_u32_e32 vcc, 0, v4
	s_and_saveexec_b64 s[48:49], vcc
	s_cbranch_execz .LBB4_436
; %bb.429:                              ;   in Loop: Header=BB4_354 Depth=4
	v_bfe_u32 v6, v4, 23, 8
	v_cmp_gt_u32_e64 s[28:29], s83, v6
	v_sub_u32_e32 v2, 0x79, v6
	v_and_b32_e32 v0, 0x7fffff, v4
	v_cmp_eq_u32_e32 vcc, 0, v6
	v_cndmask_b32_e64 v2, 0, v2, s[28:29]
	v_mov_b32_e32 v5, 0x78
	v_or_b32_e32 v4, 0x800000, v0
	v_cndmask_b32_e32 v7, v2, v5, vcc
	v_cndmask_b32_e32 v2, v4, v0, vcc
	v_add_u32_e32 v0, 20, v7
	v_lshlrev_b64 v[4:5], v0, -1
	v_add_u32_e32 v0, 19, v7
	v_lshlrev_b64 v[24:25], v0, 1
	v_bfi_b32 v5, v5, 0, 0
	v_bfi_b32 v4, v4, 0, v2
	v_cmp_eq_u64_e64 s[28:29], v[4:5], v[24:25]
	v_lshrrev_b64 v[24:25], v7, v[2:3]
	v_mov_b32_e32 v4, v24
	v_mov_b32_e32 v5, v25
	s_and_saveexec_b64 s[50:51], s[28:29]
; %bb.430:                              ;   in Loop: Header=BB4_354 Depth=4
	v_bfe_u32 v0, v24, 20, 1
	v_add_co_u32_e64 v0, s[28:29], v24, v0
	v_add_co_u32_e64 v4, s[28:29], -1, v0
; %bb.431:                              ;   in Loop: Header=BB4_354 Depth=4
	s_or_b64 exec, exec, s[50:51]
	v_add_u32_e32 v0, 0xffffff81, v6
	v_mov_b32_e32 v2, 0xffffff82
	v_cndmask_b32_e32 v0, v0, v2, vcc
	v_lshrrev_b32_e32 v2, 23, v24
	v_add3_u32 v5, v7, v0, v2
	v_add_u32_e32 v0, 6, v5
	v_and_b32_e32 v2, 0xfffff, v4
	v_add_u32_e32 v2, v2, v24
	v_cmp_ne_u32_e32 vcc, 0, v0
                                        ; implicit-def: $vgpr24_vgpr25
                                        ; implicit-def: $vgpr4
	s_and_saveexec_b64 s[28:29], vcc
	s_xor_b64 s[28:29], exec, s[28:29]
; %bb.432:                              ;   in Loop: Header=BB4_354 Depth=4
	v_cmp_lt_u64_e32 vcc, s[88:89], v[2:3]
	v_add_u32_e32 v4, 7, v5
	v_cndmask_b32_e32 v4, v0, v4, vcc
	v_cndmask_b32_e64 v0, 0, 1, vcc
	v_lshrrev_b64 v[24:25], v0, v[2:3]
; %bb.433:                              ;   in Loop: Header=BB4_354 Depth=4
	s_andn2_saveexec_b64 s[28:29], s[28:29]
; %bb.434:                              ;   in Loop: Header=BB4_354 Depth=4
	v_mov_b32_e32 v25, v3
	v_bfe_u32 v4, v2, 23, 1
	v_mov_b32_e32 v24, v2
; %bb.435:                              ;   in Loop: Header=BB4_354 Depth=4
	s_or_b64 exec, exec, s[28:29]
	v_lshrrev_b64 v[5:6], 20, v[24:25]
	v_cmp_gt_i32_e32 vcc, 16, v4
	v_cndmask_b32_e32 v6, 0, v6, vcc
	v_cndmask_b32_e32 v5, 7, v5, vcc
	v_min_i32_e32 v0, 15, v4
	v_cmp_eq_u64_e64 s[28:29], 0, v[5:6]
	v_lshlrev_b32_e32 v0, 3, v0
	v_cmp_eq_u32_e32 vcc, 0, v4
	v_and_b32_e32 v0, 0xf8, v0
	v_and_or_b32 v0, v5, 7, v0
	s_and_b64 s[28:29], vcc, s[28:29]
	v_cndmask_b32_e64 v0, v0, 0, s[28:29]
	v_or_b32_e32 v7, v0, v1
.LBB4_436:                              ;   in Loop: Header=BB4_354 Depth=4
	s_or_b64 exec, exec, s[48:49]
                                        ; implicit-def: $vgpr1
.LBB4_437:                              ;   in Loop: Header=BB4_354 Depth=4
	s_andn2_saveexec_b64 s[28:29], s[38:39]
; %bb.438:                              ;   in Loop: Header=BB4_354 Depth=4
	v_or_b32_e32 v7, 0x7e, v1
; %bb.439:                              ;   in Loop: Header=BB4_354 Depth=4
	s_or_b64 exec, exec, s[28:29]
                                        ; implicit-def: $vgpr4
.LBB4_440:                              ;   in Loop: Header=BB4_354 Depth=4
	s_andn2_saveexec_b64 s[28:29], s[40:41]
; %bb.441:                              ;   in Loop: Header=BB4_354 Depth=4
	v_or_b32_sdwa v7, v4, s81 dst_sel:DWORD dst_unused:UNUSED_PAD src0_sel:BYTE_3 src1_sel:DWORD
; %bb.442:                              ;   in Loop: Header=BB4_354 Depth=4
	s_or_b64 exec, exec, s[28:29]
	v_lshrrev_b32_e32 v24, 16, v20
	v_lshrrev_b32_e32 v2, 16, v16
	v_cmp_ne_u16_sdwa s[28:29], v24, v3 src0_sel:BYTE_0 src1_sel:DWORD
	s_mov_b64 s[40:41], -1
	s_and_b64 vcc, exec, s[46:47]
                                        ; implicit-def: $vgpr4
	s_cbranch_vccz .LBB4_456
; %bb.443:                              ;   in Loop: Header=BB4_354 Depth=4
	v_mov_b32_e32 v4, 0
	v_mov_b32_e32 v1, 0
	s_and_saveexec_b64 s[40:41], s[28:29]
	s_cbranch_execz .LBB4_449
; %bb.444:                              ;   in Loop: Header=BB4_354 Depth=4
	v_cmp_ne_u16_sdwa vcc, v24, s80 src0_sel:BYTE_0 src1_sel:DWORD
	v_bfrev_b32_e32 v1, 1
	s_and_saveexec_b64 s[38:39], vcc
	s_cbranch_execz .LBB4_448
; %bb.445:                              ;   in Loop: Header=BB4_354 Depth=4
	v_bfe_u32 v0, v20, 16, 7
	v_cmp_ne_u32_e32 vcc, s81, v0
	v_mov_b32_e32 v1, 0x7f800001
	s_and_saveexec_b64 s[48:49], vcc
	s_cbranch_execz .LBB4_447
; %bb.446:                              ;   in Loop: Header=BB4_354 Depth=4
	v_and_b32_e32 v5, 7, v24
	v_lshrrev_b32_e32 v6, 3, v0
	v_cmp_gt_u32_e32 vcc, 8, v0
	v_ffbh_u32_e32 v0, v5
	v_min_u32_e32 v25, 32, v0
	v_subrev_u32_e32 v0, 28, v25
	v_lshlrev_b64 v[0:1], v0, v[24:25]
	v_sub_u32_e32 v1, 29, v25
	v_and_b32_e32 v0, 7, v0
	v_cndmask_b32_e32 v1, v6, v1, vcc
	v_cndmask_b32_e32 v0, v5, v0, vcc
	v_lshlrev_b32_e32 v5, 24, v24
	v_lshlrev_b32_e32 v0, 20, v0
	v_and_b32_e32 v5, 0x80000000, v5
	v_lshl_add_u32 v1, v1, 23, v54
	v_or3_b32 v1, v5, v1, v0
.LBB4_447:                              ;   in Loop: Header=BB4_354 Depth=4
	s_or_b64 exec, exec, s[48:49]
.LBB4_448:                              ;   in Loop: Header=BB4_354 Depth=4
	s_or_b64 exec, exec, s[38:39]
.LBB4_449:                              ;   in Loop: Header=BB4_354 Depth=4
	s_or_b64 exec, exec, s[40:41]
	v_cmp_ne_u16_sdwa vcc, v2, v3 src0_sel:BYTE_0 src1_sel:DWORD
	s_and_saveexec_b64 s[40:41], vcc
	s_cbranch_execz .LBB4_455
; %bb.450:                              ;   in Loop: Header=BB4_354 Depth=4
	v_cmp_ne_u16_sdwa vcc, v2, s80 src0_sel:BYTE_0 src1_sel:DWORD
	v_bfrev_b32_e32 v4, 1
	s_and_saveexec_b64 s[38:39], vcc
	s_cbranch_execz .LBB4_454
; %bb.451:                              ;   in Loop: Header=BB4_354 Depth=4
	v_bfe_u32 v0, v16, 16, 7
	v_cmp_ne_u32_e32 vcc, s81, v0
	v_mov_b32_e32 v4, 0x7f800001
	s_and_saveexec_b64 s[48:49], vcc
	s_cbranch_execz .LBB4_453
; %bb.452:                              ;   in Loop: Header=BB4_354 Depth=4
	v_and_b32_e32 v6, 7, v2
	v_lshrrev_b32_e32 v25, 3, v0
	v_cmp_gt_u32_e32 vcc, 8, v0
	v_ffbh_u32_e32 v0, v6
	v_min_u32_e32 v0, 32, v0
	v_subrev_u32_e32 v4, 28, v0
	v_lshlrev_b64 v[4:5], v4, v[2:3]
	v_sub_u32_e32 v0, 29, v0
	v_and_b32_e32 v4, 7, v4
	v_cndmask_b32_e32 v0, v25, v0, vcc
	v_cndmask_b32_e32 v4, v6, v4, vcc
	v_lshlrev_b32_e32 v5, 24, v2
	v_lshlrev_b32_e32 v4, 20, v4
	v_and_b32_e32 v5, 0x80000000, v5
	v_lshl_add_u32 v0, v0, 23, v54
	v_or3_b32 v4, v5, v0, v4
.LBB4_453:                              ;   in Loop: Header=BB4_354 Depth=4
	s_or_b64 exec, exec, s[48:49]
.LBB4_454:                              ;   in Loop: Header=BB4_354 Depth=4
	s_or_b64 exec, exec, s[38:39]
.LBB4_455:                              ;   in Loop: Header=BB4_354 Depth=4
	s_or_b64 exec, exec, s[40:41]
	v_max_f32_e32 v0, v4, v4
	v_max_f32_e32 v1, v1, v1
	;; [unrolled: 1-line block ×3, first 2 shown]
	s_mov_b64 s[40:41], 0
.LBB4_456:                              ;   in Loop: Header=BB4_354 Depth=4
	s_and_b64 vcc, exec, s[40:41]
	s_cbranch_vccz .LBB4_470
; %bb.457:                              ;   in Loop: Header=BB4_354 Depth=4
	v_mov_b32_e32 v4, 0
	v_mov_b32_e32 v1, 0
	s_and_saveexec_b64 s[40:41], s[28:29]
	s_cbranch_execz .LBB4_463
; %bb.458:                              ;   in Loop: Header=BB4_354 Depth=4
	v_cmp_ne_u16_sdwa vcc, v24, s80 src0_sel:BYTE_0 src1_sel:DWORD
	v_bfrev_b32_e32 v1, 1
	s_and_saveexec_b64 s[28:29], vcc
	s_cbranch_execz .LBB4_462
; %bb.459:                              ;   in Loop: Header=BB4_354 Depth=4
	v_bfe_u32 v0, v20, 16, 7
	v_cmp_ne_u32_e32 vcc, s81, v0
	v_mov_b32_e32 v1, 0x7f800001
	s_and_saveexec_b64 s[38:39], vcc
	s_cbranch_execz .LBB4_461
; %bb.460:                              ;   in Loop: Header=BB4_354 Depth=4
	v_and_b32_e32 v5, 7, v24
	v_lshrrev_b32_e32 v6, 3, v0
	v_cmp_gt_u32_e32 vcc, 8, v0
	v_ffbh_u32_e32 v0, v5
	v_min_u32_e32 v25, 32, v0
	v_subrev_u32_e32 v0, 28, v25
	v_lshlrev_b64 v[0:1], v0, v[24:25]
	v_sub_u32_e32 v1, 29, v25
	v_and_b32_e32 v0, 7, v0
	v_cndmask_b32_e32 v1, v6, v1, vcc
	v_cndmask_b32_e32 v0, v5, v0, vcc
	v_lshlrev_b32_e32 v5, 24, v24
	v_lshlrev_b32_e32 v0, 20, v0
	v_and_b32_e32 v5, 0x80000000, v5
	v_lshl_add_u32 v1, v1, 23, v54
	v_or3_b32 v1, v5, v1, v0
.LBB4_461:                              ;   in Loop: Header=BB4_354 Depth=4
	s_or_b64 exec, exec, s[38:39]
.LBB4_462:                              ;   in Loop: Header=BB4_354 Depth=4
	s_or_b64 exec, exec, s[28:29]
.LBB4_463:                              ;   in Loop: Header=BB4_354 Depth=4
	s_or_b64 exec, exec, s[40:41]
	v_cmp_ne_u16_sdwa s[40:41], v2, v3 src0_sel:BYTE_0 src1_sel:DWORD
	s_and_saveexec_b64 s[28:29], s[40:41]
	s_cbranch_execz .LBB4_469
; %bb.464:                              ;   in Loop: Header=BB4_354 Depth=4
	v_cmp_ne_u16_sdwa vcc, v2, s80 src0_sel:BYTE_0 src1_sel:DWORD
	v_bfrev_b32_e32 v4, 1
	s_and_saveexec_b64 s[40:41], vcc
	s_cbranch_execz .LBB4_468
; %bb.465:                              ;   in Loop: Header=BB4_354 Depth=4
	v_bfe_u32 v0, v16, 16, 7
	v_cmp_ne_u32_e32 vcc, s81, v0
	v_mov_b32_e32 v4, 0x7f800001
	s_and_saveexec_b64 s[38:39], vcc
	s_cbranch_execz .LBB4_467
; %bb.466:                              ;   in Loop: Header=BB4_354 Depth=4
	v_and_b32_e32 v6, 7, v2
	v_lshrrev_b32_e32 v24, 3, v0
	v_cmp_gt_u32_e32 vcc, 8, v0
	v_ffbh_u32_e32 v0, v6
	v_min_u32_e32 v0, 32, v0
	v_subrev_u32_e32 v4, 28, v0
	v_lshlrev_b64 v[4:5], v4, v[2:3]
	v_sub_u32_e32 v0, 29, v0
	v_and_b32_e32 v4, 7, v4
	v_cndmask_b32_e32 v0, v24, v0, vcc
	v_cndmask_b32_e32 v4, v6, v4, vcc
	v_lshlrev_b32_e32 v2, 24, v2
	v_lshlrev_b32_e32 v4, 20, v4
	v_and_b32_e32 v2, 0x80000000, v2
	v_lshl_add_u32 v0, v0, 23, v54
	v_or3_b32 v4, v2, v0, v4
.LBB4_467:                              ;   in Loop: Header=BB4_354 Depth=4
	s_or_b64 exec, exec, s[38:39]
.LBB4_468:                              ;   in Loop: Header=BB4_354 Depth=4
	s_or_b64 exec, exec, s[40:41]
.LBB4_469:                              ;   in Loop: Header=BB4_354 Depth=4
	s_or_b64 exec, exec, s[28:29]
	v_max_f32_e32 v0, v4, v4
	v_max_f32_e32 v1, v1, v1
	v_min_f32_e32 v4, v1, v0
.LBB4_470:                              ;   in Loop: Header=BB4_354 Depth=4
	v_and_b32_e32 v2, 0x7f800000, v4
	v_cmp_ne_u64_e32 vcc, s[76:77], v[2:3]
                                        ; implicit-def: $vgpr46
	s_and_saveexec_b64 s[28:29], vcc
	s_xor_b64 s[40:41], exec, s[28:29]
	s_cbranch_execz .LBB4_484
; %bb.471:                              ;   in Loop: Header=BB4_354 Depth=4
	v_and_b32_e32 v2, 0x7fffffff, v4
	v_cmp_gt_u64_e32 vcc, s[78:79], v[2:3]
	v_and_b32_sdwa v1, v4, s80 dst_sel:DWORD dst_unused:UNUSED_PAD src0_sel:BYTE_3 src1_sel:DWORD
                                        ; implicit-def: $vgpr46
	s_and_saveexec_b64 s[28:29], vcc
	s_xor_b64 s[38:39], exec, s[28:29]
	s_cbranch_execz .LBB4_481
; %bb.472:                              ;   in Loop: Header=BB4_354 Depth=4
	v_mov_b32_e32 v46, 0
	v_cmp_ne_u32_e32 vcc, 0, v4
	s_and_saveexec_b64 s[48:49], vcc
	s_cbranch_execz .LBB4_480
; %bb.473:                              ;   in Loop: Header=BB4_354 Depth=4
	v_bfe_u32 v6, v4, 23, 8
	v_cmp_gt_u32_e64 s[28:29], s83, v6
	v_sub_u32_e32 v2, 0x79, v6
	v_and_b32_e32 v0, 0x7fffff, v4
	v_cmp_eq_u32_e32 vcc, 0, v6
	v_cndmask_b32_e64 v2, 0, v2, s[28:29]
	v_mov_b32_e32 v5, 0x78
	v_or_b32_e32 v4, 0x800000, v0
	v_cndmask_b32_e32 v34, v2, v5, vcc
	v_cndmask_b32_e32 v2, v4, v0, vcc
	v_add_u32_e32 v0, 20, v34
	v_lshlrev_b64 v[4:5], v0, -1
	v_add_u32_e32 v0, 19, v34
	v_lshlrev_b64 v[24:25], v0, 1
	v_bfi_b32 v5, v5, 0, 0
	v_bfi_b32 v4, v4, 0, v2
	v_cmp_eq_u64_e64 s[28:29], v[4:5], v[24:25]
	v_lshrrev_b64 v[24:25], v34, v[2:3]
	v_mov_b32_e32 v4, v24
	v_mov_b32_e32 v5, v25
	s_and_saveexec_b64 s[50:51], s[28:29]
; %bb.474:                              ;   in Loop: Header=BB4_354 Depth=4
	v_bfe_u32 v0, v24, 20, 1
	v_add_co_u32_e64 v0, s[28:29], v24, v0
	v_add_co_u32_e64 v4, s[28:29], -1, v0
; %bb.475:                              ;   in Loop: Header=BB4_354 Depth=4
	s_or_b64 exec, exec, s[50:51]
	v_add_u32_e32 v0, 0xffffff81, v6
	v_mov_b32_e32 v2, 0xffffff82
	v_cndmask_b32_e32 v0, v0, v2, vcc
	v_lshrrev_b32_e32 v2, 23, v24
	v_add3_u32 v5, v34, v0, v2
	v_add_u32_e32 v0, 6, v5
	v_and_b32_e32 v2, 0xfffff, v4
	v_add_u32_e32 v2, v2, v24
	v_cmp_ne_u32_e32 vcc, 0, v0
                                        ; implicit-def: $vgpr24_vgpr25
                                        ; implicit-def: $vgpr4
	s_and_saveexec_b64 s[28:29], vcc
	s_xor_b64 s[28:29], exec, s[28:29]
; %bb.476:                              ;   in Loop: Header=BB4_354 Depth=4
	v_cmp_lt_u64_e32 vcc, s[88:89], v[2:3]
	v_add_u32_e32 v4, 7, v5
	v_cndmask_b32_e32 v4, v0, v4, vcc
	v_cndmask_b32_e64 v0, 0, 1, vcc
	v_lshrrev_b64 v[24:25], v0, v[2:3]
; %bb.477:                              ;   in Loop: Header=BB4_354 Depth=4
	s_andn2_saveexec_b64 s[28:29], s[28:29]
; %bb.478:                              ;   in Loop: Header=BB4_354 Depth=4
	v_mov_b32_e32 v25, v3
	v_bfe_u32 v4, v2, 23, 1
	v_mov_b32_e32 v24, v2
; %bb.479:                              ;   in Loop: Header=BB4_354 Depth=4
	s_or_b64 exec, exec, s[28:29]
	v_lshrrev_b64 v[5:6], 20, v[24:25]
	v_cmp_gt_i32_e32 vcc, 16, v4
	v_cndmask_b32_e32 v6, 0, v6, vcc
	v_cndmask_b32_e32 v5, 7, v5, vcc
	v_min_i32_e32 v0, 15, v4
	v_cmp_eq_u64_e64 s[28:29], 0, v[5:6]
	v_lshlrev_b32_e32 v0, 3, v0
	v_cmp_eq_u32_e32 vcc, 0, v4
	v_and_b32_e32 v0, 0xf8, v0
	v_and_or_b32 v0, v5, 7, v0
	s_and_b64 s[28:29], vcc, s[28:29]
	v_cndmask_b32_e64 v0, v0, 0, s[28:29]
	v_or_b32_e32 v46, v0, v1
.LBB4_480:                              ;   in Loop: Header=BB4_354 Depth=4
	s_or_b64 exec, exec, s[48:49]
                                        ; implicit-def: $vgpr1
.LBB4_481:                              ;   in Loop: Header=BB4_354 Depth=4
	s_andn2_saveexec_b64 s[28:29], s[38:39]
; %bb.482:                              ;   in Loop: Header=BB4_354 Depth=4
	v_or_b32_e32 v46, 0x7e, v1
; %bb.483:                              ;   in Loop: Header=BB4_354 Depth=4
	s_or_b64 exec, exec, s[28:29]
                                        ; implicit-def: $vgpr4
.LBB4_484:                              ;   in Loop: Header=BB4_354 Depth=4
	s_andn2_saveexec_b64 s[28:29], s[40:41]
; %bb.485:                              ;   in Loop: Header=BB4_354 Depth=4
	v_or_b32_sdwa v46, v4, s81 dst_sel:DWORD dst_unused:UNUSED_PAD src0_sel:BYTE_3 src1_sel:DWORD
; %bb.486:                              ;   in Loop: Header=BB4_354 Depth=4
	s_or_b64 exec, exec, s[28:29]
	v_lshrrev_b32_e32 v24, 24, v20
	v_lshrrev_b32_e32 v2, 24, v16
	v_cmp_lt_u32_e64 s[28:29], s63, v20
	s_mov_b64 s[40:41], -1
	s_and_b64 vcc, exec, s[46:47]
                                        ; implicit-def: $vgpr4
	s_cbranch_vccz .LBB4_500
; %bb.487:                              ;   in Loop: Header=BB4_354 Depth=4
	v_mov_b32_e32 v4, 0
	v_mov_b32_e32 v1, 0
	s_and_saveexec_b64 s[40:41], s[28:29]
	s_cbranch_execz .LBB4_493
; %bb.488:                              ;   in Loop: Header=BB4_354 Depth=4
	v_cmp_ne_u32_e32 vcc, s80, v24
	v_bfrev_b32_e32 v1, 1
	s_and_saveexec_b64 s[38:39], vcc
	s_cbranch_execz .LBB4_492
; %bb.489:                              ;   in Loop: Header=BB4_354 Depth=4
	v_bfe_u32 v0, v20, 24, 7
	v_cmp_ne_u32_e32 vcc, s81, v0
	v_mov_b32_e32 v1, 0x7f800001
	s_and_saveexec_b64 s[48:49], vcc
	s_cbranch_execz .LBB4_491
; %bb.490:                              ;   in Loop: Header=BB4_354 Depth=4
	v_and_b32_e32 v5, 7, v24
	v_lshrrev_b32_e32 v6, 3, v0
	v_cmp_gt_u32_e32 vcc, 8, v0
	v_ffbh_u32_e32 v0, v5
	v_min_u32_e32 v25, 32, v0
	v_subrev_u32_e32 v0, 28, v25
	v_lshlrev_b64 v[0:1], v0, v[24:25]
	v_sub_u32_e32 v1, 29, v25
	v_and_b32_e32 v0, 7, v0
	v_cndmask_b32_e32 v1, v6, v1, vcc
	v_cndmask_b32_e32 v0, v5, v0, vcc
	v_lshlrev_b32_e32 v5, 24, v24
	v_lshlrev_b32_e32 v0, 20, v0
	v_and_b32_e32 v5, 0x80000000, v5
	v_lshl_add_u32 v1, v1, 23, v54
	v_or3_b32 v1, v5, v1, v0
.LBB4_491:                              ;   in Loop: Header=BB4_354 Depth=4
	s_or_b64 exec, exec, s[48:49]
.LBB4_492:                              ;   in Loop: Header=BB4_354 Depth=4
	s_or_b64 exec, exec, s[38:39]
.LBB4_493:                              ;   in Loop: Header=BB4_354 Depth=4
	s_or_b64 exec, exec, s[40:41]
	v_cmp_lt_u32_e32 vcc, s63, v16
	s_and_saveexec_b64 s[40:41], vcc
	s_cbranch_execz .LBB4_499
; %bb.494:                              ;   in Loop: Header=BB4_354 Depth=4
	v_cmp_ne_u32_e32 vcc, s80, v2
	v_bfrev_b32_e32 v4, 1
	s_and_saveexec_b64 s[38:39], vcc
	s_cbranch_execz .LBB4_498
; %bb.495:                              ;   in Loop: Header=BB4_354 Depth=4
	v_bfe_u32 v0, v16, 24, 7
	v_cmp_ne_u32_e32 vcc, s81, v0
	v_mov_b32_e32 v4, 0x7f800001
	s_and_saveexec_b64 s[48:49], vcc
	s_cbranch_execz .LBB4_497
; %bb.496:                              ;   in Loop: Header=BB4_354 Depth=4
	v_and_b32_e32 v6, 7, v2
	v_lshrrev_b32_e32 v25, 3, v0
	v_cmp_gt_u32_e32 vcc, 8, v0
	v_ffbh_u32_e32 v0, v6
	v_min_u32_e32 v0, 32, v0
	v_subrev_u32_e32 v4, 28, v0
	v_lshlrev_b64 v[4:5], v4, v[2:3]
	v_sub_u32_e32 v0, 29, v0
	v_and_b32_e32 v4, 7, v4
	v_cndmask_b32_e32 v0, v25, v0, vcc
	v_cndmask_b32_e32 v4, v6, v4, vcc
	v_lshlrev_b32_e32 v5, 24, v2
	v_lshlrev_b32_e32 v4, 20, v4
	v_and_b32_e32 v5, 0x80000000, v5
	v_lshl_add_u32 v0, v0, 23, v54
	v_or3_b32 v4, v5, v0, v4
.LBB4_497:                              ;   in Loop: Header=BB4_354 Depth=4
	s_or_b64 exec, exec, s[48:49]
.LBB4_498:                              ;   in Loop: Header=BB4_354 Depth=4
	s_or_b64 exec, exec, s[38:39]
.LBB4_499:                              ;   in Loop: Header=BB4_354 Depth=4
	s_or_b64 exec, exec, s[40:41]
	v_max_f32_e32 v0, v4, v4
	v_max_f32_e32 v1, v1, v1
	;; [unrolled: 1-line block ×3, first 2 shown]
	s_mov_b64 s[40:41], 0
.LBB4_500:                              ;   in Loop: Header=BB4_354 Depth=4
	s_and_b64 vcc, exec, s[40:41]
	s_cbranch_vccz .LBB4_514
; %bb.501:                              ;   in Loop: Header=BB4_354 Depth=4
	v_mov_b32_e32 v4, 0
	v_mov_b32_e32 v1, 0
	s_and_saveexec_b64 s[40:41], s[28:29]
	s_cbranch_execz .LBB4_507
; %bb.502:                              ;   in Loop: Header=BB4_354 Depth=4
	v_cmp_ne_u32_e32 vcc, s80, v24
	v_bfrev_b32_e32 v1, 1
	s_and_saveexec_b64 s[28:29], vcc
	s_cbranch_execz .LBB4_506
; %bb.503:                              ;   in Loop: Header=BB4_354 Depth=4
	v_bfe_u32 v0, v20, 24, 7
	v_cmp_ne_u32_e32 vcc, s81, v0
	v_mov_b32_e32 v1, 0x7f800001
	s_and_saveexec_b64 s[38:39], vcc
	s_cbranch_execz .LBB4_505
; %bb.504:                              ;   in Loop: Header=BB4_354 Depth=4
	v_and_b32_e32 v5, 7, v24
	v_lshrrev_b32_e32 v6, 3, v0
	v_cmp_gt_u32_e32 vcc, 8, v0
	v_ffbh_u32_e32 v0, v5
	v_min_u32_e32 v25, 32, v0
	v_subrev_u32_e32 v0, 28, v25
	v_lshlrev_b64 v[0:1], v0, v[24:25]
	v_sub_u32_e32 v1, 29, v25
	v_and_b32_e32 v0, 7, v0
	v_cndmask_b32_e32 v1, v6, v1, vcc
	v_cndmask_b32_e32 v0, v5, v0, vcc
	v_lshlrev_b32_e32 v5, 24, v24
	v_lshlrev_b32_e32 v0, 20, v0
	v_and_b32_e32 v5, 0x80000000, v5
	v_lshl_add_u32 v1, v1, 23, v54
	v_or3_b32 v1, v5, v1, v0
.LBB4_505:                              ;   in Loop: Header=BB4_354 Depth=4
	s_or_b64 exec, exec, s[38:39]
.LBB4_506:                              ;   in Loop: Header=BB4_354 Depth=4
	s_or_b64 exec, exec, s[28:29]
.LBB4_507:                              ;   in Loop: Header=BB4_354 Depth=4
	s_or_b64 exec, exec, s[40:41]
	v_cmp_lt_u32_e32 vcc, s63, v16
	s_and_saveexec_b64 s[28:29], vcc
	s_cbranch_execz .LBB4_513
; %bb.508:                              ;   in Loop: Header=BB4_354 Depth=4
	v_cmp_ne_u32_e32 vcc, s80, v2
	v_bfrev_b32_e32 v4, 1
	s_and_saveexec_b64 s[40:41], vcc
	s_cbranch_execz .LBB4_512
; %bb.509:                              ;   in Loop: Header=BB4_354 Depth=4
	v_bfe_u32 v0, v16, 24, 7
	v_cmp_ne_u32_e32 vcc, s81, v0
	v_mov_b32_e32 v4, 0x7f800001
	s_and_saveexec_b64 s[38:39], vcc
	s_cbranch_execz .LBB4_511
; %bb.510:                              ;   in Loop: Header=BB4_354 Depth=4
	v_and_b32_e32 v6, 7, v2
	v_lshrrev_b32_e32 v24, 3, v0
	v_cmp_gt_u32_e32 vcc, 8, v0
	v_ffbh_u32_e32 v0, v6
	v_min_u32_e32 v0, 32, v0
	v_subrev_u32_e32 v4, 28, v0
	v_lshlrev_b64 v[4:5], v4, v[2:3]
	v_sub_u32_e32 v0, 29, v0
	v_and_b32_e32 v4, 7, v4
	v_cndmask_b32_e32 v0, v24, v0, vcc
	v_cndmask_b32_e32 v4, v6, v4, vcc
	v_lshlrev_b32_e32 v2, 24, v2
	v_lshlrev_b32_e32 v4, 20, v4
	v_and_b32_e32 v2, 0x80000000, v2
	v_lshl_add_u32 v0, v0, 23, v54
	v_or3_b32 v4, v2, v0, v4
.LBB4_511:                              ;   in Loop: Header=BB4_354 Depth=4
	s_or_b64 exec, exec, s[38:39]
.LBB4_512:                              ;   in Loop: Header=BB4_354 Depth=4
	s_or_b64 exec, exec, s[40:41]
.LBB4_513:                              ;   in Loop: Header=BB4_354 Depth=4
	s_or_b64 exec, exec, s[28:29]
	v_max_f32_e32 v0, v4, v4
	v_max_f32_e32 v1, v1, v1
	v_min_f32_e32 v4, v1, v0
.LBB4_514:                              ;   in Loop: Header=BB4_354 Depth=4
	v_and_b32_e32 v2, 0x7f800000, v4
	v_cmp_ne_u64_e32 vcc, s[76:77], v[2:3]
                                        ; implicit-def: $vgpr47
	s_and_saveexec_b64 s[28:29], vcc
	s_xor_b64 s[40:41], exec, s[28:29]
	s_cbranch_execz .LBB4_528
; %bb.515:                              ;   in Loop: Header=BB4_354 Depth=4
	v_and_b32_e32 v2, 0x7fffffff, v4
	v_cmp_gt_u64_e32 vcc, s[78:79], v[2:3]
	v_and_b32_sdwa v1, v4, s80 dst_sel:DWORD dst_unused:UNUSED_PAD src0_sel:BYTE_3 src1_sel:DWORD
                                        ; implicit-def: $vgpr47
	s_and_saveexec_b64 s[28:29], vcc
	s_xor_b64 s[38:39], exec, s[28:29]
	s_cbranch_execz .LBB4_525
; %bb.516:                              ;   in Loop: Header=BB4_354 Depth=4
	v_mov_b32_e32 v47, 0
	v_cmp_ne_u32_e32 vcc, 0, v4
	s_and_saveexec_b64 s[48:49], vcc
	s_cbranch_execz .LBB4_524
; %bb.517:                              ;   in Loop: Header=BB4_354 Depth=4
	v_bfe_u32 v6, v4, 23, 8
	v_cmp_gt_u32_e64 s[28:29], s83, v6
	v_sub_u32_e32 v2, 0x79, v6
	v_and_b32_e32 v0, 0x7fffff, v4
	v_cmp_eq_u32_e32 vcc, 0, v6
	v_cndmask_b32_e64 v2, 0, v2, s[28:29]
	v_mov_b32_e32 v5, 0x78
	v_or_b32_e32 v4, 0x800000, v0
	v_cndmask_b32_e32 v34, v2, v5, vcc
	v_cndmask_b32_e32 v2, v4, v0, vcc
	v_add_u32_e32 v0, 20, v34
	v_lshlrev_b64 v[4:5], v0, -1
	v_add_u32_e32 v0, 19, v34
	v_lshlrev_b64 v[24:25], v0, 1
	v_bfi_b32 v5, v5, 0, 0
	v_bfi_b32 v4, v4, 0, v2
	v_cmp_eq_u64_e64 s[28:29], v[4:5], v[24:25]
	v_lshrrev_b64 v[24:25], v34, v[2:3]
	v_mov_b32_e32 v4, v24
	v_mov_b32_e32 v5, v25
	s_and_saveexec_b64 s[50:51], s[28:29]
; %bb.518:                              ;   in Loop: Header=BB4_354 Depth=4
	v_bfe_u32 v0, v24, 20, 1
	v_add_co_u32_e64 v0, s[28:29], v24, v0
	v_add_co_u32_e64 v4, s[28:29], -1, v0
; %bb.519:                              ;   in Loop: Header=BB4_354 Depth=4
	s_or_b64 exec, exec, s[50:51]
	v_add_u32_e32 v0, 0xffffff81, v6
	v_mov_b32_e32 v2, 0xffffff82
	v_cndmask_b32_e32 v0, v0, v2, vcc
	v_lshrrev_b32_e32 v2, 23, v24
	v_add3_u32 v5, v34, v0, v2
	v_add_u32_e32 v0, 6, v5
	v_and_b32_e32 v2, 0xfffff, v4
	v_add_u32_e32 v2, v2, v24
	v_cmp_ne_u32_e32 vcc, 0, v0
                                        ; implicit-def: $vgpr24_vgpr25
                                        ; implicit-def: $vgpr4
	s_and_saveexec_b64 s[28:29], vcc
	s_xor_b64 s[28:29], exec, s[28:29]
; %bb.520:                              ;   in Loop: Header=BB4_354 Depth=4
	v_cmp_lt_u64_e32 vcc, s[88:89], v[2:3]
	v_add_u32_e32 v4, 7, v5
	v_cndmask_b32_e32 v4, v0, v4, vcc
	v_cndmask_b32_e64 v0, 0, 1, vcc
	v_lshrrev_b64 v[24:25], v0, v[2:3]
; %bb.521:                              ;   in Loop: Header=BB4_354 Depth=4
	s_andn2_saveexec_b64 s[28:29], s[28:29]
; %bb.522:                              ;   in Loop: Header=BB4_354 Depth=4
	v_mov_b32_e32 v25, v3
	v_bfe_u32 v4, v2, 23, 1
	v_mov_b32_e32 v24, v2
; %bb.523:                              ;   in Loop: Header=BB4_354 Depth=4
	s_or_b64 exec, exec, s[28:29]
	v_lshrrev_b64 v[5:6], 20, v[24:25]
	v_cmp_gt_i32_e32 vcc, 16, v4
	v_cndmask_b32_e32 v6, 0, v6, vcc
	v_cndmask_b32_e32 v5, 7, v5, vcc
	v_min_i32_e32 v0, 15, v4
	v_cmp_eq_u64_e64 s[28:29], 0, v[5:6]
	v_lshlrev_b32_e32 v0, 3, v0
	v_cmp_eq_u32_e32 vcc, 0, v4
	v_and_b32_e32 v0, 0xf8, v0
	v_and_or_b32 v0, v5, 7, v0
	s_and_b64 s[28:29], vcc, s[28:29]
	v_cndmask_b32_e64 v0, v0, 0, s[28:29]
	v_or_b32_e32 v47, v0, v1
.LBB4_524:                              ;   in Loop: Header=BB4_354 Depth=4
	s_or_b64 exec, exec, s[48:49]
                                        ; implicit-def: $vgpr1
.LBB4_525:                              ;   in Loop: Header=BB4_354 Depth=4
	s_andn2_saveexec_b64 s[28:29], s[38:39]
; %bb.526:                              ;   in Loop: Header=BB4_354 Depth=4
	v_or_b32_e32 v47, 0x7e, v1
; %bb.527:                              ;   in Loop: Header=BB4_354 Depth=4
	s_or_b64 exec, exec, s[28:29]
                                        ; implicit-def: $vgpr4
.LBB4_528:                              ;   in Loop: Header=BB4_354 Depth=4
	s_andn2_saveexec_b64 s[28:29], s[40:41]
; %bb.529:                              ;   in Loop: Header=BB4_354 Depth=4
	v_or_b32_sdwa v47, v4, s81 dst_sel:DWORD dst_unused:UNUSED_PAD src0_sel:BYTE_3 src1_sel:DWORD
; %bb.530:                              ;   in Loop: Header=BB4_354 Depth=4
	s_or_b64 exec, exec, s[28:29]
	v_mov_b32_e32 v2, v21
	v_mov_b32_e32 v60, v17
	;; [unrolled: 1-line block ×3, first 2 shown]
	v_cmp_ne_u16_sdwa s[28:29], v21, v3 src0_sel:BYTE_0 src1_sel:DWORD
	s_mov_b64 s[40:41], -1
	s_and_b64 vcc, exec, s[46:47]
                                        ; implicit-def: $vgpr4
	s_cbranch_vccz .LBB4_544
; %bb.531:                              ;   in Loop: Header=BB4_354 Depth=4
	v_mov_b32_e32 v4, 0
	v_mov_b32_e32 v1, 0
	s_and_saveexec_b64 s[40:41], s[28:29]
	s_cbranch_execz .LBB4_537
; %bb.532:                              ;   in Loop: Header=BB4_354 Depth=4
	v_cmp_ne_u16_sdwa vcc, v21, s80 src0_sel:BYTE_0 src1_sel:DWORD
	v_bfrev_b32_e32 v1, 1
	s_and_saveexec_b64 s[38:39], vcc
	s_cbranch_execz .LBB4_536
; %bb.533:                              ;   in Loop: Header=BB4_354 Depth=4
	v_and_b32_e32 v0, 0x7f, v21
	v_cmp_ne_u32_e32 vcc, s81, v0
	v_mov_b32_e32 v1, 0x7f800001
	s_and_saveexec_b64 s[48:49], vcc
	s_cbranch_execz .LBB4_535
; %bb.534:                              ;   in Loop: Header=BB4_354 Depth=4
	v_and_b32_e32 v1, 7, v21
	v_lshrrev_b32_e32 v5, 3, v0
	v_cmp_gt_u32_e32 vcc, 8, v0
	v_ffbh_u32_e32 v0, v1
	v_min_u32_e32 v0, 32, v0
	v_subrev_u32_e32 v1, 28, v0
	v_sub_u32_e32 v0, 29, v0
	v_cndmask_b32_e32 v5, v5, v0, vcc
	v_cndmask_b32_e32 v0, 0, v1, vcc
	v_lshlrev_b64 v[0:1], v0, v[2:3]
	v_lshlrev_b32_e32 v1, 24, v2
	v_lshlrev_b32_e32 v0, 20, v0
	v_and_b32_e32 v0, 0x700000, v0
	v_and_b32_e32 v1, 0x80000000, v1
	v_lshl_add_u32 v5, v5, 23, v54
	v_or3_b32 v1, v1, v5, v0
.LBB4_535:                              ;   in Loop: Header=BB4_354 Depth=4
	s_or_b64 exec, exec, s[48:49]
.LBB4_536:                              ;   in Loop: Header=BB4_354 Depth=4
	s_or_b64 exec, exec, s[38:39]
.LBB4_537:                              ;   in Loop: Header=BB4_354 Depth=4
	s_or_b64 exec, exec, s[40:41]
	v_cmp_ne_u16_sdwa vcc, v17, v3 src0_sel:BYTE_0 src1_sel:DWORD
	s_and_saveexec_b64 s[40:41], vcc
	s_cbranch_execz .LBB4_543
; %bb.538:                              ;   in Loop: Header=BB4_354 Depth=4
	v_cmp_ne_u16_sdwa vcc, v17, s80 src0_sel:BYTE_0 src1_sel:DWORD
	v_bfrev_b32_e32 v4, 1
	s_and_saveexec_b64 s[38:39], vcc
	s_cbranch_execz .LBB4_542
; %bb.539:                              ;   in Loop: Header=BB4_354 Depth=4
	v_and_b32_e32 v0, 0x7f, v17
	v_cmp_ne_u32_e32 vcc, s81, v0
	v_mov_b32_e32 v4, 0x7f800001
	s_and_saveexec_b64 s[48:49], vcc
	s_cbranch_execz .LBB4_541
; %bb.540:                              ;   in Loop: Header=BB4_354 Depth=4
	v_and_b32_e32 v4, 7, v17
	v_lshrrev_b32_e32 v5, 3, v0
	v_cmp_gt_u32_e32 vcc, 8, v0
	v_ffbh_u32_e32 v0, v4
	v_min_u32_e32 v0, 32, v0
	v_subrev_u32_e32 v4, 28, v0
	v_sub_u32_e32 v0, 29, v0
	v_cndmask_b32_e32 v4, 0, v4, vcc
	v_cndmask_b32_e32 v0, v5, v0, vcc
	v_lshlrev_b64 v[4:5], v4, v[60:61]
	v_lshlrev_b32_e32 v5, 24, v60
	v_lshlrev_b32_e32 v4, 20, v4
	v_and_b32_e32 v4, 0x700000, v4
	v_and_b32_e32 v5, 0x80000000, v5
	v_lshl_add_u32 v0, v0, 23, v54
	v_or3_b32 v4, v5, v0, v4
.LBB4_541:                              ;   in Loop: Header=BB4_354 Depth=4
	s_or_b64 exec, exec, s[48:49]
.LBB4_542:                              ;   in Loop: Header=BB4_354 Depth=4
	s_or_b64 exec, exec, s[38:39]
.LBB4_543:                              ;   in Loop: Header=BB4_354 Depth=4
	s_or_b64 exec, exec, s[40:41]
	v_max_f32_e32 v0, v4, v4
	v_max_f32_e32 v1, v1, v1
	v_max_f32_e32 v4, v1, v0
	s_mov_b64 s[40:41], 0
.LBB4_544:                              ;   in Loop: Header=BB4_354 Depth=4
	s_and_b64 vcc, exec, s[40:41]
	s_cbranch_vccz .LBB4_558
; %bb.545:                              ;   in Loop: Header=BB4_354 Depth=4
	v_mov_b32_e32 v4, 0
	v_mov_b32_e32 v1, 0
	s_and_saveexec_b64 s[40:41], s[28:29]
	s_cbranch_execz .LBB4_551
; %bb.546:                              ;   in Loop: Header=BB4_354 Depth=4
	v_cmp_ne_u16_sdwa vcc, v21, s80 src0_sel:BYTE_0 src1_sel:DWORD
	v_bfrev_b32_e32 v1, 1
	s_and_saveexec_b64 s[28:29], vcc
	s_cbranch_execz .LBB4_550
; %bb.547:                              ;   in Loop: Header=BB4_354 Depth=4
	v_and_b32_e32 v0, 0x7f, v21
	v_cmp_ne_u32_e32 vcc, s81, v0
	v_mov_b32_e32 v1, 0x7f800001
	s_and_saveexec_b64 s[38:39], vcc
	s_cbranch_execz .LBB4_549
; %bb.548:                              ;   in Loop: Header=BB4_354 Depth=4
	v_and_b32_e32 v1, 7, v21
	v_lshrrev_b32_e32 v5, 3, v0
	v_cmp_gt_u32_e32 vcc, 8, v0
	v_ffbh_u32_e32 v0, v1
	v_min_u32_e32 v0, 32, v0
	v_subrev_u32_e32 v1, 28, v0
	v_sub_u32_e32 v0, 29, v0
	v_cndmask_b32_e32 v5, v5, v0, vcc
	v_cndmask_b32_e32 v0, 0, v1, vcc
	v_lshlrev_b64 v[0:1], v0, v[2:3]
	v_lshlrev_b32_e32 v1, 24, v2
	v_lshlrev_b32_e32 v0, 20, v0
	v_and_b32_e32 v0, 0x700000, v0
	v_and_b32_e32 v1, 0x80000000, v1
	v_lshl_add_u32 v5, v5, 23, v54
	v_or3_b32 v1, v1, v5, v0
.LBB4_549:                              ;   in Loop: Header=BB4_354 Depth=4
	s_or_b64 exec, exec, s[38:39]
.LBB4_550:                              ;   in Loop: Header=BB4_354 Depth=4
	s_or_b64 exec, exec, s[28:29]
.LBB4_551:                              ;   in Loop: Header=BB4_354 Depth=4
	s_or_b64 exec, exec, s[40:41]
	v_cmp_ne_u16_sdwa s[40:41], v17, v3 src0_sel:BYTE_0 src1_sel:DWORD
	s_and_saveexec_b64 s[28:29], s[40:41]
	s_cbranch_execz .LBB4_557
; %bb.552:                              ;   in Loop: Header=BB4_354 Depth=4
	v_cmp_ne_u16_sdwa vcc, v17, s80 src0_sel:BYTE_0 src1_sel:DWORD
	v_bfrev_b32_e32 v4, 1
	s_and_saveexec_b64 s[40:41], vcc
	s_cbranch_execz .LBB4_556
; %bb.553:                              ;   in Loop: Header=BB4_354 Depth=4
	v_and_b32_e32 v0, 0x7f, v17
	v_cmp_ne_u32_e32 vcc, s81, v0
	v_mov_b32_e32 v4, 0x7f800001
	s_and_saveexec_b64 s[38:39], vcc
	s_cbranch_execz .LBB4_555
; %bb.554:                              ;   in Loop: Header=BB4_354 Depth=4
	v_and_b32_e32 v4, 7, v17
	v_lshrrev_b32_e32 v5, 3, v0
	v_cmp_gt_u32_e32 vcc, 8, v0
	v_ffbh_u32_e32 v0, v4
	v_min_u32_e32 v0, 32, v0
	v_subrev_u32_e32 v4, 28, v0
	v_sub_u32_e32 v0, 29, v0
	v_cndmask_b32_e32 v4, 0, v4, vcc
	v_cndmask_b32_e32 v0, v5, v0, vcc
	v_lshlrev_b64 v[4:5], v4, v[60:61]
	v_lshlrev_b32_e32 v5, 24, v60
	v_lshlrev_b32_e32 v4, 20, v4
	v_and_b32_e32 v4, 0x700000, v4
	v_and_b32_e32 v5, 0x80000000, v5
	v_lshl_add_u32 v0, v0, 23, v54
	v_or3_b32 v4, v5, v0, v4
.LBB4_555:                              ;   in Loop: Header=BB4_354 Depth=4
	s_or_b64 exec, exec, s[38:39]
.LBB4_556:                              ;   in Loop: Header=BB4_354 Depth=4
	s_or_b64 exec, exec, s[40:41]
.LBB4_557:                              ;   in Loop: Header=BB4_354 Depth=4
	s_or_b64 exec, exec, s[28:29]
	v_max_f32_e32 v0, v4, v4
	v_max_f32_e32 v1, v1, v1
	v_min_f32_e32 v4, v1, v0
.LBB4_558:                              ;   in Loop: Header=BB4_354 Depth=4
	v_and_b32_e32 v0, 0x7f800000, v4
	v_mov_b32_e32 v1, v3
	v_cmp_ne_u64_e32 vcc, s[76:77], v[0:1]
                                        ; implicit-def: $vgpr61
	s_and_saveexec_b64 s[28:29], vcc
	s_xor_b64 s[40:41], exec, s[28:29]
	s_cbranch_execz .LBB4_572
; %bb.559:                              ;   in Loop: Header=BB4_354 Depth=4
	v_and_b32_e32 v0, 0x7fffffff, v4
	v_mov_b32_e32 v1, v3
	v_cmp_gt_u64_e32 vcc, s[78:79], v[0:1]
	v_and_b32_sdwa v1, v4, s80 dst_sel:DWORD dst_unused:UNUSED_PAD src0_sel:BYTE_3 src1_sel:DWORD
                                        ; implicit-def: $vgpr61
	s_and_saveexec_b64 s[28:29], vcc
	s_xor_b64 s[38:39], exec, s[28:29]
	s_cbranch_execz .LBB4_569
; %bb.560:                              ;   in Loop: Header=BB4_354 Depth=4
	v_mov_b32_e32 v61, 0
	v_cmp_ne_u32_e32 vcc, 0, v4
	s_and_saveexec_b64 s[48:49], vcc
	s_cbranch_execz .LBB4_568
; %bb.561:                              ;   in Loop: Header=BB4_354 Depth=4
	v_bfe_u32 v6, v4, 23, 8
	v_and_b32_e32 v0, 0x7fffff, v4
	v_cmp_gt_u32_e64 s[28:29], s83, v6
	v_sub_u32_e32 v4, 0x79, v6
	v_cmp_eq_u32_e32 vcc, 0, v6
	v_cndmask_b32_e64 v4, 0, v4, s[28:29]
	v_mov_b32_e32 v24, 0x78
	v_or_b32_e32 v5, 0x800000, v0
	v_cndmask_b32_e32 v34, v4, v24, vcc
	v_cndmask_b32_e32 v4, v5, v0, vcc
	v_add_u32_e32 v0, 20, v34
	v_lshlrev_b64 v[24:25], v0, -1
	v_add_u32_e32 v0, 19, v34
	v_lshlrev_b64 v[35:36], v0, 1
	v_mov_b32_e32 v5, v3
	v_bfi_b32 v25, v25, 0, 0
	v_bfi_b32 v24, v24, 0, v4
	v_cmp_eq_u64_e64 s[28:29], v[24:25], v[35:36]
	v_lshrrev_b64 v[24:25], v34, v[4:5]
	v_mov_b32_e32 v4, v24
	v_mov_b32_e32 v5, v25
	s_and_saveexec_b64 s[50:51], s[28:29]
; %bb.562:                              ;   in Loop: Header=BB4_354 Depth=4
	v_bfe_u32 v0, v24, 20, 1
	v_add_co_u32_e64 v0, s[28:29], v24, v0
	v_add_co_u32_e64 v4, s[28:29], -1, v0
; %bb.563:                              ;   in Loop: Header=BB4_354 Depth=4
	s_or_b64 exec, exec, s[50:51]
	v_add_u32_e32 v0, 0xffffff81, v6
	v_mov_b32_e32 v5, 0xffffff82
	v_cndmask_b32_e32 v0, v0, v5, vcc
	v_lshrrev_b32_e32 v5, 23, v24
	v_add3_u32 v5, v34, v0, v5
	v_add_u32_e32 v0, 6, v5
	v_and_b32_e32 v4, 0xfffff, v4
	v_add_u32_e32 v24, v4, v24
	v_mov_b32_e32 v25, v3
	v_cmp_ne_u32_e32 vcc, 0, v0
                                        ; implicit-def: $vgpr4
	s_and_saveexec_b64 s[28:29], vcc
	s_xor_b64 s[28:29], exec, s[28:29]
; %bb.564:                              ;   in Loop: Header=BB4_354 Depth=4
	v_cmp_lt_u64_e32 vcc, s[88:89], v[24:25]
	v_add_u32_e32 v4, 7, v5
	v_cndmask_b32_e32 v4, v0, v4, vcc
	v_cndmask_b32_e64 v0, 0, 1, vcc
	v_lshrrev_b64 v[24:25], v0, v[24:25]
; %bb.565:                              ;   in Loop: Header=BB4_354 Depth=4
	s_andn2_saveexec_b64 s[28:29], s[28:29]
; %bb.566:                              ;   in Loop: Header=BB4_354 Depth=4
	v_bfe_u32 v4, v24, 23, 1
; %bb.567:                              ;   in Loop: Header=BB4_354 Depth=4
	s_or_b64 exec, exec, s[28:29]
	v_lshrrev_b64 v[5:6], 20, v[24:25]
	v_cmp_gt_i32_e32 vcc, 16, v4
	v_cndmask_b32_e32 v6, 0, v6, vcc
	v_cndmask_b32_e32 v5, 7, v5, vcc
	v_min_i32_e32 v0, 15, v4
	v_cmp_eq_u64_e64 s[28:29], 0, v[5:6]
	v_lshlrev_b32_e32 v0, 3, v0
	v_cmp_eq_u32_e32 vcc, 0, v4
	v_and_b32_e32 v0, 0xf8, v0
	v_and_or_b32 v0, v5, 7, v0
	s_and_b64 s[28:29], vcc, s[28:29]
	v_cndmask_b32_e64 v0, v0, 0, s[28:29]
	v_or_b32_e32 v61, v0, v1
.LBB4_568:                              ;   in Loop: Header=BB4_354 Depth=4
	s_or_b64 exec, exec, s[48:49]
                                        ; implicit-def: $vgpr1
.LBB4_569:                              ;   in Loop: Header=BB4_354 Depth=4
	s_andn2_saveexec_b64 s[28:29], s[38:39]
; %bb.570:                              ;   in Loop: Header=BB4_354 Depth=4
	v_or_b32_e32 v61, 0x7e, v1
; %bb.571:                              ;   in Loop: Header=BB4_354 Depth=4
	s_or_b64 exec, exec, s[28:29]
                                        ; implicit-def: $vgpr4
.LBB4_572:                              ;   in Loop: Header=BB4_354 Depth=4
	s_andn2_saveexec_b64 s[28:29], s[40:41]
; %bb.573:                              ;   in Loop: Header=BB4_354 Depth=4
	v_or_b32_sdwa v61, v4, s81 dst_sel:DWORD dst_unused:UNUSED_PAD src0_sel:BYTE_3 src1_sel:DWORD
; %bb.574:                              ;   in Loop: Header=BB4_354 Depth=4
	s_or_b64 exec, exec, s[28:29]
	v_lshrrev_b16_e32 v25, 8, v2
	v_lshrrev_b16_e32 v24, 8, v60
	v_cmp_ne_u16_e64 s[28:29], 0, v25
	s_mov_b64 s[40:41], -1
	s_and_b64 vcc, exec, s[46:47]
                                        ; implicit-def: $vgpr4
	s_cbranch_vccz .LBB4_588
; %bb.575:                              ;   in Loop: Header=BB4_354 Depth=4
	v_mov_b32_e32 v4, 0
	v_mov_b32_e32 v1, 0
	s_and_saveexec_b64 s[40:41], s[28:29]
	s_cbranch_execz .LBB4_581
; %bb.576:                              ;   in Loop: Header=BB4_354 Depth=4
	v_cmp_ne_u16_e32 vcc, s80, v25
	v_bfrev_b32_e32 v1, 1
	s_and_saveexec_b64 s[38:39], vcc
	s_cbranch_execz .LBB4_580
; %bb.577:                              ;   in Loop: Header=BB4_354 Depth=4
	v_and_b32_e32 v0, 0x7f, v25
	v_cmp_ne_u32_e32 vcc, s81, v0
	v_mov_b32_e32 v1, 0x7f800001
	s_and_saveexec_b64 s[48:49], vcc
	s_cbranch_execz .LBB4_579
; %bb.578:                              ;   in Loop: Header=BB4_354 Depth=4
	v_and_b32_e32 v5, 7, v25
	v_lshrrev_b32_e32 v6, 3, v0
	v_cmp_gt_u32_e32 vcc, 8, v0
	v_ffbh_u32_e32 v0, v5
	v_min_u32_e32 v34, 32, v0
	v_subrev_u32_e32 v0, 28, v34
	v_lshlrev_b64 v[0:1], v0, v[25:26]
	v_sub_u32_e32 v1, 29, v34
	v_and_b32_e32 v0, 7, v0
	v_cndmask_b32_e32 v1, v6, v1, vcc
	v_cndmask_b32_e32 v0, v5, v0, vcc
	v_lshlrev_b32_e32 v5, 16, v2
	v_lshlrev_b32_e32 v0, 20, v0
	v_and_b32_e32 v5, 0x80000000, v5
	v_lshl_add_u32 v1, v1, 23, v54
	v_or3_b32 v1, v5, v1, v0
.LBB4_579:                              ;   in Loop: Header=BB4_354 Depth=4
	s_or_b64 exec, exec, s[48:49]
.LBB4_580:                              ;   in Loop: Header=BB4_354 Depth=4
	s_or_b64 exec, exec, s[38:39]
.LBB4_581:                              ;   in Loop: Header=BB4_354 Depth=4
	s_or_b64 exec, exec, s[40:41]
	v_cmp_ne_u16_e32 vcc, 0, v24
	s_and_saveexec_b64 s[40:41], vcc
	s_cbranch_execz .LBB4_587
; %bb.582:                              ;   in Loop: Header=BB4_354 Depth=4
	v_cmp_ne_u16_e32 vcc, s80, v24
	v_bfrev_b32_e32 v4, 1
	s_and_saveexec_b64 s[38:39], vcc
	s_cbranch_execz .LBB4_586
; %bb.583:                              ;   in Loop: Header=BB4_354 Depth=4
	v_and_b32_e32 v0, 0x7f, v24
	v_cmp_ne_u32_e32 vcc, s81, v0
	v_mov_b32_e32 v4, 0x7f800001
	s_and_saveexec_b64 s[48:49], vcc
	s_cbranch_execz .LBB4_585
; %bb.584:                              ;   in Loop: Header=BB4_354 Depth=4
	v_and_b32_e32 v6, 7, v24
	v_lshrrev_b32_e32 v34, 3, v0
	v_cmp_gt_u32_e32 vcc, 8, v0
	v_ffbh_u32_e32 v0, v6
	v_min_u32_e32 v0, 32, v0
	v_subrev_u32_e32 v4, 28, v0
	v_lshlrev_b64 v[4:5], v4, v[24:25]
	v_sub_u32_e32 v0, 29, v0
	v_and_b32_e32 v4, 7, v4
	v_cndmask_b32_e32 v0, v34, v0, vcc
	v_cndmask_b32_e32 v4, v6, v4, vcc
	v_lshlrev_b32_e32 v5, 16, v60
	v_lshlrev_b32_e32 v4, 20, v4
	v_and_b32_e32 v5, 0x80000000, v5
	v_lshl_add_u32 v0, v0, 23, v54
	v_or3_b32 v4, v5, v0, v4
.LBB4_585:                              ;   in Loop: Header=BB4_354 Depth=4
	s_or_b64 exec, exec, s[48:49]
.LBB4_586:                              ;   in Loop: Header=BB4_354 Depth=4
	s_or_b64 exec, exec, s[38:39]
.LBB4_587:                              ;   in Loop: Header=BB4_354 Depth=4
	s_or_b64 exec, exec, s[40:41]
	v_max_f32_e32 v0, v4, v4
	v_max_f32_e32 v1, v1, v1
	;; [unrolled: 1-line block ×3, first 2 shown]
	s_mov_b64 s[40:41], 0
.LBB4_588:                              ;   in Loop: Header=BB4_354 Depth=4
	s_and_b64 vcc, exec, s[40:41]
	s_cbranch_vccz .LBB4_602
; %bb.589:                              ;   in Loop: Header=BB4_354 Depth=4
	v_mov_b32_e32 v4, 0
	v_mov_b32_e32 v1, 0
	s_and_saveexec_b64 s[40:41], s[28:29]
	s_cbranch_execz .LBB4_595
; %bb.590:                              ;   in Loop: Header=BB4_354 Depth=4
	v_cmp_ne_u16_e32 vcc, s80, v25
	v_bfrev_b32_e32 v1, 1
	s_and_saveexec_b64 s[28:29], vcc
	s_cbranch_execz .LBB4_594
; %bb.591:                              ;   in Loop: Header=BB4_354 Depth=4
	v_and_b32_e32 v0, 0x7f, v25
	v_cmp_ne_u32_e32 vcc, s81, v0
	v_mov_b32_e32 v1, 0x7f800001
	s_and_saveexec_b64 s[38:39], vcc
	s_cbranch_execz .LBB4_593
; %bb.592:                              ;   in Loop: Header=BB4_354 Depth=4
	v_and_b32_e32 v5, 7, v25
	v_lshrrev_b32_e32 v6, 3, v0
	v_cmp_gt_u32_e32 vcc, 8, v0
	v_ffbh_u32_e32 v0, v5
	v_min_u32_e32 v34, 32, v0
	v_subrev_u32_e32 v0, 28, v34
	v_lshlrev_b64 v[0:1], v0, v[25:26]
	v_sub_u32_e32 v1, 29, v34
	v_and_b32_e32 v0, 7, v0
	v_cndmask_b32_e32 v1, v6, v1, vcc
	v_cndmask_b32_e32 v0, v5, v0, vcc
	v_lshlrev_b32_e32 v2, 16, v2
	v_lshlrev_b32_e32 v0, 20, v0
	v_and_b32_e32 v2, 0x80000000, v2
	v_lshl_add_u32 v1, v1, 23, v54
	v_or3_b32 v1, v2, v1, v0
.LBB4_593:                              ;   in Loop: Header=BB4_354 Depth=4
	s_or_b64 exec, exec, s[38:39]
.LBB4_594:                              ;   in Loop: Header=BB4_354 Depth=4
	s_or_b64 exec, exec, s[28:29]
.LBB4_595:                              ;   in Loop: Header=BB4_354 Depth=4
	s_or_b64 exec, exec, s[40:41]
	v_cmp_ne_u16_e32 vcc, 0, v24
	s_and_saveexec_b64 s[28:29], vcc
	s_cbranch_execz .LBB4_601
; %bb.596:                              ;   in Loop: Header=BB4_354 Depth=4
	v_cmp_ne_u16_e32 vcc, s80, v24
	v_bfrev_b32_e32 v4, 1
	s_and_saveexec_b64 s[40:41], vcc
	s_cbranch_execz .LBB4_600
; %bb.597:                              ;   in Loop: Header=BB4_354 Depth=4
	v_and_b32_e32 v0, 0x7f, v24
	v_cmp_ne_u32_e32 vcc, s81, v0
	v_mov_b32_e32 v4, 0x7f800001
	s_and_saveexec_b64 s[38:39], vcc
	s_cbranch_execz .LBB4_599
; %bb.598:                              ;   in Loop: Header=BB4_354 Depth=4
	v_and_b32_e32 v2, 7, v24
	v_lshrrev_b32_e32 v6, 3, v0
	v_cmp_gt_u32_e32 vcc, 8, v0
	v_ffbh_u32_e32 v0, v2
	v_min_u32_e32 v0, 32, v0
	v_subrev_u32_e32 v4, 28, v0
	v_lshlrev_b64 v[4:5], v4, v[24:25]
	v_sub_u32_e32 v0, 29, v0
	v_and_b32_e32 v4, 7, v4
	v_cndmask_b32_e32 v0, v6, v0, vcc
	v_cndmask_b32_e32 v2, v2, v4, vcc
	v_lshlrev_b32_e32 v4, 16, v60
	v_lshlrev_b32_e32 v2, 20, v2
	v_and_b32_e32 v4, 0x80000000, v4
	v_lshl_add_u32 v0, v0, 23, v54
	v_or3_b32 v4, v4, v0, v2
.LBB4_599:                              ;   in Loop: Header=BB4_354 Depth=4
	s_or_b64 exec, exec, s[38:39]
.LBB4_600:                              ;   in Loop: Header=BB4_354 Depth=4
	s_or_b64 exec, exec, s[40:41]
.LBB4_601:                              ;   in Loop: Header=BB4_354 Depth=4
	s_or_b64 exec, exec, s[28:29]
	v_max_f32_e32 v0, v4, v4
	v_max_f32_e32 v1, v1, v1
	v_min_f32_e32 v4, v1, v0
.LBB4_602:                              ;   in Loop: Header=BB4_354 Depth=4
	v_and_b32_e32 v2, 0x7f800000, v4
	v_cmp_ne_u64_e32 vcc, s[76:77], v[2:3]
                                        ; implicit-def: $vgpr60
	s_and_saveexec_b64 s[28:29], vcc
	s_xor_b64 s[40:41], exec, s[28:29]
	s_cbranch_execz .LBB4_616
; %bb.603:                              ;   in Loop: Header=BB4_354 Depth=4
	v_and_b32_e32 v2, 0x7fffffff, v4
	v_cmp_gt_u64_e32 vcc, s[78:79], v[2:3]
	v_and_b32_sdwa v1, v4, s80 dst_sel:DWORD dst_unused:UNUSED_PAD src0_sel:BYTE_3 src1_sel:DWORD
                                        ; implicit-def: $vgpr60
	s_and_saveexec_b64 s[28:29], vcc
	s_xor_b64 s[38:39], exec, s[28:29]
	s_cbranch_execz .LBB4_613
; %bb.604:                              ;   in Loop: Header=BB4_354 Depth=4
	v_mov_b32_e32 v60, 0
	v_cmp_ne_u32_e32 vcc, 0, v4
	s_and_saveexec_b64 s[48:49], vcc
	s_cbranch_execz .LBB4_612
; %bb.605:                              ;   in Loop: Header=BB4_354 Depth=4
	v_bfe_u32 v6, v4, 23, 8
	v_cmp_gt_u32_e64 s[28:29], s83, v6
	v_sub_u32_e32 v2, 0x79, v6
	v_and_b32_e32 v0, 0x7fffff, v4
	v_cmp_eq_u32_e32 vcc, 0, v6
	v_cndmask_b32_e64 v2, 0, v2, s[28:29]
	v_mov_b32_e32 v5, 0x78
	v_or_b32_e32 v4, 0x800000, v0
	v_cndmask_b32_e32 v34, v2, v5, vcc
	v_cndmask_b32_e32 v2, v4, v0, vcc
	v_add_u32_e32 v0, 20, v34
	v_lshlrev_b64 v[4:5], v0, -1
	v_add_u32_e32 v0, 19, v34
	v_lshlrev_b64 v[24:25], v0, 1
	v_bfi_b32 v5, v5, 0, 0
	v_bfi_b32 v4, v4, 0, v2
	v_cmp_eq_u64_e64 s[28:29], v[4:5], v[24:25]
	v_lshrrev_b64 v[24:25], v34, v[2:3]
	v_mov_b32_e32 v4, v24
	v_mov_b32_e32 v5, v25
	s_and_saveexec_b64 s[50:51], s[28:29]
; %bb.606:                              ;   in Loop: Header=BB4_354 Depth=4
	v_bfe_u32 v0, v24, 20, 1
	v_add_co_u32_e64 v0, s[28:29], v24, v0
	v_add_co_u32_e64 v4, s[28:29], -1, v0
; %bb.607:                              ;   in Loop: Header=BB4_354 Depth=4
	s_or_b64 exec, exec, s[50:51]
	v_add_u32_e32 v0, 0xffffff81, v6
	v_mov_b32_e32 v2, 0xffffff82
	v_cndmask_b32_e32 v0, v0, v2, vcc
	v_lshrrev_b32_e32 v2, 23, v24
	v_add3_u32 v5, v34, v0, v2
	v_add_u32_e32 v0, 6, v5
	v_and_b32_e32 v2, 0xfffff, v4
	v_add_u32_e32 v2, v2, v24
	v_cmp_ne_u32_e32 vcc, 0, v0
                                        ; implicit-def: $vgpr24_vgpr25
                                        ; implicit-def: $vgpr4
	s_and_saveexec_b64 s[28:29], vcc
	s_xor_b64 s[28:29], exec, s[28:29]
; %bb.608:                              ;   in Loop: Header=BB4_354 Depth=4
	v_cmp_lt_u64_e32 vcc, s[88:89], v[2:3]
	v_add_u32_e32 v4, 7, v5
	v_cndmask_b32_e32 v4, v0, v4, vcc
	v_cndmask_b32_e64 v0, 0, 1, vcc
	v_lshrrev_b64 v[24:25], v0, v[2:3]
; %bb.609:                              ;   in Loop: Header=BB4_354 Depth=4
	s_andn2_saveexec_b64 s[28:29], s[28:29]
; %bb.610:                              ;   in Loop: Header=BB4_354 Depth=4
	v_mov_b32_e32 v25, v3
	v_bfe_u32 v4, v2, 23, 1
	v_mov_b32_e32 v24, v2
; %bb.611:                              ;   in Loop: Header=BB4_354 Depth=4
	s_or_b64 exec, exec, s[28:29]
	v_lshrrev_b64 v[5:6], 20, v[24:25]
	v_cmp_gt_i32_e32 vcc, 16, v4
	v_cndmask_b32_e32 v6, 0, v6, vcc
	v_cndmask_b32_e32 v5, 7, v5, vcc
	v_min_i32_e32 v0, 15, v4
	v_cmp_eq_u64_e64 s[28:29], 0, v[5:6]
	v_lshlrev_b32_e32 v0, 3, v0
	v_cmp_eq_u32_e32 vcc, 0, v4
	v_and_b32_e32 v0, 0xf8, v0
	v_and_or_b32 v0, v5, 7, v0
	s_and_b64 s[28:29], vcc, s[28:29]
	v_cndmask_b32_e64 v0, v0, 0, s[28:29]
	v_or_b32_e32 v60, v0, v1
.LBB4_612:                              ;   in Loop: Header=BB4_354 Depth=4
	s_or_b64 exec, exec, s[48:49]
                                        ; implicit-def: $vgpr1
.LBB4_613:                              ;   in Loop: Header=BB4_354 Depth=4
	s_andn2_saveexec_b64 s[28:29], s[38:39]
; %bb.614:                              ;   in Loop: Header=BB4_354 Depth=4
	v_or_b32_e32 v60, 0x7e, v1
; %bb.615:                              ;   in Loop: Header=BB4_354 Depth=4
	s_or_b64 exec, exec, s[28:29]
                                        ; implicit-def: $vgpr4
.LBB4_616:                              ;   in Loop: Header=BB4_354 Depth=4
	s_andn2_saveexec_b64 s[28:29], s[40:41]
; %bb.617:                              ;   in Loop: Header=BB4_354 Depth=4
	v_or_b32_sdwa v60, v4, s81 dst_sel:DWORD dst_unused:UNUSED_PAD src0_sel:BYTE_3 src1_sel:DWORD
; %bb.618:                              ;   in Loop: Header=BB4_354 Depth=4
	s_or_b64 exec, exec, s[28:29]
	v_lshrrev_b32_e32 v24, 16, v21
	v_lshrrev_b32_e32 v2, 16, v17
	v_cmp_ne_u16_sdwa s[28:29], v24, v3 src0_sel:BYTE_0 src1_sel:DWORD
	s_mov_b64 s[40:41], -1
	s_and_b64 vcc, exec, s[46:47]
                                        ; implicit-def: $vgpr4
	s_cbranch_vccz .LBB4_632
; %bb.619:                              ;   in Loop: Header=BB4_354 Depth=4
	v_mov_b32_e32 v4, 0
	v_mov_b32_e32 v1, 0
	s_and_saveexec_b64 s[40:41], s[28:29]
	s_cbranch_execz .LBB4_625
; %bb.620:                              ;   in Loop: Header=BB4_354 Depth=4
	v_cmp_ne_u16_sdwa vcc, v24, s80 src0_sel:BYTE_0 src1_sel:DWORD
	v_bfrev_b32_e32 v1, 1
	s_and_saveexec_b64 s[38:39], vcc
	s_cbranch_execz .LBB4_624
; %bb.621:                              ;   in Loop: Header=BB4_354 Depth=4
	v_bfe_u32 v0, v21, 16, 7
	v_cmp_ne_u32_e32 vcc, s81, v0
	v_mov_b32_e32 v1, 0x7f800001
	s_and_saveexec_b64 s[48:49], vcc
	s_cbranch_execz .LBB4_623
; %bb.622:                              ;   in Loop: Header=BB4_354 Depth=4
	v_and_b32_e32 v5, 7, v24
	v_lshrrev_b32_e32 v6, 3, v0
	v_cmp_gt_u32_e32 vcc, 8, v0
	v_ffbh_u32_e32 v0, v5
	v_min_u32_e32 v25, 32, v0
	v_subrev_u32_e32 v0, 28, v25
	v_lshlrev_b64 v[0:1], v0, v[24:25]
	v_sub_u32_e32 v1, 29, v25
	v_and_b32_e32 v0, 7, v0
	v_cndmask_b32_e32 v1, v6, v1, vcc
	v_cndmask_b32_e32 v0, v5, v0, vcc
	v_lshlrev_b32_e32 v5, 24, v24
	v_lshlrev_b32_e32 v0, 20, v0
	v_and_b32_e32 v5, 0x80000000, v5
	v_lshl_add_u32 v1, v1, 23, v54
	v_or3_b32 v1, v5, v1, v0
.LBB4_623:                              ;   in Loop: Header=BB4_354 Depth=4
	s_or_b64 exec, exec, s[48:49]
.LBB4_624:                              ;   in Loop: Header=BB4_354 Depth=4
	s_or_b64 exec, exec, s[38:39]
.LBB4_625:                              ;   in Loop: Header=BB4_354 Depth=4
	s_or_b64 exec, exec, s[40:41]
	v_cmp_ne_u16_sdwa vcc, v2, v3 src0_sel:BYTE_0 src1_sel:DWORD
	s_and_saveexec_b64 s[40:41], vcc
	s_cbranch_execz .LBB4_631
; %bb.626:                              ;   in Loop: Header=BB4_354 Depth=4
	v_cmp_ne_u16_sdwa vcc, v2, s80 src0_sel:BYTE_0 src1_sel:DWORD
	v_bfrev_b32_e32 v4, 1
	s_and_saveexec_b64 s[38:39], vcc
	s_cbranch_execz .LBB4_630
; %bb.627:                              ;   in Loop: Header=BB4_354 Depth=4
	v_bfe_u32 v0, v17, 16, 7
	v_cmp_ne_u32_e32 vcc, s81, v0
	v_mov_b32_e32 v4, 0x7f800001
	s_and_saveexec_b64 s[48:49], vcc
	s_cbranch_execz .LBB4_629
; %bb.628:                              ;   in Loop: Header=BB4_354 Depth=4
	v_and_b32_e32 v6, 7, v2
	v_lshrrev_b32_e32 v25, 3, v0
	v_cmp_gt_u32_e32 vcc, 8, v0
	v_ffbh_u32_e32 v0, v6
	v_min_u32_e32 v0, 32, v0
	v_subrev_u32_e32 v4, 28, v0
	v_lshlrev_b64 v[4:5], v4, v[2:3]
	v_sub_u32_e32 v0, 29, v0
	v_and_b32_e32 v4, 7, v4
	v_cndmask_b32_e32 v0, v25, v0, vcc
	v_cndmask_b32_e32 v4, v6, v4, vcc
	v_lshlrev_b32_e32 v5, 24, v2
	v_lshlrev_b32_e32 v4, 20, v4
	v_and_b32_e32 v5, 0x80000000, v5
	v_lshl_add_u32 v0, v0, 23, v54
	v_or3_b32 v4, v5, v0, v4
.LBB4_629:                              ;   in Loop: Header=BB4_354 Depth=4
	s_or_b64 exec, exec, s[48:49]
.LBB4_630:                              ;   in Loop: Header=BB4_354 Depth=4
	s_or_b64 exec, exec, s[38:39]
.LBB4_631:                              ;   in Loop: Header=BB4_354 Depth=4
	s_or_b64 exec, exec, s[40:41]
	v_max_f32_e32 v0, v4, v4
	v_max_f32_e32 v1, v1, v1
	;; [unrolled: 1-line block ×3, first 2 shown]
	s_mov_b64 s[40:41], 0
.LBB4_632:                              ;   in Loop: Header=BB4_354 Depth=4
	s_and_b64 vcc, exec, s[40:41]
	s_cbranch_vccz .LBB4_646
; %bb.633:                              ;   in Loop: Header=BB4_354 Depth=4
	v_mov_b32_e32 v4, 0
	v_mov_b32_e32 v1, 0
	s_and_saveexec_b64 s[40:41], s[28:29]
	s_cbranch_execz .LBB4_639
; %bb.634:                              ;   in Loop: Header=BB4_354 Depth=4
	v_cmp_ne_u16_sdwa vcc, v24, s80 src0_sel:BYTE_0 src1_sel:DWORD
	v_bfrev_b32_e32 v1, 1
	s_and_saveexec_b64 s[28:29], vcc
	s_cbranch_execz .LBB4_638
; %bb.635:                              ;   in Loop: Header=BB4_354 Depth=4
	v_bfe_u32 v0, v21, 16, 7
	v_cmp_ne_u32_e32 vcc, s81, v0
	v_mov_b32_e32 v1, 0x7f800001
	s_and_saveexec_b64 s[38:39], vcc
	s_cbranch_execz .LBB4_637
; %bb.636:                              ;   in Loop: Header=BB4_354 Depth=4
	v_and_b32_e32 v5, 7, v24
	v_lshrrev_b32_e32 v6, 3, v0
	v_cmp_gt_u32_e32 vcc, 8, v0
	v_ffbh_u32_e32 v0, v5
	v_min_u32_e32 v25, 32, v0
	v_subrev_u32_e32 v0, 28, v25
	v_lshlrev_b64 v[0:1], v0, v[24:25]
	v_sub_u32_e32 v1, 29, v25
	v_and_b32_e32 v0, 7, v0
	v_cndmask_b32_e32 v1, v6, v1, vcc
	v_cndmask_b32_e32 v0, v5, v0, vcc
	v_lshlrev_b32_e32 v5, 24, v24
	v_lshlrev_b32_e32 v0, 20, v0
	v_and_b32_e32 v5, 0x80000000, v5
	v_lshl_add_u32 v1, v1, 23, v54
	v_or3_b32 v1, v5, v1, v0
.LBB4_637:                              ;   in Loop: Header=BB4_354 Depth=4
	s_or_b64 exec, exec, s[38:39]
.LBB4_638:                              ;   in Loop: Header=BB4_354 Depth=4
	s_or_b64 exec, exec, s[28:29]
.LBB4_639:                              ;   in Loop: Header=BB4_354 Depth=4
	s_or_b64 exec, exec, s[40:41]
	v_cmp_ne_u16_sdwa s[40:41], v2, v3 src0_sel:BYTE_0 src1_sel:DWORD
	s_and_saveexec_b64 s[28:29], s[40:41]
	s_cbranch_execz .LBB4_645
; %bb.640:                              ;   in Loop: Header=BB4_354 Depth=4
	v_cmp_ne_u16_sdwa vcc, v2, s80 src0_sel:BYTE_0 src1_sel:DWORD
	v_bfrev_b32_e32 v4, 1
	s_and_saveexec_b64 s[40:41], vcc
	s_cbranch_execz .LBB4_644
; %bb.641:                              ;   in Loop: Header=BB4_354 Depth=4
	v_bfe_u32 v0, v17, 16, 7
	v_cmp_ne_u32_e32 vcc, s81, v0
	v_mov_b32_e32 v4, 0x7f800001
	s_and_saveexec_b64 s[38:39], vcc
	s_cbranch_execz .LBB4_643
; %bb.642:                              ;   in Loop: Header=BB4_354 Depth=4
	v_and_b32_e32 v6, 7, v2
	v_lshrrev_b32_e32 v24, 3, v0
	v_cmp_gt_u32_e32 vcc, 8, v0
	v_ffbh_u32_e32 v0, v6
	v_min_u32_e32 v0, 32, v0
	v_subrev_u32_e32 v4, 28, v0
	v_lshlrev_b64 v[4:5], v4, v[2:3]
	v_sub_u32_e32 v0, 29, v0
	v_and_b32_e32 v4, 7, v4
	v_cndmask_b32_e32 v0, v24, v0, vcc
	v_cndmask_b32_e32 v4, v6, v4, vcc
	v_lshlrev_b32_e32 v2, 24, v2
	v_lshlrev_b32_e32 v4, 20, v4
	v_and_b32_e32 v2, 0x80000000, v2
	v_lshl_add_u32 v0, v0, 23, v54
	v_or3_b32 v4, v2, v0, v4
.LBB4_643:                              ;   in Loop: Header=BB4_354 Depth=4
	s_or_b64 exec, exec, s[38:39]
.LBB4_644:                              ;   in Loop: Header=BB4_354 Depth=4
	s_or_b64 exec, exec, s[40:41]
.LBB4_645:                              ;   in Loop: Header=BB4_354 Depth=4
	s_or_b64 exec, exec, s[28:29]
	v_max_f32_e32 v0, v4, v4
	v_max_f32_e32 v1, v1, v1
	v_min_f32_e32 v4, v1, v0
.LBB4_646:                              ;   in Loop: Header=BB4_354 Depth=4
	v_and_b32_e32 v2, 0x7f800000, v4
	v_cmp_ne_u64_e32 vcc, s[76:77], v[2:3]
                                        ; implicit-def: $vgpr25
	s_and_saveexec_b64 s[28:29], vcc
	s_xor_b64 s[40:41], exec, s[28:29]
	s_cbranch_execz .LBB4_660
; %bb.647:                              ;   in Loop: Header=BB4_354 Depth=4
	v_and_b32_e32 v2, 0x7fffffff, v4
	v_cmp_gt_u64_e32 vcc, s[78:79], v[2:3]
	v_and_b32_sdwa v1, v4, s80 dst_sel:DWORD dst_unused:UNUSED_PAD src0_sel:BYTE_3 src1_sel:DWORD
                                        ; implicit-def: $vgpr25
	s_and_saveexec_b64 s[28:29], vcc
	s_xor_b64 s[38:39], exec, s[28:29]
	s_cbranch_execz .LBB4_657
; %bb.648:                              ;   in Loop: Header=BB4_354 Depth=4
	v_mov_b32_e32 v25, 0
	v_cmp_ne_u32_e32 vcc, 0, v4
	s_and_saveexec_b64 s[48:49], vcc
	s_cbranch_execz .LBB4_656
; %bb.649:                              ;   in Loop: Header=BB4_354 Depth=4
	v_bfe_u32 v6, v4, 23, 8
	v_cmp_gt_u32_e64 s[28:29], s83, v6
	v_sub_u32_e32 v2, 0x79, v6
	v_and_b32_e32 v0, 0x7fffff, v4
	v_cmp_eq_u32_e32 vcc, 0, v6
	v_cndmask_b32_e64 v2, 0, v2, s[28:29]
	v_mov_b32_e32 v5, 0x78
	v_or_b32_e32 v4, 0x800000, v0
	v_cndmask_b32_e32 v34, v2, v5, vcc
	v_cndmask_b32_e32 v2, v4, v0, vcc
	v_add_u32_e32 v0, 20, v34
	v_lshlrev_b64 v[4:5], v0, -1
	v_add_u32_e32 v0, 19, v34
	v_lshlrev_b64 v[24:25], v0, 1
	v_bfi_b32 v5, v5, 0, 0
	v_bfi_b32 v4, v4, 0, v2
	v_cmp_eq_u64_e64 s[28:29], v[4:5], v[24:25]
	v_lshrrev_b64 v[24:25], v34, v[2:3]
	v_mov_b32_e32 v4, v24
	v_mov_b32_e32 v5, v25
	s_and_saveexec_b64 s[50:51], s[28:29]
; %bb.650:                              ;   in Loop: Header=BB4_354 Depth=4
	v_bfe_u32 v0, v24, 20, 1
	v_add_co_u32_e64 v0, s[28:29], v24, v0
	v_add_co_u32_e64 v4, s[28:29], -1, v0
; %bb.651:                              ;   in Loop: Header=BB4_354 Depth=4
	s_or_b64 exec, exec, s[50:51]
	v_add_u32_e32 v0, 0xffffff81, v6
	v_mov_b32_e32 v2, 0xffffff82
	v_cndmask_b32_e32 v0, v0, v2, vcc
	v_lshrrev_b32_e32 v2, 23, v24
	v_add3_u32 v5, v34, v0, v2
	v_add_u32_e32 v0, 6, v5
	v_and_b32_e32 v2, 0xfffff, v4
	v_add_u32_e32 v2, v2, v24
	v_cmp_ne_u32_e32 vcc, 0, v0
                                        ; implicit-def: $vgpr24_vgpr25
                                        ; implicit-def: $vgpr4
	s_and_saveexec_b64 s[28:29], vcc
	s_xor_b64 s[28:29], exec, s[28:29]
; %bb.652:                              ;   in Loop: Header=BB4_354 Depth=4
	v_cmp_lt_u64_e32 vcc, s[88:89], v[2:3]
	v_add_u32_e32 v4, 7, v5
	v_cndmask_b32_e32 v4, v0, v4, vcc
	v_cndmask_b32_e64 v0, 0, 1, vcc
	v_lshrrev_b64 v[24:25], v0, v[2:3]
; %bb.653:                              ;   in Loop: Header=BB4_354 Depth=4
	s_andn2_saveexec_b64 s[28:29], s[28:29]
; %bb.654:                              ;   in Loop: Header=BB4_354 Depth=4
	v_mov_b32_e32 v25, v3
	v_bfe_u32 v4, v2, 23, 1
	v_mov_b32_e32 v24, v2
; %bb.655:                              ;   in Loop: Header=BB4_354 Depth=4
	s_or_b64 exec, exec, s[28:29]
	v_lshrrev_b64 v[5:6], 20, v[24:25]
	v_cmp_gt_i32_e32 vcc, 16, v4
	v_cndmask_b32_e32 v6, 0, v6, vcc
	v_cndmask_b32_e32 v5, 7, v5, vcc
	v_min_i32_e32 v0, 15, v4
	v_cmp_eq_u64_e64 s[28:29], 0, v[5:6]
	v_lshlrev_b32_e32 v0, 3, v0
	v_cmp_eq_u32_e32 vcc, 0, v4
	v_and_b32_e32 v0, 0xf8, v0
	v_and_or_b32 v0, v5, 7, v0
	s_and_b64 s[28:29], vcc, s[28:29]
	v_cndmask_b32_e64 v0, v0, 0, s[28:29]
	v_or_b32_e32 v25, v0, v1
.LBB4_656:                              ;   in Loop: Header=BB4_354 Depth=4
	s_or_b64 exec, exec, s[48:49]
                                        ; implicit-def: $vgpr1
.LBB4_657:                              ;   in Loop: Header=BB4_354 Depth=4
	s_andn2_saveexec_b64 s[28:29], s[38:39]
; %bb.658:                              ;   in Loop: Header=BB4_354 Depth=4
	v_or_b32_e32 v25, 0x7e, v1
; %bb.659:                              ;   in Loop: Header=BB4_354 Depth=4
	s_or_b64 exec, exec, s[28:29]
                                        ; implicit-def: $vgpr4
.LBB4_660:                              ;   in Loop: Header=BB4_354 Depth=4
	s_andn2_saveexec_b64 s[28:29], s[40:41]
; %bb.661:                              ;   in Loop: Header=BB4_354 Depth=4
	v_or_b32_sdwa v25, v4, s81 dst_sel:DWORD dst_unused:UNUSED_PAD src0_sel:BYTE_3 src1_sel:DWORD
; %bb.662:                              ;   in Loop: Header=BB4_354 Depth=4
	s_or_b64 exec, exec, s[28:29]
	v_cmp_lt_u64_e64 s[28:29], s[62:63], v[20:21]
	v_lshrrev_b32_e32 v24, 24, v21
	v_lshrrev_b32_e32 v2, 24, v17
	s_mov_b64 s[40:41], -1
	s_and_b64 vcc, exec, s[46:47]
                                        ; implicit-def: $vgpr4
	s_cbranch_vccz .LBB4_676
; %bb.663:                              ;   in Loop: Header=BB4_354 Depth=4
	v_mov_b32_e32 v4, 0
	v_mov_b32_e32 v1, 0
	s_and_saveexec_b64 s[40:41], s[28:29]
	s_cbranch_execz .LBB4_669
; %bb.664:                              ;   in Loop: Header=BB4_354 Depth=4
	v_cmp_ne_u32_e32 vcc, s80, v24
	v_bfrev_b32_e32 v1, 1
	s_and_saveexec_b64 s[38:39], vcc
	s_cbranch_execz .LBB4_668
; %bb.665:                              ;   in Loop: Header=BB4_354 Depth=4
	v_bfe_u32 v0, v21, 24, 7
	v_cmp_ne_u32_e32 vcc, s81, v0
	v_mov_b32_e32 v1, 0x7f800001
	s_and_saveexec_b64 s[48:49], vcc
	s_cbranch_execz .LBB4_667
; %bb.666:                              ;   in Loop: Header=BB4_354 Depth=4
	v_and_b32_e32 v5, 7, v24
	v_lshrrev_b32_e32 v6, 3, v0
	v_cmp_gt_u32_e32 vcc, 8, v0
	v_ffbh_u32_e32 v0, v5
	v_min_u32_e32 v20, 32, v0
	v_subrev_u32_e32 v0, 28, v20
	v_lshlrev_b64 v[0:1], v0, v[24:25]
	v_sub_u32_e32 v1, 29, v20
	v_and_b32_e32 v0, 7, v0
	v_cndmask_b32_e32 v1, v6, v1, vcc
	v_cndmask_b32_e32 v0, v5, v0, vcc
	v_lshlrev_b32_e32 v5, 24, v24
	v_lshlrev_b32_e32 v0, 20, v0
	v_and_b32_e32 v5, 0x80000000, v5
	v_lshl_add_u32 v1, v1, 23, v54
	v_or3_b32 v1, v5, v1, v0
.LBB4_667:                              ;   in Loop: Header=BB4_354 Depth=4
	s_or_b64 exec, exec, s[48:49]
.LBB4_668:                              ;   in Loop: Header=BB4_354 Depth=4
	s_or_b64 exec, exec, s[38:39]
.LBB4_669:                              ;   in Loop: Header=BB4_354 Depth=4
	s_or_b64 exec, exec, s[40:41]
	v_cmp_lt_u64_e32 vcc, s[62:63], v[16:17]
	s_and_saveexec_b64 s[40:41], vcc
	s_cbranch_execz .LBB4_675
; %bb.670:                              ;   in Loop: Header=BB4_354 Depth=4
	v_cmp_ne_u32_e32 vcc, s80, v2
	v_bfrev_b32_e32 v4, 1
	s_and_saveexec_b64 s[38:39], vcc
	s_cbranch_execz .LBB4_674
; %bb.671:                              ;   in Loop: Header=BB4_354 Depth=4
	v_bfe_u32 v0, v17, 24, 7
	v_cmp_ne_u32_e32 vcc, s81, v0
	v_mov_b32_e32 v4, 0x7f800001
	s_and_saveexec_b64 s[48:49], vcc
	s_cbranch_execz .LBB4_673
; %bb.672:                              ;   in Loop: Header=BB4_354 Depth=4
	v_and_b32_e32 v6, 7, v2
	v_lshrrev_b32_e32 v20, 3, v0
	v_cmp_gt_u32_e32 vcc, 8, v0
	v_ffbh_u32_e32 v0, v6
	v_min_u32_e32 v0, 32, v0
	v_subrev_u32_e32 v4, 28, v0
	v_lshlrev_b64 v[4:5], v4, v[2:3]
	v_sub_u32_e32 v0, 29, v0
	v_and_b32_e32 v4, 7, v4
	v_cndmask_b32_e32 v0, v20, v0, vcc
	v_cndmask_b32_e32 v4, v6, v4, vcc
	v_lshlrev_b32_e32 v5, 24, v2
	v_lshlrev_b32_e32 v4, 20, v4
	v_and_b32_e32 v5, 0x80000000, v5
	v_lshl_add_u32 v0, v0, 23, v54
	v_or3_b32 v4, v5, v0, v4
.LBB4_673:                              ;   in Loop: Header=BB4_354 Depth=4
	s_or_b64 exec, exec, s[48:49]
.LBB4_674:                              ;   in Loop: Header=BB4_354 Depth=4
	s_or_b64 exec, exec, s[38:39]
.LBB4_675:                              ;   in Loop: Header=BB4_354 Depth=4
	s_or_b64 exec, exec, s[40:41]
	v_max_f32_e32 v0, v4, v4
	v_max_f32_e32 v1, v1, v1
	;; [unrolled: 1-line block ×3, first 2 shown]
	s_mov_b64 s[40:41], 0
.LBB4_676:                              ;   in Loop: Header=BB4_354 Depth=4
	s_and_b64 vcc, exec, s[40:41]
	s_cbranch_vccz .LBB4_690
; %bb.677:                              ;   in Loop: Header=BB4_354 Depth=4
	v_mov_b32_e32 v4, 0
	v_mov_b32_e32 v1, 0
	s_and_saveexec_b64 s[40:41], s[28:29]
	s_cbranch_execz .LBB4_683
; %bb.678:                              ;   in Loop: Header=BB4_354 Depth=4
	v_cmp_ne_u32_e32 vcc, s80, v24
	v_bfrev_b32_e32 v1, 1
	s_and_saveexec_b64 s[28:29], vcc
	s_cbranch_execz .LBB4_682
; %bb.679:                              ;   in Loop: Header=BB4_354 Depth=4
	v_bfe_u32 v0, v21, 24, 7
	v_cmp_ne_u32_e32 vcc, s81, v0
	v_mov_b32_e32 v1, 0x7f800001
	s_and_saveexec_b64 s[38:39], vcc
	s_cbranch_execz .LBB4_681
; %bb.680:                              ;   in Loop: Header=BB4_354 Depth=4
	v_and_b32_e32 v5, 7, v24
	v_lshrrev_b32_e32 v6, 3, v0
	v_cmp_gt_u32_e32 vcc, 8, v0
	v_ffbh_u32_e32 v0, v5
	v_min_u32_e32 v20, 32, v0
	v_subrev_u32_e32 v0, 28, v20
	v_lshlrev_b64 v[0:1], v0, v[24:25]
	v_sub_u32_e32 v1, 29, v20
	v_and_b32_e32 v0, 7, v0
	v_cndmask_b32_e32 v1, v6, v1, vcc
	v_cndmask_b32_e32 v0, v5, v0, vcc
	v_lshlrev_b32_e32 v5, 24, v24
	v_lshlrev_b32_e32 v0, 20, v0
	v_and_b32_e32 v5, 0x80000000, v5
	v_lshl_add_u32 v1, v1, 23, v54
	v_or3_b32 v1, v5, v1, v0
.LBB4_681:                              ;   in Loop: Header=BB4_354 Depth=4
	s_or_b64 exec, exec, s[38:39]
.LBB4_682:                              ;   in Loop: Header=BB4_354 Depth=4
	s_or_b64 exec, exec, s[28:29]
.LBB4_683:                              ;   in Loop: Header=BB4_354 Depth=4
	s_or_b64 exec, exec, s[40:41]
	v_cmp_lt_u64_e32 vcc, s[62:63], v[16:17]
	s_and_saveexec_b64 s[28:29], vcc
	s_cbranch_execz .LBB4_689
; %bb.684:                              ;   in Loop: Header=BB4_354 Depth=4
	v_cmp_ne_u32_e32 vcc, s80, v2
	v_bfrev_b32_e32 v4, 1
	s_and_saveexec_b64 s[40:41], vcc
	s_cbranch_execz .LBB4_688
; %bb.685:                              ;   in Loop: Header=BB4_354 Depth=4
	v_bfe_u32 v0, v17, 24, 7
	v_cmp_ne_u32_e32 vcc, s81, v0
	v_mov_b32_e32 v4, 0x7f800001
	s_and_saveexec_b64 s[38:39], vcc
	s_cbranch_execz .LBB4_687
; %bb.686:                              ;   in Loop: Header=BB4_354 Depth=4
	v_and_b32_e32 v6, 7, v2
	v_lshrrev_b32_e32 v16, 3, v0
	v_cmp_gt_u32_e32 vcc, 8, v0
	v_ffbh_u32_e32 v0, v6
	v_min_u32_e32 v0, 32, v0
	v_subrev_u32_e32 v4, 28, v0
	v_lshlrev_b64 v[4:5], v4, v[2:3]
	v_sub_u32_e32 v0, 29, v0
	v_and_b32_e32 v4, 7, v4
	v_cndmask_b32_e32 v0, v16, v0, vcc
	v_cndmask_b32_e32 v4, v6, v4, vcc
	v_lshlrev_b32_e32 v2, 24, v2
	v_lshlrev_b32_e32 v4, 20, v4
	v_and_b32_e32 v2, 0x80000000, v2
	v_lshl_add_u32 v0, v0, 23, v54
	v_or3_b32 v4, v2, v0, v4
.LBB4_687:                              ;   in Loop: Header=BB4_354 Depth=4
	s_or_b64 exec, exec, s[38:39]
.LBB4_688:                              ;   in Loop: Header=BB4_354 Depth=4
	s_or_b64 exec, exec, s[40:41]
.LBB4_689:                              ;   in Loop: Header=BB4_354 Depth=4
	s_or_b64 exec, exec, s[28:29]
	v_max_f32_e32 v0, v4, v4
	v_max_f32_e32 v1, v1, v1
	v_min_f32_e32 v4, v1, v0
.LBB4_690:                              ;   in Loop: Header=BB4_354 Depth=4
	v_and_b32_e32 v2, 0x7f800000, v4
	v_cmp_ne_u64_e32 vcc, s[76:77], v[2:3]
                                        ; implicit-def: $vgpr24
	s_and_saveexec_b64 s[28:29], vcc
	s_xor_b64 s[40:41], exec, s[28:29]
	s_cbranch_execz .LBB4_704
; %bb.691:                              ;   in Loop: Header=BB4_354 Depth=4
	v_and_b32_e32 v2, 0x7fffffff, v4
	v_cmp_gt_u64_e32 vcc, s[78:79], v[2:3]
	v_and_b32_sdwa v1, v4, s80 dst_sel:DWORD dst_unused:UNUSED_PAD src0_sel:BYTE_3 src1_sel:DWORD
                                        ; implicit-def: $vgpr24
	s_and_saveexec_b64 s[28:29], vcc
	s_xor_b64 s[38:39], exec, s[28:29]
	s_cbranch_execz .LBB4_701
; %bb.692:                              ;   in Loop: Header=BB4_354 Depth=4
	v_mov_b32_e32 v24, 0
	v_cmp_ne_u32_e32 vcc, 0, v4
	s_and_saveexec_b64 s[48:49], vcc
	s_cbranch_execz .LBB4_700
; %bb.693:                              ;   in Loop: Header=BB4_354 Depth=4
	v_bfe_u32 v6, v4, 23, 8
	v_cmp_gt_u32_e64 s[28:29], s83, v6
	v_sub_u32_e32 v2, 0x79, v6
	v_and_b32_e32 v0, 0x7fffff, v4
	v_cmp_eq_u32_e32 vcc, 0, v6
	v_cndmask_b32_e64 v2, 0, v2, s[28:29]
	v_mov_b32_e32 v5, 0x78
	v_or_b32_e32 v4, 0x800000, v0
	v_cndmask_b32_e32 v20, v2, v5, vcc
	v_cndmask_b32_e32 v2, v4, v0, vcc
	v_add_u32_e32 v0, 20, v20
	v_lshlrev_b64 v[4:5], v0, -1
	v_add_u32_e32 v0, 19, v20
	v_lshlrev_b64 v[16:17], v0, 1
	v_bfi_b32 v5, v5, 0, 0
	v_bfi_b32 v4, v4, 0, v2
	v_cmp_eq_u64_e64 s[28:29], v[4:5], v[16:17]
	v_lshrrev_b64 v[16:17], v20, v[2:3]
	v_mov_b32_e32 v4, v16
	v_mov_b32_e32 v5, v17
	s_and_saveexec_b64 s[50:51], s[28:29]
; %bb.694:                              ;   in Loop: Header=BB4_354 Depth=4
	v_bfe_u32 v0, v16, 20, 1
	v_add_co_u32_e64 v0, s[28:29], v16, v0
	v_add_co_u32_e64 v4, s[28:29], -1, v0
; %bb.695:                              ;   in Loop: Header=BB4_354 Depth=4
	s_or_b64 exec, exec, s[50:51]
	v_add_u32_e32 v0, 0xffffff81, v6
	v_mov_b32_e32 v2, 0xffffff82
	v_cndmask_b32_e32 v0, v0, v2, vcc
	v_lshrrev_b32_e32 v2, 23, v16
	v_add3_u32 v5, v20, v0, v2
	v_add_u32_e32 v0, 6, v5
	v_and_b32_e32 v2, 0xfffff, v4
	v_add_u32_e32 v2, v2, v16
	v_cmp_ne_u32_e32 vcc, 0, v0
                                        ; implicit-def: $vgpr16_vgpr17
                                        ; implicit-def: $vgpr4
	s_and_saveexec_b64 s[28:29], vcc
	s_xor_b64 s[28:29], exec, s[28:29]
; %bb.696:                              ;   in Loop: Header=BB4_354 Depth=4
	v_cmp_lt_u64_e32 vcc, s[88:89], v[2:3]
	v_add_u32_e32 v4, 7, v5
	v_cndmask_b32_e32 v4, v0, v4, vcc
	v_cndmask_b32_e64 v0, 0, 1, vcc
	v_lshrrev_b64 v[16:17], v0, v[2:3]
; %bb.697:                              ;   in Loop: Header=BB4_354 Depth=4
	s_andn2_saveexec_b64 s[28:29], s[28:29]
; %bb.698:                              ;   in Loop: Header=BB4_354 Depth=4
	v_mov_b32_e32 v17, v3
	v_bfe_u32 v4, v2, 23, 1
	v_mov_b32_e32 v16, v2
; %bb.699:                              ;   in Loop: Header=BB4_354 Depth=4
	s_or_b64 exec, exec, s[28:29]
	v_lshrrev_b64 v[5:6], 20, v[16:17]
	v_cmp_gt_i32_e32 vcc, 16, v4
	v_cndmask_b32_e32 v6, 0, v6, vcc
	v_cndmask_b32_e32 v5, 7, v5, vcc
	v_min_i32_e32 v0, 15, v4
	v_cmp_eq_u64_e64 s[28:29], 0, v[5:6]
	v_lshlrev_b32_e32 v0, 3, v0
	v_cmp_eq_u32_e32 vcc, 0, v4
	v_and_b32_e32 v0, 0xf8, v0
	v_and_or_b32 v0, v5, 7, v0
	s_and_b64 s[28:29], vcc, s[28:29]
	v_cndmask_b32_e64 v0, v0, 0, s[28:29]
	v_or_b32_e32 v24, v0, v1
.LBB4_700:                              ;   in Loop: Header=BB4_354 Depth=4
	s_or_b64 exec, exec, s[48:49]
                                        ; implicit-def: $vgpr1
.LBB4_701:                              ;   in Loop: Header=BB4_354 Depth=4
	s_andn2_saveexec_b64 s[28:29], s[38:39]
; %bb.702:                              ;   in Loop: Header=BB4_354 Depth=4
	v_or_b32_e32 v24, 0x7e, v1
; %bb.703:                              ;   in Loop: Header=BB4_354 Depth=4
	s_or_b64 exec, exec, s[28:29]
                                        ; implicit-def: $vgpr4
.LBB4_704:                              ;   in Loop: Header=BB4_354 Depth=4
	s_andn2_saveexec_b64 s[28:29], s[40:41]
; %bb.705:                              ;   in Loop: Header=BB4_354 Depth=4
	v_or_b32_sdwa v24, v4, s81 dst_sel:DWORD dst_unused:UNUSED_PAD src0_sel:BYTE_3 src1_sel:DWORD
; %bb.706:                              ;   in Loop: Header=BB4_354 Depth=4
	s_or_b64 exec, exec, s[28:29]
	v_cmp_ne_u16_sdwa s[28:29], v22, v3 src0_sel:BYTE_0 src1_sel:DWORD
	s_mov_b64 s[40:41], -1
	s_and_b64 vcc, exec, s[46:47]
                                        ; implicit-def: $vgpr4
	s_cbranch_vccz .LBB4_720
; %bb.707:                              ;   in Loop: Header=BB4_354 Depth=4
	v_mov_b32_e32 v2, 0
	v_mov_b32_e32 v1, 0
	s_and_saveexec_b64 s[40:41], s[28:29]
	s_cbranch_execz .LBB4_713
; %bb.708:                              ;   in Loop: Header=BB4_354 Depth=4
	v_cmp_ne_u16_sdwa vcc, v22, s80 src0_sel:BYTE_0 src1_sel:DWORD
	v_bfrev_b32_e32 v1, 1
	s_and_saveexec_b64 s[38:39], vcc
	s_cbranch_execz .LBB4_712
; %bb.709:                              ;   in Loop: Header=BB4_354 Depth=4
	v_and_b32_e32 v0, 0x7f, v22
	v_cmp_ne_u32_e32 vcc, s81, v0
	v_mov_b32_e32 v1, 0x7f800001
	s_and_saveexec_b64 s[48:49], vcc
	s_cbranch_execz .LBB4_711
; %bb.710:                              ;   in Loop: Header=BB4_354 Depth=4
	v_and_b32_e32 v1, 7, v22
	v_lshrrev_b32_e32 v4, 3, v0
	v_cmp_gt_u32_e32 vcc, 8, v0
	v_ffbh_u32_e32 v0, v1
	v_min_u32_e32 v0, 32, v0
	v_subrev_u32_e32 v1, 28, v0
	v_sub_u32_e32 v0, 29, v0
	v_cndmask_b32_e32 v4, v4, v0, vcc
	v_cndmask_b32_e32 v0, 0, v1, vcc
	v_lshlrev_b64 v[0:1], v0, v[22:23]
	v_lshlrev_b32_e32 v1, 24, v22
	v_lshlrev_b32_e32 v0, 20, v0
	v_and_b32_e32 v0, 0x700000, v0
	v_and_b32_e32 v1, 0x80000000, v1
	v_lshl_add_u32 v4, v4, 23, v54
	v_or3_b32 v1, v1, v4, v0
.LBB4_711:                              ;   in Loop: Header=BB4_354 Depth=4
	s_or_b64 exec, exec, s[48:49]
.LBB4_712:                              ;   in Loop: Header=BB4_354 Depth=4
	s_or_b64 exec, exec, s[38:39]
.LBB4_713:                              ;   in Loop: Header=BB4_354 Depth=4
	s_or_b64 exec, exec, s[40:41]
	v_cmp_ne_u16_sdwa vcc, v18, v3 src0_sel:BYTE_0 src1_sel:DWORD
	s_and_saveexec_b64 s[40:41], vcc
	s_cbranch_execz .LBB4_719
; %bb.714:                              ;   in Loop: Header=BB4_354 Depth=4
	v_cmp_ne_u16_sdwa vcc, v18, s80 src0_sel:BYTE_0 src1_sel:DWORD
	v_bfrev_b32_e32 v2, 1
	s_and_saveexec_b64 s[38:39], vcc
	s_cbranch_execz .LBB4_718
; %bb.715:                              ;   in Loop: Header=BB4_354 Depth=4
	v_and_b32_e32 v0, 0x7f, v18
	v_cmp_ne_u32_e32 vcc, s81, v0
	v_mov_b32_e32 v2, 0x7f800001
	s_and_saveexec_b64 s[48:49], vcc
	s_cbranch_execz .LBB4_717
; %bb.716:                              ;   in Loop: Header=BB4_354 Depth=4
	v_and_b32_e32 v2, 7, v18
	v_lshrrev_b32_e32 v4, 3, v0
	v_cmp_gt_u32_e32 vcc, 8, v0
	v_ffbh_u32_e32 v0, v2
	v_min_u32_e32 v0, 32, v0
	v_subrev_u32_e32 v2, 28, v0
	v_sub_u32_e32 v0, 29, v0
	v_cndmask_b32_e32 v2, 0, v2, vcc
	v_cndmask_b32_e32 v0, v4, v0, vcc
	v_lshlrev_b64 v[4:5], v2, v[18:19]
	v_lshl_add_u32 v0, v0, 23, v54
	v_lshlrev_b32_e32 v2, 20, v4
	v_lshlrev_b32_e32 v4, 24, v18
	v_and_b32_e32 v2, 0x700000, v2
	v_and_b32_e32 v4, 0x80000000, v4
	v_or3_b32 v2, v4, v0, v2
.LBB4_717:                              ;   in Loop: Header=BB4_354 Depth=4
	s_or_b64 exec, exec, s[48:49]
.LBB4_718:                              ;   in Loop: Header=BB4_354 Depth=4
	s_or_b64 exec, exec, s[38:39]
.LBB4_719:                              ;   in Loop: Header=BB4_354 Depth=4
	s_or_b64 exec, exec, s[40:41]
	v_max_f32_e32 v0, v2, v2
	v_max_f32_e32 v1, v1, v1
	;; [unrolled: 1-line block ×3, first 2 shown]
	s_mov_b64 s[40:41], 0
.LBB4_720:                              ;   in Loop: Header=BB4_354 Depth=4
	s_and_b64 vcc, exec, s[40:41]
	s_cbranch_vccz .LBB4_734
; %bb.721:                              ;   in Loop: Header=BB4_354 Depth=4
	v_mov_b32_e32 v2, 0
	v_mov_b32_e32 v1, 0
	s_and_saveexec_b64 s[40:41], s[28:29]
	s_cbranch_execz .LBB4_727
; %bb.722:                              ;   in Loop: Header=BB4_354 Depth=4
	v_cmp_ne_u16_sdwa vcc, v22, s80 src0_sel:BYTE_0 src1_sel:DWORD
	v_bfrev_b32_e32 v1, 1
	s_and_saveexec_b64 s[28:29], vcc
	s_cbranch_execz .LBB4_726
; %bb.723:                              ;   in Loop: Header=BB4_354 Depth=4
	v_and_b32_e32 v0, 0x7f, v22
	v_cmp_ne_u32_e32 vcc, s81, v0
	v_mov_b32_e32 v1, 0x7f800001
	s_and_saveexec_b64 s[38:39], vcc
	s_cbranch_execz .LBB4_725
; %bb.724:                              ;   in Loop: Header=BB4_354 Depth=4
	v_and_b32_e32 v1, 7, v22
	v_lshrrev_b32_e32 v4, 3, v0
	v_cmp_gt_u32_e32 vcc, 8, v0
	v_ffbh_u32_e32 v0, v1
	v_min_u32_e32 v0, 32, v0
	v_subrev_u32_e32 v1, 28, v0
	v_sub_u32_e32 v0, 29, v0
	v_cndmask_b32_e32 v4, v4, v0, vcc
	v_cndmask_b32_e32 v0, 0, v1, vcc
	v_lshlrev_b64 v[0:1], v0, v[22:23]
	v_lshlrev_b32_e32 v1, 24, v22
	v_lshlrev_b32_e32 v0, 20, v0
	v_and_b32_e32 v0, 0x700000, v0
	v_and_b32_e32 v1, 0x80000000, v1
	v_lshl_add_u32 v4, v4, 23, v54
	v_or3_b32 v1, v1, v4, v0
.LBB4_725:                              ;   in Loop: Header=BB4_354 Depth=4
	s_or_b64 exec, exec, s[38:39]
.LBB4_726:                              ;   in Loop: Header=BB4_354 Depth=4
	s_or_b64 exec, exec, s[28:29]
.LBB4_727:                              ;   in Loop: Header=BB4_354 Depth=4
	s_or_b64 exec, exec, s[40:41]
	v_cmp_ne_u16_sdwa s[40:41], v18, v3 src0_sel:BYTE_0 src1_sel:DWORD
	s_and_saveexec_b64 s[28:29], s[40:41]
	s_cbranch_execz .LBB4_733
; %bb.728:                              ;   in Loop: Header=BB4_354 Depth=4
	v_cmp_ne_u16_sdwa vcc, v18, s80 src0_sel:BYTE_0 src1_sel:DWORD
	v_bfrev_b32_e32 v2, 1
	s_and_saveexec_b64 s[40:41], vcc
	s_cbranch_execz .LBB4_732
; %bb.729:                              ;   in Loop: Header=BB4_354 Depth=4
	v_and_b32_e32 v0, 0x7f, v18
	v_cmp_ne_u32_e32 vcc, s81, v0
	v_mov_b32_e32 v2, 0x7f800001
	s_and_saveexec_b64 s[38:39], vcc
	s_cbranch_execz .LBB4_731
; %bb.730:                              ;   in Loop: Header=BB4_354 Depth=4
	v_and_b32_e32 v2, 7, v18
	v_lshrrev_b32_e32 v4, 3, v0
	v_cmp_gt_u32_e32 vcc, 8, v0
	v_ffbh_u32_e32 v0, v2
	v_min_u32_e32 v0, 32, v0
	v_subrev_u32_e32 v2, 28, v0
	v_sub_u32_e32 v0, 29, v0
	v_cndmask_b32_e32 v2, 0, v2, vcc
	v_cndmask_b32_e32 v0, v4, v0, vcc
	v_lshlrev_b64 v[4:5], v2, v[18:19]
	v_lshl_add_u32 v0, v0, 23, v54
	v_lshlrev_b32_e32 v2, 20, v4
	v_lshlrev_b32_e32 v4, 24, v18
	v_and_b32_e32 v2, 0x700000, v2
	v_and_b32_e32 v4, 0x80000000, v4
	v_or3_b32 v2, v4, v0, v2
.LBB4_731:                              ;   in Loop: Header=BB4_354 Depth=4
	s_or_b64 exec, exec, s[38:39]
.LBB4_732:                              ;   in Loop: Header=BB4_354 Depth=4
	s_or_b64 exec, exec, s[40:41]
.LBB4_733:                              ;   in Loop: Header=BB4_354 Depth=4
	s_or_b64 exec, exec, s[28:29]
	v_max_f32_e32 v0, v2, v2
	v_max_f32_e32 v1, v1, v1
	v_min_f32_e32 v4, v1, v0
.LBB4_734:                              ;   in Loop: Header=BB4_354 Depth=4
	v_and_b32_e32 v2, 0x7f800000, v4
	v_cmp_ne_u64_e32 vcc, s[76:77], v[2:3]
                                        ; implicit-def: $vgpr34
	s_and_saveexec_b64 s[28:29], vcc
	s_xor_b64 s[40:41], exec, s[28:29]
	s_cbranch_execz .LBB4_748
; %bb.735:                              ;   in Loop: Header=BB4_354 Depth=4
	v_and_b32_e32 v2, 0x7fffffff, v4
	v_cmp_gt_u64_e32 vcc, s[78:79], v[2:3]
	v_and_b32_sdwa v1, v4, s80 dst_sel:DWORD dst_unused:UNUSED_PAD src0_sel:BYTE_3 src1_sel:DWORD
                                        ; implicit-def: $vgpr34
	s_and_saveexec_b64 s[28:29], vcc
	s_xor_b64 s[38:39], exec, s[28:29]
	s_cbranch_execz .LBB4_745
; %bb.736:                              ;   in Loop: Header=BB4_354 Depth=4
	v_mov_b32_e32 v34, 0
	v_cmp_ne_u32_e32 vcc, 0, v4
	s_and_saveexec_b64 s[48:49], vcc
	s_cbranch_execz .LBB4_744
; %bb.737:                              ;   in Loop: Header=BB4_354 Depth=4
	v_bfe_u32 v6, v4, 23, 8
	v_cmp_gt_u32_e64 s[28:29], s83, v6
	v_sub_u32_e32 v2, 0x79, v6
	v_and_b32_e32 v0, 0x7fffff, v4
	v_cmp_eq_u32_e32 vcc, 0, v6
	v_cndmask_b32_e64 v2, 0, v2, s[28:29]
	v_mov_b32_e32 v5, 0x78
	v_or_b32_e32 v4, 0x800000, v0
	v_cndmask_b32_e32 v20, v2, v5, vcc
	v_cndmask_b32_e32 v2, v4, v0, vcc
	v_add_u32_e32 v0, 20, v20
	v_lshlrev_b64 v[4:5], v0, -1
	v_add_u32_e32 v0, 19, v20
	v_lshlrev_b64 v[16:17], v0, 1
	v_bfi_b32 v5, v5, 0, 0
	v_bfi_b32 v4, v4, 0, v2
	v_cmp_eq_u64_e64 s[28:29], v[4:5], v[16:17]
	v_lshrrev_b64 v[16:17], v20, v[2:3]
	v_mov_b32_e32 v4, v16
	v_mov_b32_e32 v5, v17
	s_and_saveexec_b64 s[50:51], s[28:29]
; %bb.738:                              ;   in Loop: Header=BB4_354 Depth=4
	v_bfe_u32 v0, v16, 20, 1
	v_add_co_u32_e64 v0, s[28:29], v16, v0
	v_add_co_u32_e64 v4, s[28:29], -1, v0
; %bb.739:                              ;   in Loop: Header=BB4_354 Depth=4
	s_or_b64 exec, exec, s[50:51]
	v_add_u32_e32 v0, 0xffffff81, v6
	v_mov_b32_e32 v2, 0xffffff82
	v_cndmask_b32_e32 v0, v0, v2, vcc
	v_lshrrev_b32_e32 v2, 23, v16
	v_add3_u32 v5, v20, v0, v2
	v_add_u32_e32 v0, 6, v5
	v_and_b32_e32 v2, 0xfffff, v4
	v_add_u32_e32 v2, v2, v16
	v_cmp_ne_u32_e32 vcc, 0, v0
                                        ; implicit-def: $vgpr16_vgpr17
                                        ; implicit-def: $vgpr4
	s_and_saveexec_b64 s[28:29], vcc
	s_xor_b64 s[28:29], exec, s[28:29]
; %bb.740:                              ;   in Loop: Header=BB4_354 Depth=4
	v_cmp_lt_u64_e32 vcc, s[88:89], v[2:3]
	v_add_u32_e32 v4, 7, v5
	v_cndmask_b32_e32 v4, v0, v4, vcc
	v_cndmask_b32_e64 v0, 0, 1, vcc
	v_lshrrev_b64 v[16:17], v0, v[2:3]
; %bb.741:                              ;   in Loop: Header=BB4_354 Depth=4
	s_andn2_saveexec_b64 s[28:29], s[28:29]
; %bb.742:                              ;   in Loop: Header=BB4_354 Depth=4
	v_mov_b32_e32 v17, v3
	v_bfe_u32 v4, v2, 23, 1
	v_mov_b32_e32 v16, v2
; %bb.743:                              ;   in Loop: Header=BB4_354 Depth=4
	s_or_b64 exec, exec, s[28:29]
	v_lshrrev_b64 v[5:6], 20, v[16:17]
	v_cmp_gt_i32_e32 vcc, 16, v4
	v_cndmask_b32_e32 v6, 0, v6, vcc
	v_cndmask_b32_e32 v5, 7, v5, vcc
	v_min_i32_e32 v0, 15, v4
	v_cmp_eq_u64_e64 s[28:29], 0, v[5:6]
	v_lshlrev_b32_e32 v0, 3, v0
	v_cmp_eq_u32_e32 vcc, 0, v4
	v_and_b32_e32 v0, 0xf8, v0
	v_and_or_b32 v0, v5, 7, v0
	s_and_b64 s[28:29], vcc, s[28:29]
	v_cndmask_b32_e64 v0, v0, 0, s[28:29]
	v_or_b32_e32 v34, v0, v1
.LBB4_744:                              ;   in Loop: Header=BB4_354 Depth=4
	s_or_b64 exec, exec, s[48:49]
                                        ; implicit-def: $vgpr1
.LBB4_745:                              ;   in Loop: Header=BB4_354 Depth=4
	s_andn2_saveexec_b64 s[28:29], s[38:39]
; %bb.746:                              ;   in Loop: Header=BB4_354 Depth=4
	v_or_b32_e32 v34, 0x7e, v1
; %bb.747:                              ;   in Loop: Header=BB4_354 Depth=4
	s_or_b64 exec, exec, s[28:29]
                                        ; implicit-def: $vgpr4
.LBB4_748:                              ;   in Loop: Header=BB4_354 Depth=4
	s_andn2_saveexec_b64 s[28:29], s[40:41]
; %bb.749:                              ;   in Loop: Header=BB4_354 Depth=4
	v_or_b32_sdwa v34, v4, s81 dst_sel:DWORD dst_unused:UNUSED_PAD src0_sel:BYTE_3 src1_sel:DWORD
; %bb.750:                              ;   in Loop: Header=BB4_354 Depth=4
	s_or_b64 exec, exec, s[28:29]
	v_lshrrev_b16_e32 v16, 8, v22
	v_lshrrev_b16_e32 v2, 8, v18
	v_cmp_ne_u16_e64 s[28:29], 0, v16
	s_mov_b64 s[40:41], -1
	s_and_b64 vcc, exec, s[46:47]
                                        ; implicit-def: $vgpr4
	s_cbranch_vccz .LBB4_764
; %bb.751:                              ;   in Loop: Header=BB4_354 Depth=4
	v_mov_b32_e32 v4, 0
	v_mov_b32_e32 v1, 0
	s_and_saveexec_b64 s[40:41], s[28:29]
	s_cbranch_execz .LBB4_757
; %bb.752:                              ;   in Loop: Header=BB4_354 Depth=4
	v_cmp_ne_u16_e32 vcc, s80, v16
	v_bfrev_b32_e32 v1, 1
	s_and_saveexec_b64 s[38:39], vcc
	s_cbranch_execz .LBB4_756
; %bb.753:                              ;   in Loop: Header=BB4_354 Depth=4
	v_and_b32_e32 v0, 0x7f, v16
	v_cmp_ne_u32_e32 vcc, s81, v0
	v_mov_b32_e32 v1, 0x7f800001
	s_and_saveexec_b64 s[48:49], vcc
	s_cbranch_execz .LBB4_755
; %bb.754:                              ;   in Loop: Header=BB4_354 Depth=4
	v_and_b32_e32 v5, 7, v16
	v_lshrrev_b32_e32 v6, 3, v0
	v_cmp_gt_u32_e32 vcc, 8, v0
	v_ffbh_u32_e32 v0, v5
	v_min_u32_e32 v17, 32, v0
	v_subrev_u32_e32 v0, 28, v17
	v_lshlrev_b64 v[0:1], v0, v[16:17]
	v_sub_u32_e32 v1, 29, v17
	v_and_b32_e32 v0, 7, v0
	v_cndmask_b32_e32 v1, v6, v1, vcc
	v_cndmask_b32_e32 v0, v5, v0, vcc
	v_lshlrev_b32_e32 v5, 16, v22
	v_lshlrev_b32_e32 v0, 20, v0
	v_and_b32_e32 v5, 0x80000000, v5
	v_lshl_add_u32 v1, v1, 23, v54
	v_or3_b32 v1, v5, v1, v0
.LBB4_755:                              ;   in Loop: Header=BB4_354 Depth=4
	s_or_b64 exec, exec, s[48:49]
.LBB4_756:                              ;   in Loop: Header=BB4_354 Depth=4
	s_or_b64 exec, exec, s[38:39]
.LBB4_757:                              ;   in Loop: Header=BB4_354 Depth=4
	s_or_b64 exec, exec, s[40:41]
	v_cmp_ne_u16_e32 vcc, 0, v2
	s_and_saveexec_b64 s[40:41], vcc
	s_cbranch_execz .LBB4_763
; %bb.758:                              ;   in Loop: Header=BB4_354 Depth=4
	v_cmp_ne_u16_e32 vcc, s80, v2
	v_bfrev_b32_e32 v4, 1
	s_and_saveexec_b64 s[38:39], vcc
	s_cbranch_execz .LBB4_762
; %bb.759:                              ;   in Loop: Header=BB4_354 Depth=4
	v_and_b32_e32 v0, 0x7f, v2
	v_cmp_ne_u32_e32 vcc, s81, v0
	v_mov_b32_e32 v4, 0x7f800001
	s_and_saveexec_b64 s[48:49], vcc
	s_cbranch_execz .LBB4_761
; %bb.760:                              ;   in Loop: Header=BB4_354 Depth=4
	v_and_b32_e32 v6, 7, v2
	v_lshrrev_b32_e32 v17, 3, v0
	v_cmp_gt_u32_e32 vcc, 8, v0
	v_ffbh_u32_e32 v0, v6
	v_min_u32_e32 v0, 32, v0
	v_subrev_u32_e32 v4, 28, v0
	v_lshlrev_b64 v[4:5], v4, v[2:3]
	v_sub_u32_e32 v0, 29, v0
	v_and_b32_e32 v4, 7, v4
	v_cndmask_b32_e32 v0, v17, v0, vcc
	v_cndmask_b32_e32 v4, v6, v4, vcc
	v_lshlrev_b32_e32 v5, 16, v18
	v_lshlrev_b32_e32 v4, 20, v4
	v_and_b32_e32 v5, 0x80000000, v5
	v_lshl_add_u32 v0, v0, 23, v54
	v_or3_b32 v4, v5, v0, v4
.LBB4_761:                              ;   in Loop: Header=BB4_354 Depth=4
	s_or_b64 exec, exec, s[48:49]
.LBB4_762:                              ;   in Loop: Header=BB4_354 Depth=4
	s_or_b64 exec, exec, s[38:39]
.LBB4_763:                              ;   in Loop: Header=BB4_354 Depth=4
	s_or_b64 exec, exec, s[40:41]
	v_max_f32_e32 v0, v4, v4
	v_max_f32_e32 v1, v1, v1
	;; [unrolled: 1-line block ×3, first 2 shown]
	s_mov_b64 s[40:41], 0
.LBB4_764:                              ;   in Loop: Header=BB4_354 Depth=4
	s_and_b64 vcc, exec, s[40:41]
	s_cbranch_vccz .LBB4_778
; %bb.765:                              ;   in Loop: Header=BB4_354 Depth=4
	v_mov_b32_e32 v4, 0
	v_mov_b32_e32 v1, 0
	s_and_saveexec_b64 s[40:41], s[28:29]
	s_cbranch_execz .LBB4_771
; %bb.766:                              ;   in Loop: Header=BB4_354 Depth=4
	v_cmp_ne_u16_e32 vcc, s80, v16
	v_bfrev_b32_e32 v1, 1
	s_and_saveexec_b64 s[28:29], vcc
	s_cbranch_execz .LBB4_770
; %bb.767:                              ;   in Loop: Header=BB4_354 Depth=4
	v_and_b32_e32 v0, 0x7f, v16
	v_cmp_ne_u32_e32 vcc, s81, v0
	v_mov_b32_e32 v1, 0x7f800001
	s_and_saveexec_b64 s[38:39], vcc
	s_cbranch_execz .LBB4_769
; %bb.768:                              ;   in Loop: Header=BB4_354 Depth=4
	v_and_b32_e32 v5, 7, v16
	v_lshrrev_b32_e32 v6, 3, v0
	v_cmp_gt_u32_e32 vcc, 8, v0
	v_ffbh_u32_e32 v0, v5
	v_min_u32_e32 v17, 32, v0
	v_subrev_u32_e32 v0, 28, v17
	v_lshlrev_b64 v[0:1], v0, v[16:17]
	v_sub_u32_e32 v1, 29, v17
	v_and_b32_e32 v0, 7, v0
	v_cndmask_b32_e32 v1, v6, v1, vcc
	v_cndmask_b32_e32 v0, v5, v0, vcc
	v_lshlrev_b32_e32 v5, 16, v22
	v_lshlrev_b32_e32 v0, 20, v0
	v_and_b32_e32 v5, 0x80000000, v5
	v_lshl_add_u32 v1, v1, 23, v54
	v_or3_b32 v1, v5, v1, v0
.LBB4_769:                              ;   in Loop: Header=BB4_354 Depth=4
	s_or_b64 exec, exec, s[38:39]
.LBB4_770:                              ;   in Loop: Header=BB4_354 Depth=4
	s_or_b64 exec, exec, s[28:29]
.LBB4_771:                              ;   in Loop: Header=BB4_354 Depth=4
	s_or_b64 exec, exec, s[40:41]
	v_cmp_ne_u16_e32 vcc, 0, v2
	s_and_saveexec_b64 s[28:29], vcc
	s_cbranch_execz .LBB4_777
; %bb.772:                              ;   in Loop: Header=BB4_354 Depth=4
	v_cmp_ne_u16_e32 vcc, s80, v2
	v_bfrev_b32_e32 v4, 1
	s_and_saveexec_b64 s[40:41], vcc
	s_cbranch_execz .LBB4_776
; %bb.773:                              ;   in Loop: Header=BB4_354 Depth=4
	v_and_b32_e32 v0, 0x7f, v2
	v_cmp_ne_u32_e32 vcc, s81, v0
	v_mov_b32_e32 v4, 0x7f800001
	s_and_saveexec_b64 s[38:39], vcc
	s_cbranch_execz .LBB4_775
; %bb.774:                              ;   in Loop: Header=BB4_354 Depth=4
	v_and_b32_e32 v6, 7, v2
	v_lshrrev_b32_e32 v16, 3, v0
	v_cmp_gt_u32_e32 vcc, 8, v0
	v_ffbh_u32_e32 v0, v6
	v_min_u32_e32 v0, 32, v0
	v_subrev_u32_e32 v4, 28, v0
	v_lshlrev_b64 v[4:5], v4, v[2:3]
	v_sub_u32_e32 v0, 29, v0
	v_and_b32_e32 v2, 7, v4
	v_cndmask_b32_e32 v0, v16, v0, vcc
	v_cndmask_b32_e32 v2, v6, v2, vcc
	v_lshlrev_b32_e32 v4, 16, v18
	v_lshlrev_b32_e32 v2, 20, v2
	v_and_b32_e32 v4, 0x80000000, v4
	v_lshl_add_u32 v0, v0, 23, v54
	v_or3_b32 v4, v4, v0, v2
.LBB4_775:                              ;   in Loop: Header=BB4_354 Depth=4
	s_or_b64 exec, exec, s[38:39]
.LBB4_776:                              ;   in Loop: Header=BB4_354 Depth=4
	s_or_b64 exec, exec, s[40:41]
.LBB4_777:                              ;   in Loop: Header=BB4_354 Depth=4
	s_or_b64 exec, exec, s[28:29]
	v_max_f32_e32 v0, v4, v4
	v_max_f32_e32 v1, v1, v1
	v_min_f32_e32 v4, v1, v0
.LBB4_778:                              ;   in Loop: Header=BB4_354 Depth=4
	v_and_b32_e32 v2, 0x7f800000, v4
	v_cmp_ne_u64_e32 vcc, s[76:77], v[2:3]
                                        ; implicit-def: $vgpr35
	s_and_saveexec_b64 s[28:29], vcc
	s_xor_b64 s[40:41], exec, s[28:29]
	s_cbranch_execz .LBB4_792
; %bb.779:                              ;   in Loop: Header=BB4_354 Depth=4
	v_and_b32_e32 v2, 0x7fffffff, v4
	v_cmp_gt_u64_e32 vcc, s[78:79], v[2:3]
	v_and_b32_sdwa v1, v4, s80 dst_sel:DWORD dst_unused:UNUSED_PAD src0_sel:BYTE_3 src1_sel:DWORD
                                        ; implicit-def: $vgpr35
	s_and_saveexec_b64 s[28:29], vcc
	s_xor_b64 s[38:39], exec, s[28:29]
	s_cbranch_execz .LBB4_789
; %bb.780:                              ;   in Loop: Header=BB4_354 Depth=4
	v_mov_b32_e32 v35, 0
	v_cmp_ne_u32_e32 vcc, 0, v4
	s_and_saveexec_b64 s[48:49], vcc
	s_cbranch_execz .LBB4_788
; %bb.781:                              ;   in Loop: Header=BB4_354 Depth=4
	v_bfe_u32 v6, v4, 23, 8
	v_cmp_gt_u32_e64 s[28:29], s83, v6
	v_sub_u32_e32 v2, 0x79, v6
	v_and_b32_e32 v0, 0x7fffff, v4
	v_cmp_eq_u32_e32 vcc, 0, v6
	v_cndmask_b32_e64 v2, 0, v2, s[28:29]
	v_mov_b32_e32 v5, 0x78
	v_or_b32_e32 v4, 0x800000, v0
	v_cndmask_b32_e32 v20, v2, v5, vcc
	v_cndmask_b32_e32 v2, v4, v0, vcc
	v_add_u32_e32 v0, 20, v20
	v_lshlrev_b64 v[4:5], v0, -1
	v_add_u32_e32 v0, 19, v20
	v_lshlrev_b64 v[16:17], v0, 1
	v_bfi_b32 v5, v5, 0, 0
	v_bfi_b32 v4, v4, 0, v2
	v_cmp_eq_u64_e64 s[28:29], v[4:5], v[16:17]
	v_lshrrev_b64 v[16:17], v20, v[2:3]
	v_mov_b32_e32 v4, v16
	v_mov_b32_e32 v5, v17
	s_and_saveexec_b64 s[50:51], s[28:29]
; %bb.782:                              ;   in Loop: Header=BB4_354 Depth=4
	v_bfe_u32 v0, v16, 20, 1
	v_add_co_u32_e64 v0, s[28:29], v16, v0
	v_add_co_u32_e64 v4, s[28:29], -1, v0
; %bb.783:                              ;   in Loop: Header=BB4_354 Depth=4
	s_or_b64 exec, exec, s[50:51]
	v_add_u32_e32 v0, 0xffffff81, v6
	v_mov_b32_e32 v2, 0xffffff82
	v_cndmask_b32_e32 v0, v0, v2, vcc
	v_lshrrev_b32_e32 v2, 23, v16
	v_add3_u32 v5, v20, v0, v2
	v_add_u32_e32 v0, 6, v5
	v_and_b32_e32 v2, 0xfffff, v4
	v_add_u32_e32 v2, v2, v16
	v_cmp_ne_u32_e32 vcc, 0, v0
                                        ; implicit-def: $vgpr16_vgpr17
                                        ; implicit-def: $vgpr4
	s_and_saveexec_b64 s[28:29], vcc
	s_xor_b64 s[28:29], exec, s[28:29]
; %bb.784:                              ;   in Loop: Header=BB4_354 Depth=4
	v_cmp_lt_u64_e32 vcc, s[88:89], v[2:3]
	v_add_u32_e32 v4, 7, v5
	v_cndmask_b32_e32 v4, v0, v4, vcc
	v_cndmask_b32_e64 v0, 0, 1, vcc
	v_lshrrev_b64 v[16:17], v0, v[2:3]
; %bb.785:                              ;   in Loop: Header=BB4_354 Depth=4
	s_andn2_saveexec_b64 s[28:29], s[28:29]
; %bb.786:                              ;   in Loop: Header=BB4_354 Depth=4
	v_mov_b32_e32 v17, v3
	v_bfe_u32 v4, v2, 23, 1
	v_mov_b32_e32 v16, v2
; %bb.787:                              ;   in Loop: Header=BB4_354 Depth=4
	s_or_b64 exec, exec, s[28:29]
	v_lshrrev_b64 v[5:6], 20, v[16:17]
	v_cmp_gt_i32_e32 vcc, 16, v4
	v_cndmask_b32_e32 v6, 0, v6, vcc
	v_cndmask_b32_e32 v5, 7, v5, vcc
	v_min_i32_e32 v0, 15, v4
	v_cmp_eq_u64_e64 s[28:29], 0, v[5:6]
	v_lshlrev_b32_e32 v0, 3, v0
	v_cmp_eq_u32_e32 vcc, 0, v4
	v_and_b32_e32 v0, 0xf8, v0
	v_and_or_b32 v0, v5, 7, v0
	s_and_b64 s[28:29], vcc, s[28:29]
	v_cndmask_b32_e64 v0, v0, 0, s[28:29]
	v_or_b32_e32 v35, v0, v1
.LBB4_788:                              ;   in Loop: Header=BB4_354 Depth=4
	s_or_b64 exec, exec, s[48:49]
                                        ; implicit-def: $vgpr1
.LBB4_789:                              ;   in Loop: Header=BB4_354 Depth=4
	s_andn2_saveexec_b64 s[28:29], s[38:39]
; %bb.790:                              ;   in Loop: Header=BB4_354 Depth=4
	v_or_b32_e32 v35, 0x7e, v1
; %bb.791:                              ;   in Loop: Header=BB4_354 Depth=4
	s_or_b64 exec, exec, s[28:29]
                                        ; implicit-def: $vgpr4
.LBB4_792:                              ;   in Loop: Header=BB4_354 Depth=4
	s_andn2_saveexec_b64 s[28:29], s[40:41]
; %bb.793:                              ;   in Loop: Header=BB4_354 Depth=4
	v_or_b32_sdwa v35, v4, s81 dst_sel:DWORD dst_unused:UNUSED_PAD src0_sel:BYTE_3 src1_sel:DWORD
; %bb.794:                              ;   in Loop: Header=BB4_354 Depth=4
	s_or_b64 exec, exec, s[28:29]
	v_lshrrev_b32_e32 v16, 16, v22
	v_lshrrev_b32_e32 v2, 16, v18
	v_cmp_ne_u16_sdwa s[28:29], v16, v3 src0_sel:BYTE_0 src1_sel:DWORD
	s_mov_b64 s[40:41], -1
	s_and_b64 vcc, exec, s[46:47]
                                        ; implicit-def: $vgpr4
	s_cbranch_vccz .LBB4_808
; %bb.795:                              ;   in Loop: Header=BB4_354 Depth=4
	v_mov_b32_e32 v4, 0
	v_mov_b32_e32 v1, 0
	s_and_saveexec_b64 s[40:41], s[28:29]
	s_cbranch_execz .LBB4_801
; %bb.796:                              ;   in Loop: Header=BB4_354 Depth=4
	v_cmp_ne_u16_sdwa vcc, v16, s80 src0_sel:BYTE_0 src1_sel:DWORD
	v_bfrev_b32_e32 v1, 1
	s_and_saveexec_b64 s[38:39], vcc
	s_cbranch_execz .LBB4_800
; %bb.797:                              ;   in Loop: Header=BB4_354 Depth=4
	v_bfe_u32 v0, v22, 16, 7
	v_cmp_ne_u32_e32 vcc, s81, v0
	v_mov_b32_e32 v1, 0x7f800001
	s_and_saveexec_b64 s[48:49], vcc
	s_cbranch_execz .LBB4_799
; %bb.798:                              ;   in Loop: Header=BB4_354 Depth=4
	v_and_b32_e32 v5, 7, v16
	v_lshrrev_b32_e32 v6, 3, v0
	v_cmp_gt_u32_e32 vcc, 8, v0
	v_ffbh_u32_e32 v0, v5
	v_min_u32_e32 v17, 32, v0
	v_subrev_u32_e32 v0, 28, v17
	v_lshlrev_b64 v[0:1], v0, v[16:17]
	v_sub_u32_e32 v1, 29, v17
	v_and_b32_e32 v0, 7, v0
	v_cndmask_b32_e32 v1, v6, v1, vcc
	v_cndmask_b32_e32 v0, v5, v0, vcc
	v_lshlrev_b32_e32 v5, 24, v16
	v_lshlrev_b32_e32 v0, 20, v0
	v_and_b32_e32 v5, 0x80000000, v5
	v_lshl_add_u32 v1, v1, 23, v54
	v_or3_b32 v1, v5, v1, v0
.LBB4_799:                              ;   in Loop: Header=BB4_354 Depth=4
	s_or_b64 exec, exec, s[48:49]
.LBB4_800:                              ;   in Loop: Header=BB4_354 Depth=4
	s_or_b64 exec, exec, s[38:39]
.LBB4_801:                              ;   in Loop: Header=BB4_354 Depth=4
	s_or_b64 exec, exec, s[40:41]
	v_cmp_ne_u16_sdwa vcc, v2, v3 src0_sel:BYTE_0 src1_sel:DWORD
	s_and_saveexec_b64 s[40:41], vcc
	s_cbranch_execz .LBB4_807
; %bb.802:                              ;   in Loop: Header=BB4_354 Depth=4
	v_cmp_ne_u16_sdwa vcc, v2, s80 src0_sel:BYTE_0 src1_sel:DWORD
	v_bfrev_b32_e32 v4, 1
	s_and_saveexec_b64 s[38:39], vcc
	s_cbranch_execz .LBB4_806
; %bb.803:                              ;   in Loop: Header=BB4_354 Depth=4
	v_bfe_u32 v0, v18, 16, 7
	v_cmp_ne_u32_e32 vcc, s81, v0
	v_mov_b32_e32 v4, 0x7f800001
	s_and_saveexec_b64 s[48:49], vcc
	s_cbranch_execz .LBB4_805
; %bb.804:                              ;   in Loop: Header=BB4_354 Depth=4
	v_and_b32_e32 v6, 7, v2
	v_lshrrev_b32_e32 v17, 3, v0
	v_cmp_gt_u32_e32 vcc, 8, v0
	v_ffbh_u32_e32 v0, v6
	v_min_u32_e32 v0, 32, v0
	v_subrev_u32_e32 v4, 28, v0
	v_lshlrev_b64 v[4:5], v4, v[2:3]
	v_sub_u32_e32 v0, 29, v0
	v_and_b32_e32 v4, 7, v4
	v_cndmask_b32_e32 v0, v17, v0, vcc
	v_cndmask_b32_e32 v4, v6, v4, vcc
	v_lshlrev_b32_e32 v5, 24, v2
	v_lshlrev_b32_e32 v4, 20, v4
	v_and_b32_e32 v5, 0x80000000, v5
	v_lshl_add_u32 v0, v0, 23, v54
	v_or3_b32 v4, v5, v0, v4
.LBB4_805:                              ;   in Loop: Header=BB4_354 Depth=4
	s_or_b64 exec, exec, s[48:49]
.LBB4_806:                              ;   in Loop: Header=BB4_354 Depth=4
	s_or_b64 exec, exec, s[38:39]
.LBB4_807:                              ;   in Loop: Header=BB4_354 Depth=4
	s_or_b64 exec, exec, s[40:41]
	v_max_f32_e32 v0, v4, v4
	v_max_f32_e32 v1, v1, v1
	;; [unrolled: 1-line block ×3, first 2 shown]
	s_mov_b64 s[40:41], 0
.LBB4_808:                              ;   in Loop: Header=BB4_354 Depth=4
	s_and_b64 vcc, exec, s[40:41]
	s_cbranch_vccz .LBB4_822
; %bb.809:                              ;   in Loop: Header=BB4_354 Depth=4
	v_mov_b32_e32 v4, 0
	v_mov_b32_e32 v1, 0
	s_and_saveexec_b64 s[40:41], s[28:29]
	s_cbranch_execz .LBB4_815
; %bb.810:                              ;   in Loop: Header=BB4_354 Depth=4
	v_cmp_ne_u16_sdwa vcc, v16, s80 src0_sel:BYTE_0 src1_sel:DWORD
	v_bfrev_b32_e32 v1, 1
	s_and_saveexec_b64 s[28:29], vcc
	s_cbranch_execz .LBB4_814
; %bb.811:                              ;   in Loop: Header=BB4_354 Depth=4
	v_bfe_u32 v0, v22, 16, 7
	v_cmp_ne_u32_e32 vcc, s81, v0
	v_mov_b32_e32 v1, 0x7f800001
	s_and_saveexec_b64 s[38:39], vcc
	s_cbranch_execz .LBB4_813
; %bb.812:                              ;   in Loop: Header=BB4_354 Depth=4
	v_and_b32_e32 v5, 7, v16
	v_lshrrev_b32_e32 v6, 3, v0
	v_cmp_gt_u32_e32 vcc, 8, v0
	v_ffbh_u32_e32 v0, v5
	v_min_u32_e32 v17, 32, v0
	v_subrev_u32_e32 v0, 28, v17
	v_lshlrev_b64 v[0:1], v0, v[16:17]
	v_sub_u32_e32 v1, 29, v17
	v_and_b32_e32 v0, 7, v0
	v_cndmask_b32_e32 v1, v6, v1, vcc
	v_cndmask_b32_e32 v0, v5, v0, vcc
	v_lshlrev_b32_e32 v5, 24, v16
	v_lshlrev_b32_e32 v0, 20, v0
	v_and_b32_e32 v5, 0x80000000, v5
	v_lshl_add_u32 v1, v1, 23, v54
	v_or3_b32 v1, v5, v1, v0
.LBB4_813:                              ;   in Loop: Header=BB4_354 Depth=4
	s_or_b64 exec, exec, s[38:39]
.LBB4_814:                              ;   in Loop: Header=BB4_354 Depth=4
	s_or_b64 exec, exec, s[28:29]
.LBB4_815:                              ;   in Loop: Header=BB4_354 Depth=4
	s_or_b64 exec, exec, s[40:41]
	v_cmp_ne_u16_sdwa s[40:41], v2, v3 src0_sel:BYTE_0 src1_sel:DWORD
	s_and_saveexec_b64 s[28:29], s[40:41]
	s_cbranch_execz .LBB4_821
; %bb.816:                              ;   in Loop: Header=BB4_354 Depth=4
	v_cmp_ne_u16_sdwa vcc, v2, s80 src0_sel:BYTE_0 src1_sel:DWORD
	v_bfrev_b32_e32 v4, 1
	s_and_saveexec_b64 s[40:41], vcc
	s_cbranch_execz .LBB4_820
; %bb.817:                              ;   in Loop: Header=BB4_354 Depth=4
	v_bfe_u32 v0, v18, 16, 7
	v_cmp_ne_u32_e32 vcc, s81, v0
	v_mov_b32_e32 v4, 0x7f800001
	s_and_saveexec_b64 s[38:39], vcc
	s_cbranch_execz .LBB4_819
; %bb.818:                              ;   in Loop: Header=BB4_354 Depth=4
	v_and_b32_e32 v6, 7, v2
	v_lshrrev_b32_e32 v16, 3, v0
	v_cmp_gt_u32_e32 vcc, 8, v0
	v_ffbh_u32_e32 v0, v6
	v_min_u32_e32 v0, 32, v0
	v_subrev_u32_e32 v4, 28, v0
	v_lshlrev_b64 v[4:5], v4, v[2:3]
	v_sub_u32_e32 v0, 29, v0
	v_and_b32_e32 v4, 7, v4
	v_cndmask_b32_e32 v0, v16, v0, vcc
	v_cndmask_b32_e32 v4, v6, v4, vcc
	v_lshlrev_b32_e32 v2, 24, v2
	v_lshlrev_b32_e32 v4, 20, v4
	v_and_b32_e32 v2, 0x80000000, v2
	v_lshl_add_u32 v0, v0, 23, v54
	v_or3_b32 v4, v2, v0, v4
.LBB4_819:                              ;   in Loop: Header=BB4_354 Depth=4
	s_or_b64 exec, exec, s[38:39]
.LBB4_820:                              ;   in Loop: Header=BB4_354 Depth=4
	s_or_b64 exec, exec, s[40:41]
.LBB4_821:                              ;   in Loop: Header=BB4_354 Depth=4
	s_or_b64 exec, exec, s[28:29]
	v_max_f32_e32 v0, v4, v4
	v_max_f32_e32 v1, v1, v1
	v_min_f32_e32 v4, v1, v0
.LBB4_822:                              ;   in Loop: Header=BB4_354 Depth=4
	v_and_b32_e32 v2, 0x7f800000, v4
	v_cmp_ne_u64_e32 vcc, s[76:77], v[2:3]
                                        ; implicit-def: $vgpr1
	s_and_saveexec_b64 s[28:29], vcc
	s_xor_b64 s[40:41], exec, s[28:29]
	s_cbranch_execz .LBB4_836
; %bb.823:                              ;   in Loop: Header=BB4_354 Depth=4
	v_and_b32_e32 v2, 0x7fffffff, v4
	v_cmp_gt_u64_e32 vcc, s[78:79], v[2:3]
	v_and_b32_sdwa v6, v4, s80 dst_sel:DWORD dst_unused:UNUSED_PAD src0_sel:BYTE_3 src1_sel:DWORD
                                        ; implicit-def: $vgpr1
	s_and_saveexec_b64 s[28:29], vcc
	s_xor_b64 s[38:39], exec, s[28:29]
	s_cbranch_execz .LBB4_833
; %bb.824:                              ;   in Loop: Header=BB4_354 Depth=4
	v_mov_b32_e32 v1, 0
	v_cmp_ne_u32_e32 vcc, 0, v4
	s_and_saveexec_b64 s[48:49], vcc
	s_cbranch_execz .LBB4_832
; %bb.825:                              ;   in Loop: Header=BB4_354 Depth=4
	v_bfe_u32 v1, v4, 23, 8
	v_cmp_gt_u32_e64 s[28:29], s83, v1
	v_sub_u32_e32 v2, 0x79, v1
	v_and_b32_e32 v0, 0x7fffff, v4
	v_cmp_eq_u32_e32 vcc, 0, v1
	v_cndmask_b32_e64 v2, 0, v2, s[28:29]
	v_mov_b32_e32 v5, 0x78
	v_or_b32_e32 v4, 0x800000, v0
	v_cndmask_b32_e32 v20, v2, v5, vcc
	v_cndmask_b32_e32 v2, v4, v0, vcc
	v_add_u32_e32 v0, 20, v20
	v_lshlrev_b64 v[4:5], v0, -1
	v_add_u32_e32 v0, 19, v20
	v_lshlrev_b64 v[16:17], v0, 1
	v_bfi_b32 v5, v5, 0, 0
	v_bfi_b32 v4, v4, 0, v2
	v_cmp_eq_u64_e64 s[28:29], v[4:5], v[16:17]
	v_lshrrev_b64 v[16:17], v20, v[2:3]
	v_mov_b32_e32 v4, v16
	v_mov_b32_e32 v5, v17
	s_and_saveexec_b64 s[50:51], s[28:29]
; %bb.826:                              ;   in Loop: Header=BB4_354 Depth=4
	v_bfe_u32 v0, v16, 20, 1
	v_add_co_u32_e64 v0, s[28:29], v16, v0
	v_add_co_u32_e64 v4, s[28:29], -1, v0
; %bb.827:                              ;   in Loop: Header=BB4_354 Depth=4
	s_or_b64 exec, exec, s[50:51]
	v_add_u32_e32 v0, 0xffffff81, v1
	v_mov_b32_e32 v1, 0xffffff82
	v_cndmask_b32_e32 v0, v0, v1, vcc
	v_lshrrev_b32_e32 v1, 23, v16
	v_add3_u32 v5, v20, v0, v1
	v_add_u32_e32 v0, 6, v5
	v_and_b32_e32 v1, 0xfffff, v4
	v_add_u32_e32 v2, v1, v16
	v_cmp_ne_u32_e32 vcc, 0, v0
                                        ; implicit-def: $vgpr16_vgpr17
                                        ; implicit-def: $vgpr1
	s_and_saveexec_b64 s[28:29], vcc
	s_xor_b64 s[28:29], exec, s[28:29]
; %bb.828:                              ;   in Loop: Header=BB4_354 Depth=4
	v_cmp_lt_u64_e32 vcc, s[88:89], v[2:3]
	v_add_u32_e32 v1, 7, v5
	v_cndmask_b32_e32 v1, v0, v1, vcc
	v_cndmask_b32_e64 v0, 0, 1, vcc
	v_lshrrev_b64 v[16:17], v0, v[2:3]
; %bb.829:                              ;   in Loop: Header=BB4_354 Depth=4
	s_andn2_saveexec_b64 s[28:29], s[28:29]
; %bb.830:                              ;   in Loop: Header=BB4_354 Depth=4
	v_mov_b32_e32 v17, v3
	v_bfe_u32 v1, v2, 23, 1
	v_mov_b32_e32 v16, v2
; %bb.831:                              ;   in Loop: Header=BB4_354 Depth=4
	s_or_b64 exec, exec, s[28:29]
	v_lshrrev_b64 v[4:5], 20, v[16:17]
	v_cmp_gt_i32_e32 vcc, 16, v1
	v_cndmask_b32_e32 v5, 0, v5, vcc
	v_cndmask_b32_e32 v4, 7, v4, vcc
	v_min_i32_e32 v0, 15, v1
	v_cmp_eq_u64_e64 s[28:29], 0, v[4:5]
	v_lshlrev_b32_e32 v0, 3, v0
	v_cmp_eq_u32_e32 vcc, 0, v1
	v_and_b32_e32 v0, 0xf8, v0
	v_and_or_b32 v0, v4, 7, v0
	s_and_b64 s[28:29], vcc, s[28:29]
	v_cndmask_b32_e64 v0, v0, 0, s[28:29]
	v_or_b32_e32 v1, v0, v6
.LBB4_832:                              ;   in Loop: Header=BB4_354 Depth=4
	s_or_b64 exec, exec, s[48:49]
                                        ; implicit-def: $vgpr6
.LBB4_833:                              ;   in Loop: Header=BB4_354 Depth=4
	s_andn2_saveexec_b64 s[28:29], s[38:39]
; %bb.834:                              ;   in Loop: Header=BB4_354 Depth=4
	v_or_b32_e32 v1, 0x7e, v6
; %bb.835:                              ;   in Loop: Header=BB4_354 Depth=4
	s_or_b64 exec, exec, s[28:29]
                                        ; implicit-def: $vgpr4
.LBB4_836:                              ;   in Loop: Header=BB4_354 Depth=4
	s_andn2_saveexec_b64 s[28:29], s[40:41]
; %bb.837:                              ;   in Loop: Header=BB4_354 Depth=4
	v_or_b32_sdwa v1, v4, s81 dst_sel:DWORD dst_unused:UNUSED_PAD src0_sel:BYTE_3 src1_sel:DWORD
; %bb.838:                              ;   in Loop: Header=BB4_354 Depth=4
	s_or_b64 exec, exec, s[28:29]
	v_lshrrev_b32_e32 v16, 24, v22
	v_lshrrev_b32_e32 v2, 24, v18
	v_cmp_lt_u32_e64 s[28:29], s63, v22
	s_mov_b64 s[40:41], -1
	s_and_b64 vcc, exec, s[46:47]
                                        ; implicit-def: $vgpr4
	s_cbranch_vccz .LBB4_852
; %bb.839:                              ;   in Loop: Header=BB4_354 Depth=4
	v_mov_b32_e32 v5, 0
	v_mov_b32_e32 v4, 0
	s_and_saveexec_b64 s[40:41], s[28:29]
	s_cbranch_execz .LBB4_845
; %bb.840:                              ;   in Loop: Header=BB4_354 Depth=4
	v_cmp_ne_u32_e32 vcc, s80, v16
	v_bfrev_b32_e32 v4, 1
	s_and_saveexec_b64 s[38:39], vcc
	s_cbranch_execz .LBB4_844
; %bb.841:                              ;   in Loop: Header=BB4_354 Depth=4
	v_bfe_u32 v0, v22, 24, 7
	v_cmp_ne_u32_e32 vcc, s81, v0
	v_mov_b32_e32 v4, 0x7f800001
	s_and_saveexec_b64 s[48:49], vcc
	s_cbranch_execz .LBB4_843
; %bb.842:                              ;   in Loop: Header=BB4_354 Depth=4
	v_and_b32_e32 v4, 7, v16
	v_lshrrev_b32_e32 v6, 3, v0
	v_cmp_gt_u32_e32 vcc, 8, v0
	v_ffbh_u32_e32 v0, v4
	v_min_u32_e32 v0, 32, v0
	v_subrev_u32_e32 v17, 28, v0
	v_lshlrev_b64 v[20:21], v17, v[16:17]
	v_sub_u32_e32 v0, 29, v0
	v_and_b32_e32 v17, 7, v20
	v_cndmask_b32_e32 v0, v6, v0, vcc
	v_cndmask_b32_e32 v4, v4, v17, vcc
	v_lshlrev_b32_e32 v6, 24, v16
	v_lshlrev_b32_e32 v4, 20, v4
	v_and_b32_e32 v6, 0x80000000, v6
	v_lshl_add_u32 v0, v0, 23, v54
	v_or3_b32 v4, v6, v0, v4
.LBB4_843:                              ;   in Loop: Header=BB4_354 Depth=4
	s_or_b64 exec, exec, s[48:49]
.LBB4_844:                              ;   in Loop: Header=BB4_354 Depth=4
	s_or_b64 exec, exec, s[38:39]
.LBB4_845:                              ;   in Loop: Header=BB4_354 Depth=4
	s_or_b64 exec, exec, s[40:41]
	v_cmp_lt_u32_e32 vcc, s63, v18
	s_and_saveexec_b64 s[40:41], vcc
	s_cbranch_execz .LBB4_851
; %bb.846:                              ;   in Loop: Header=BB4_354 Depth=4
	v_cmp_ne_u32_e32 vcc, s80, v2
	v_bfrev_b32_e32 v5, 1
	s_and_saveexec_b64 s[38:39], vcc
	s_cbranch_execz .LBB4_850
; %bb.847:                              ;   in Loop: Header=BB4_354 Depth=4
	v_bfe_u32 v0, v18, 24, 7
	v_cmp_ne_u32_e32 vcc, s81, v0
	v_mov_b32_e32 v5, 0x7f800001
	s_and_saveexec_b64 s[48:49], vcc
	s_cbranch_execz .LBB4_849
; %bb.848:                              ;   in Loop: Header=BB4_354 Depth=4
	v_and_b32_e32 v17, 7, v2
	v_lshrrev_b32_e32 v20, 3, v0
	v_cmp_gt_u32_e32 vcc, 8, v0
	v_ffbh_u32_e32 v0, v17
	v_min_u32_e32 v0, 32, v0
	v_subrev_u32_e32 v5, 28, v0
	v_lshlrev_b64 v[5:6], v5, v[2:3]
	v_sub_u32_e32 v0, 29, v0
	v_and_b32_e32 v5, 7, v5
	v_cndmask_b32_e32 v0, v20, v0, vcc
	v_cndmask_b32_e32 v5, v17, v5, vcc
	v_lshlrev_b32_e32 v6, 24, v2
	v_lshlrev_b32_e32 v5, 20, v5
	v_and_b32_e32 v6, 0x80000000, v6
	v_lshl_add_u32 v0, v0, 23, v54
	v_or3_b32 v5, v6, v0, v5
.LBB4_849:                              ;   in Loop: Header=BB4_354 Depth=4
	s_or_b64 exec, exec, s[48:49]
.LBB4_850:                              ;   in Loop: Header=BB4_354 Depth=4
	s_or_b64 exec, exec, s[38:39]
.LBB4_851:                              ;   in Loop: Header=BB4_354 Depth=4
	s_or_b64 exec, exec, s[40:41]
	v_max_f32_e32 v0, v5, v5
	v_max_f32_e32 v4, v4, v4
	;; [unrolled: 1-line block ×3, first 2 shown]
	s_mov_b64 s[40:41], 0
.LBB4_852:                              ;   in Loop: Header=BB4_354 Depth=4
	s_and_b64 vcc, exec, s[40:41]
	s_cbranch_vccz .LBB4_866
; %bb.853:                              ;   in Loop: Header=BB4_354 Depth=4
	v_mov_b32_e32 v5, 0
	v_mov_b32_e32 v4, 0
	s_and_saveexec_b64 s[40:41], s[28:29]
	s_cbranch_execz .LBB4_859
; %bb.854:                              ;   in Loop: Header=BB4_354 Depth=4
	v_cmp_ne_u32_e32 vcc, s80, v16
	v_bfrev_b32_e32 v4, 1
	s_and_saveexec_b64 s[28:29], vcc
	s_cbranch_execz .LBB4_858
; %bb.855:                              ;   in Loop: Header=BB4_354 Depth=4
	v_bfe_u32 v0, v22, 24, 7
	v_cmp_ne_u32_e32 vcc, s81, v0
	v_mov_b32_e32 v4, 0x7f800001
	s_and_saveexec_b64 s[38:39], vcc
	s_cbranch_execz .LBB4_857
; %bb.856:                              ;   in Loop: Header=BB4_354 Depth=4
	v_and_b32_e32 v4, 7, v16
	v_lshrrev_b32_e32 v6, 3, v0
	v_cmp_gt_u32_e32 vcc, 8, v0
	v_ffbh_u32_e32 v0, v4
	v_min_u32_e32 v0, 32, v0
	v_subrev_u32_e32 v17, 28, v0
	v_lshlrev_b64 v[20:21], v17, v[16:17]
	v_sub_u32_e32 v0, 29, v0
	v_and_b32_e32 v17, 7, v20
	v_cndmask_b32_e32 v0, v6, v0, vcc
	v_cndmask_b32_e32 v4, v4, v17, vcc
	v_lshlrev_b32_e32 v6, 24, v16
	v_lshlrev_b32_e32 v4, 20, v4
	v_and_b32_e32 v6, 0x80000000, v6
	v_lshl_add_u32 v0, v0, 23, v54
	v_or3_b32 v4, v6, v0, v4
.LBB4_857:                              ;   in Loop: Header=BB4_354 Depth=4
	s_or_b64 exec, exec, s[38:39]
.LBB4_858:                              ;   in Loop: Header=BB4_354 Depth=4
	s_or_b64 exec, exec, s[28:29]
.LBB4_859:                              ;   in Loop: Header=BB4_354 Depth=4
	s_or_b64 exec, exec, s[40:41]
	v_cmp_lt_u32_e32 vcc, s63, v18
	s_and_saveexec_b64 s[28:29], vcc
	s_cbranch_execz .LBB4_865
; %bb.860:                              ;   in Loop: Header=BB4_354 Depth=4
	v_cmp_ne_u32_e32 vcc, s80, v2
	v_bfrev_b32_e32 v5, 1
	s_and_saveexec_b64 s[40:41], vcc
	s_cbranch_execz .LBB4_864
; %bb.861:                              ;   in Loop: Header=BB4_354 Depth=4
	v_bfe_u32 v0, v18, 24, 7
	v_cmp_ne_u32_e32 vcc, s81, v0
	v_mov_b32_e32 v5, 0x7f800001
	s_and_saveexec_b64 s[38:39], vcc
	s_cbranch_execz .LBB4_863
; %bb.862:                              ;   in Loop: Header=BB4_354 Depth=4
	v_and_b32_e32 v16, 7, v2
	v_lshrrev_b32_e32 v17, 3, v0
	v_cmp_gt_u32_e32 vcc, 8, v0
	v_ffbh_u32_e32 v0, v16
	v_min_u32_e32 v0, 32, v0
	v_subrev_u32_e32 v5, 28, v0
	v_lshlrev_b64 v[5:6], v5, v[2:3]
	v_sub_u32_e32 v0, 29, v0
	v_and_b32_e32 v5, 7, v5
	v_cndmask_b32_e32 v0, v17, v0, vcc
	v_cndmask_b32_e32 v5, v16, v5, vcc
	v_lshlrev_b32_e32 v2, 24, v2
	v_lshlrev_b32_e32 v5, 20, v5
	v_and_b32_e32 v2, 0x80000000, v2
	v_lshl_add_u32 v0, v0, 23, v54
	v_or3_b32 v5, v2, v0, v5
.LBB4_863:                              ;   in Loop: Header=BB4_354 Depth=4
	s_or_b64 exec, exec, s[38:39]
.LBB4_864:                              ;   in Loop: Header=BB4_354 Depth=4
	s_or_b64 exec, exec, s[40:41]
.LBB4_865:                              ;   in Loop: Header=BB4_354 Depth=4
	s_or_b64 exec, exec, s[28:29]
	v_max_f32_e32 v0, v5, v5
	v_max_f32_e32 v2, v4, v4
	v_min_f32_e32 v4, v2, v0
.LBB4_866:                              ;   in Loop: Header=BB4_354 Depth=4
	v_and_b32_e32 v2, 0x7f800000, v4
	v_cmp_ne_u64_e32 vcc, s[76:77], v[2:3]
                                        ; implicit-def: $vgpr36
	s_and_saveexec_b64 s[28:29], vcc
	s_xor_b64 s[40:41], exec, s[28:29]
	s_cbranch_execz .LBB4_880
; %bb.867:                              ;   in Loop: Header=BB4_354 Depth=4
	v_and_b32_e32 v2, 0x7fffffff, v4
	v_cmp_gt_u64_e32 vcc, s[78:79], v[2:3]
	v_and_b32_sdwa v6, v4, s80 dst_sel:DWORD dst_unused:UNUSED_PAD src0_sel:BYTE_3 src1_sel:DWORD
                                        ; implicit-def: $vgpr36
	s_and_saveexec_b64 s[28:29], vcc
	s_xor_b64 s[38:39], exec, s[28:29]
	s_cbranch_execz .LBB4_877
; %bb.868:                              ;   in Loop: Header=BB4_354 Depth=4
	v_mov_b32_e32 v36, 0
	v_cmp_ne_u32_e32 vcc, 0, v4
	s_and_saveexec_b64 s[48:49], vcc
	s_cbranch_execz .LBB4_876
; %bb.869:                              ;   in Loop: Header=BB4_354 Depth=4
	v_bfe_u32 v20, v4, 23, 8
	v_cmp_gt_u32_e64 s[28:29], s83, v20
	v_sub_u32_e32 v2, 0x79, v20
	v_and_b32_e32 v0, 0x7fffff, v4
	v_cmp_eq_u32_e32 vcc, 0, v20
	v_cndmask_b32_e64 v2, 0, v2, s[28:29]
	v_mov_b32_e32 v5, 0x78
	v_or_b32_e32 v4, 0x800000, v0
	v_cndmask_b32_e32 v21, v2, v5, vcc
	v_cndmask_b32_e32 v2, v4, v0, vcc
	v_add_u32_e32 v0, 20, v21
	v_lshlrev_b64 v[4:5], v0, -1
	v_add_u32_e32 v0, 19, v21
	v_lshlrev_b64 v[16:17], v0, 1
	v_bfi_b32 v5, v5, 0, 0
	v_bfi_b32 v4, v4, 0, v2
	v_cmp_eq_u64_e64 s[28:29], v[4:5], v[16:17]
	v_lshrrev_b64 v[16:17], v21, v[2:3]
	v_mov_b32_e32 v4, v16
	v_mov_b32_e32 v5, v17
	s_and_saveexec_b64 s[50:51], s[28:29]
; %bb.870:                              ;   in Loop: Header=BB4_354 Depth=4
	v_bfe_u32 v0, v16, 20, 1
	v_add_co_u32_e64 v0, s[28:29], v16, v0
	v_add_co_u32_e64 v4, s[28:29], -1, v0
; %bb.871:                              ;   in Loop: Header=BB4_354 Depth=4
	s_or_b64 exec, exec, s[50:51]
	v_add_u32_e32 v0, 0xffffff81, v20
	v_mov_b32_e32 v2, 0xffffff82
	v_cndmask_b32_e32 v0, v0, v2, vcc
	v_lshrrev_b32_e32 v2, 23, v16
	v_add3_u32 v5, v21, v0, v2
	v_add_u32_e32 v0, 6, v5
	v_and_b32_e32 v2, 0xfffff, v4
	v_add_u32_e32 v2, v2, v16
	v_cmp_ne_u32_e32 vcc, 0, v0
                                        ; implicit-def: $vgpr16_vgpr17
                                        ; implicit-def: $vgpr4
	s_and_saveexec_b64 s[28:29], vcc
	s_xor_b64 s[28:29], exec, s[28:29]
; %bb.872:                              ;   in Loop: Header=BB4_354 Depth=4
	v_cmp_lt_u64_e32 vcc, s[88:89], v[2:3]
	v_add_u32_e32 v4, 7, v5
	v_cndmask_b32_e32 v4, v0, v4, vcc
	v_cndmask_b32_e64 v0, 0, 1, vcc
	v_lshrrev_b64 v[16:17], v0, v[2:3]
; %bb.873:                              ;   in Loop: Header=BB4_354 Depth=4
	s_andn2_saveexec_b64 s[28:29], s[28:29]
; %bb.874:                              ;   in Loop: Header=BB4_354 Depth=4
	v_mov_b32_e32 v17, v3
	v_bfe_u32 v4, v2, 23, 1
	v_mov_b32_e32 v16, v2
; %bb.875:                              ;   in Loop: Header=BB4_354 Depth=4
	s_or_b64 exec, exec, s[28:29]
	v_lshrrev_b64 v[16:17], 20, v[16:17]
	v_cmp_gt_i32_e32 vcc, 16, v4
	v_cndmask_b32_e32 v17, 0, v17, vcc
	v_cndmask_b32_e32 v16, 7, v16, vcc
	v_min_i32_e32 v0, 15, v4
	v_cmp_eq_u64_e64 s[28:29], 0, v[16:17]
	v_lshlrev_b32_e32 v0, 3, v0
	v_cmp_eq_u32_e32 vcc, 0, v4
	v_and_b32_e32 v0, 0xf8, v0
	v_and_or_b32 v0, v16, 7, v0
	s_and_b64 s[28:29], vcc, s[28:29]
	v_cndmask_b32_e64 v0, v0, 0, s[28:29]
	v_or_b32_e32 v36, v0, v6
.LBB4_876:                              ;   in Loop: Header=BB4_354 Depth=4
	s_or_b64 exec, exec, s[48:49]
                                        ; implicit-def: $vgpr6
.LBB4_877:                              ;   in Loop: Header=BB4_354 Depth=4
	s_andn2_saveexec_b64 s[28:29], s[38:39]
; %bb.878:                              ;   in Loop: Header=BB4_354 Depth=4
	v_or_b32_e32 v36, 0x7e, v6
; %bb.879:                              ;   in Loop: Header=BB4_354 Depth=4
	s_or_b64 exec, exec, s[28:29]
                                        ; implicit-def: $vgpr4
.LBB4_880:                              ;   in Loop: Header=BB4_354 Depth=4
	s_andn2_saveexec_b64 s[28:29], s[40:41]
; %bb.881:                              ;   in Loop: Header=BB4_354 Depth=4
	v_or_b32_sdwa v36, v4, s81 dst_sel:DWORD dst_unused:UNUSED_PAD src0_sel:BYTE_3 src1_sel:DWORD
; %bb.882:                              ;   in Loop: Header=BB4_354 Depth=4
	s_or_b64 exec, exec, s[28:29]
	v_mov_b32_e32 v2, v23
	v_mov_b32_e32 v16, v19
	;; [unrolled: 1-line block ×3, first 2 shown]
	v_cmp_ne_u16_sdwa s[28:29], v23, v3 src0_sel:BYTE_0 src1_sel:DWORD
	s_mov_b64 s[40:41], -1
	s_and_b64 vcc, exec, s[46:47]
                                        ; implicit-def: $vgpr4
	s_cbranch_vccz .LBB4_896
; %bb.883:                              ;   in Loop: Header=BB4_354 Depth=4
	v_mov_b32_e32 v5, 0
	v_mov_b32_e32 v4, 0
	s_and_saveexec_b64 s[40:41], s[28:29]
	s_cbranch_execz .LBB4_889
; %bb.884:                              ;   in Loop: Header=BB4_354 Depth=4
	v_cmp_ne_u16_sdwa vcc, v23, s80 src0_sel:BYTE_0 src1_sel:DWORD
	v_bfrev_b32_e32 v4, 1
	s_and_saveexec_b64 s[38:39], vcc
	s_cbranch_execz .LBB4_888
; %bb.885:                              ;   in Loop: Header=BB4_354 Depth=4
	v_and_b32_e32 v0, 0x7f, v23
	v_cmp_ne_u32_e32 vcc, s81, v0
	v_mov_b32_e32 v4, 0x7f800001
	s_and_saveexec_b64 s[48:49], vcc
	s_cbranch_execz .LBB4_887
; %bb.886:                              ;   in Loop: Header=BB4_354 Depth=4
	v_and_b32_e32 v4, 7, v23
	v_lshrrev_b32_e32 v6, 3, v0
	v_cmp_gt_u32_e32 vcc, 8, v0
	v_ffbh_u32_e32 v0, v4
	v_min_u32_e32 v0, 32, v0
	v_subrev_u32_e32 v4, 28, v0
	v_cndmask_b32_e32 v4, 0, v4, vcc
	v_lshlrev_b64 v[20:21], v4, v[2:3]
	v_sub_u32_e32 v0, 29, v0
	v_cndmask_b32_e32 v0, v6, v0, vcc
	v_lshlrev_b32_e32 v4, 20, v20
	v_lshlrev_b32_e32 v6, 24, v2
	v_and_b32_e32 v4, 0x700000, v4
	v_and_b32_e32 v6, 0x80000000, v6
	v_lshl_add_u32 v0, v0, 23, v54
	v_or3_b32 v4, v6, v0, v4
.LBB4_887:                              ;   in Loop: Header=BB4_354 Depth=4
	s_or_b64 exec, exec, s[48:49]
.LBB4_888:                              ;   in Loop: Header=BB4_354 Depth=4
	s_or_b64 exec, exec, s[38:39]
.LBB4_889:                              ;   in Loop: Header=BB4_354 Depth=4
	s_or_b64 exec, exec, s[40:41]
	v_cmp_ne_u16_sdwa vcc, v19, v3 src0_sel:BYTE_0 src1_sel:DWORD
	s_and_saveexec_b64 s[40:41], vcc
	s_cbranch_execz .LBB4_895
; %bb.890:                              ;   in Loop: Header=BB4_354 Depth=4
	v_cmp_ne_u16_sdwa vcc, v19, s80 src0_sel:BYTE_0 src1_sel:DWORD
	v_bfrev_b32_e32 v5, 1
	s_and_saveexec_b64 s[38:39], vcc
	s_cbranch_execz .LBB4_894
; %bb.891:                              ;   in Loop: Header=BB4_354 Depth=4
	v_and_b32_e32 v0, 0x7f, v19
	v_cmp_ne_u32_e32 vcc, s81, v0
	v_mov_b32_e32 v5, 0x7f800001
	s_and_saveexec_b64 s[48:49], vcc
	s_cbranch_execz .LBB4_893
; %bb.892:                              ;   in Loop: Header=BB4_354 Depth=4
	v_and_b32_e32 v5, 7, v19
	v_lshrrev_b32_e32 v6, 3, v0
	v_cmp_gt_u32_e32 vcc, 8, v0
	v_ffbh_u32_e32 v0, v5
	v_min_u32_e32 v0, 32, v0
	v_subrev_u32_e32 v5, 28, v0
	v_sub_u32_e32 v0, 29, v0
	v_cndmask_b32_e32 v5, 0, v5, vcc
	v_cndmask_b32_e32 v0, v6, v0, vcc
	v_lshlrev_b64 v[5:6], v5, v[16:17]
	v_lshlrev_b32_e32 v6, 24, v16
	v_lshlrev_b32_e32 v5, 20, v5
	v_and_b32_e32 v5, 0x700000, v5
	v_and_b32_e32 v6, 0x80000000, v6
	v_lshl_add_u32 v0, v0, 23, v54
	v_or3_b32 v5, v6, v0, v5
.LBB4_893:                              ;   in Loop: Header=BB4_354 Depth=4
	s_or_b64 exec, exec, s[48:49]
.LBB4_894:                              ;   in Loop: Header=BB4_354 Depth=4
	s_or_b64 exec, exec, s[38:39]
.LBB4_895:                              ;   in Loop: Header=BB4_354 Depth=4
	s_or_b64 exec, exec, s[40:41]
	v_max_f32_e32 v0, v5, v5
	v_max_f32_e32 v4, v4, v4
	;; [unrolled: 1-line block ×3, first 2 shown]
	s_mov_b64 s[40:41], 0
.LBB4_896:                              ;   in Loop: Header=BB4_354 Depth=4
	s_and_b64 vcc, exec, s[40:41]
	s_cbranch_vccz .LBB4_910
; %bb.897:                              ;   in Loop: Header=BB4_354 Depth=4
	v_mov_b32_e32 v5, 0
	v_mov_b32_e32 v4, 0
	s_and_saveexec_b64 s[40:41], s[28:29]
	s_cbranch_execz .LBB4_903
; %bb.898:                              ;   in Loop: Header=BB4_354 Depth=4
	v_cmp_ne_u16_sdwa vcc, v23, s80 src0_sel:BYTE_0 src1_sel:DWORD
	v_bfrev_b32_e32 v4, 1
	s_and_saveexec_b64 s[28:29], vcc
	s_cbranch_execz .LBB4_902
; %bb.899:                              ;   in Loop: Header=BB4_354 Depth=4
	v_and_b32_e32 v0, 0x7f, v23
	v_cmp_ne_u32_e32 vcc, s81, v0
	v_mov_b32_e32 v4, 0x7f800001
	s_and_saveexec_b64 s[38:39], vcc
	s_cbranch_execz .LBB4_901
; %bb.900:                              ;   in Loop: Header=BB4_354 Depth=4
	v_and_b32_e32 v4, 7, v23
	v_lshrrev_b32_e32 v6, 3, v0
	v_cmp_gt_u32_e32 vcc, 8, v0
	v_ffbh_u32_e32 v0, v4
	v_min_u32_e32 v0, 32, v0
	v_subrev_u32_e32 v4, 28, v0
	v_cndmask_b32_e32 v4, 0, v4, vcc
	v_lshlrev_b64 v[20:21], v4, v[2:3]
	v_sub_u32_e32 v0, 29, v0
	v_cndmask_b32_e32 v0, v6, v0, vcc
	v_lshlrev_b32_e32 v4, 20, v20
	v_lshlrev_b32_e32 v6, 24, v2
	v_and_b32_e32 v4, 0x700000, v4
	v_and_b32_e32 v6, 0x80000000, v6
	v_lshl_add_u32 v0, v0, 23, v54
	v_or3_b32 v4, v6, v0, v4
.LBB4_901:                              ;   in Loop: Header=BB4_354 Depth=4
	s_or_b64 exec, exec, s[38:39]
.LBB4_902:                              ;   in Loop: Header=BB4_354 Depth=4
	s_or_b64 exec, exec, s[28:29]
.LBB4_903:                              ;   in Loop: Header=BB4_354 Depth=4
	s_or_b64 exec, exec, s[40:41]
	v_cmp_ne_u16_sdwa s[40:41], v19, v3 src0_sel:BYTE_0 src1_sel:DWORD
	s_and_saveexec_b64 s[28:29], s[40:41]
	s_cbranch_execz .LBB4_909
; %bb.904:                              ;   in Loop: Header=BB4_354 Depth=4
	v_cmp_ne_u16_sdwa vcc, v19, s80 src0_sel:BYTE_0 src1_sel:DWORD
	v_bfrev_b32_e32 v5, 1
	s_and_saveexec_b64 s[40:41], vcc
	s_cbranch_execz .LBB4_908
; %bb.905:                              ;   in Loop: Header=BB4_354 Depth=4
	v_and_b32_e32 v0, 0x7f, v19
	v_cmp_ne_u32_e32 vcc, s81, v0
	v_mov_b32_e32 v5, 0x7f800001
	s_and_saveexec_b64 s[38:39], vcc
	s_cbranch_execz .LBB4_907
; %bb.906:                              ;   in Loop: Header=BB4_354 Depth=4
	v_and_b32_e32 v5, 7, v19
	v_lshrrev_b32_e32 v6, 3, v0
	v_cmp_gt_u32_e32 vcc, 8, v0
	v_ffbh_u32_e32 v0, v5
	v_min_u32_e32 v0, 32, v0
	v_subrev_u32_e32 v5, 28, v0
	v_sub_u32_e32 v0, 29, v0
	v_cndmask_b32_e32 v5, 0, v5, vcc
	v_cndmask_b32_e32 v0, v6, v0, vcc
	v_lshlrev_b64 v[5:6], v5, v[16:17]
	v_lshlrev_b32_e32 v6, 24, v16
	v_lshlrev_b32_e32 v5, 20, v5
	v_and_b32_e32 v5, 0x700000, v5
	v_and_b32_e32 v6, 0x80000000, v6
	v_lshl_add_u32 v0, v0, 23, v54
	v_or3_b32 v5, v6, v0, v5
.LBB4_907:                              ;   in Loop: Header=BB4_354 Depth=4
	s_or_b64 exec, exec, s[38:39]
.LBB4_908:                              ;   in Loop: Header=BB4_354 Depth=4
	s_or_b64 exec, exec, s[40:41]
.LBB4_909:                              ;   in Loop: Header=BB4_354 Depth=4
	s_or_b64 exec, exec, s[28:29]
	v_max_f32_e32 v0, v5, v5
	v_max_f32_e32 v4, v4, v4
	v_min_f32_e32 v4, v4, v0
.LBB4_910:                              ;   in Loop: Header=BB4_354 Depth=4
	v_and_b32_e32 v5, 0x7f800000, v4
	v_mov_b32_e32 v6, v3
	v_cmp_ne_u64_e32 vcc, s[76:77], v[5:6]
                                        ; implicit-def: $vgpr21
	s_and_saveexec_b64 s[28:29], vcc
	s_xor_b64 s[40:41], exec, s[28:29]
	s_cbranch_execz .LBB4_924
; %bb.911:                              ;   in Loop: Header=BB4_354 Depth=4
	v_and_b32_e32 v5, 0x7fffffff, v4
	v_mov_b32_e32 v6, v3
	v_cmp_gt_u64_e32 vcc, s[78:79], v[5:6]
	v_and_b32_sdwa v6, v4, s80 dst_sel:DWORD dst_unused:UNUSED_PAD src0_sel:BYTE_3 src1_sel:DWORD
                                        ; implicit-def: $vgpr21
	s_and_saveexec_b64 s[28:29], vcc
	s_xor_b64 s[38:39], exec, s[28:29]
	s_cbranch_execz .LBB4_921
; %bb.912:                              ;   in Loop: Header=BB4_354 Depth=4
	v_mov_b32_e32 v21, 0
	v_cmp_ne_u32_e32 vcc, 0, v4
	s_and_saveexec_b64 s[48:49], vcc
	s_cbranch_execz .LBB4_920
; %bb.913:                              ;   in Loop: Header=BB4_354 Depth=4
	v_bfe_u32 v17, v4, 23, 8
	v_and_b32_e32 v0, 0x7fffff, v4
	v_cmp_gt_u32_e64 s[28:29], s83, v17
	v_sub_u32_e32 v4, 0x79, v17
	v_cmp_eq_u32_e32 vcc, 0, v17
	v_cndmask_b32_e64 v4, 0, v4, s[28:29]
	v_mov_b32_e32 v20, 0x78
	v_or_b32_e32 v5, 0x800000, v0
	v_cndmask_b32_e32 v50, v4, v20, vcc
	v_cndmask_b32_e32 v4, v5, v0, vcc
	v_add_u32_e32 v0, 20, v50
	v_lshlrev_b64 v[20:21], v0, -1
	v_add_u32_e32 v0, 19, v50
	v_lshlrev_b64 v[42:43], v0, 1
	v_mov_b32_e32 v5, v3
	v_bfi_b32 v21, v21, 0, 0
	v_bfi_b32 v20, v20, 0, v4
	v_cmp_eq_u64_e64 s[28:29], v[20:21], v[42:43]
	v_lshrrev_b64 v[20:21], v50, v[4:5]
	v_mov_b32_e32 v4, v20
	v_mov_b32_e32 v5, v21
	s_and_saveexec_b64 s[50:51], s[28:29]
; %bb.914:                              ;   in Loop: Header=BB4_354 Depth=4
	v_bfe_u32 v0, v20, 20, 1
	v_add_co_u32_e64 v0, s[28:29], v20, v0
	v_add_co_u32_e64 v4, s[28:29], -1, v0
; %bb.915:                              ;   in Loop: Header=BB4_354 Depth=4
	s_or_b64 exec, exec, s[50:51]
	v_add_u32_e32 v0, 0xffffff81, v17
	v_mov_b32_e32 v5, 0xffffff82
	v_cndmask_b32_e32 v0, v0, v5, vcc
	v_lshrrev_b32_e32 v5, 23, v20
	v_add3_u32 v5, v50, v0, v5
	v_add_u32_e32 v0, 6, v5
	v_and_b32_e32 v4, 0xfffff, v4
	v_add_u32_e32 v20, v4, v20
	v_mov_b32_e32 v21, v3
	v_cmp_ne_u32_e32 vcc, 0, v0
                                        ; implicit-def: $vgpr4
	s_and_saveexec_b64 s[28:29], vcc
	s_xor_b64 s[28:29], exec, s[28:29]
; %bb.916:                              ;   in Loop: Header=BB4_354 Depth=4
	v_cmp_lt_u64_e32 vcc, s[88:89], v[20:21]
	v_add_u32_e32 v4, 7, v5
	v_cndmask_b32_e32 v4, v0, v4, vcc
	v_cndmask_b32_e64 v0, 0, 1, vcc
	v_lshrrev_b64 v[20:21], v0, v[20:21]
; %bb.917:                              ;   in Loop: Header=BB4_354 Depth=4
	s_andn2_saveexec_b64 s[28:29], s[28:29]
; %bb.918:                              ;   in Loop: Header=BB4_354 Depth=4
	v_bfe_u32 v4, v20, 23, 1
; %bb.919:                              ;   in Loop: Header=BB4_354 Depth=4
	s_or_b64 exec, exec, s[28:29]
	v_lshrrev_b64 v[20:21], 20, v[20:21]
	v_cmp_gt_i32_e32 vcc, 16, v4
	v_cndmask_b32_e32 v21, 0, v21, vcc
	v_cndmask_b32_e32 v20, 7, v20, vcc
	v_min_i32_e32 v0, 15, v4
	v_cmp_eq_u64_e64 s[28:29], 0, v[20:21]
	v_lshlrev_b32_e32 v0, 3, v0
	v_cmp_eq_u32_e32 vcc, 0, v4
	v_and_b32_e32 v0, 0xf8, v0
	v_and_or_b32 v0, v20, 7, v0
	s_and_b64 s[28:29], vcc, s[28:29]
	v_cndmask_b32_e64 v0, v0, 0, s[28:29]
	v_or_b32_e32 v21, v0, v6
.LBB4_920:                              ;   in Loop: Header=BB4_354 Depth=4
	s_or_b64 exec, exec, s[48:49]
                                        ; implicit-def: $vgpr6
.LBB4_921:                              ;   in Loop: Header=BB4_354 Depth=4
	s_andn2_saveexec_b64 s[28:29], s[38:39]
; %bb.922:                              ;   in Loop: Header=BB4_354 Depth=4
	v_or_b32_e32 v21, 0x7e, v6
; %bb.923:                              ;   in Loop: Header=BB4_354 Depth=4
	s_or_b64 exec, exec, s[28:29]
                                        ; implicit-def: $vgpr4
.LBB4_924:                              ;   in Loop: Header=BB4_354 Depth=4
	s_andn2_saveexec_b64 s[28:29], s[40:41]
; %bb.925:                              ;   in Loop: Header=BB4_354 Depth=4
	v_or_b32_sdwa v21, v4, s81 dst_sel:DWORD dst_unused:UNUSED_PAD src0_sel:BYTE_3 src1_sel:DWORD
; %bb.926:                              ;   in Loop: Header=BB4_354 Depth=4
	s_or_b64 exec, exec, s[28:29]
	v_lshrrev_b16_e32 v20, 8, v2
	v_lshrrev_b16_e32 v17, 8, v16
	v_cmp_ne_u16_e64 s[28:29], 0, v20
	s_mov_b64 s[40:41], -1
	s_and_b64 vcc, exec, s[46:47]
                                        ; implicit-def: $vgpr4
	s_cbranch_vccz .LBB4_940
; %bb.927:                              ;   in Loop: Header=BB4_354 Depth=4
	v_mov_b32_e32 v5, 0
	v_mov_b32_e32 v4, 0
	s_and_saveexec_b64 s[40:41], s[28:29]
	s_cbranch_execz .LBB4_933
; %bb.928:                              ;   in Loop: Header=BB4_354 Depth=4
	v_cmp_ne_u16_e32 vcc, s80, v20
	v_bfrev_b32_e32 v4, 1
	s_and_saveexec_b64 s[38:39], vcc
	s_cbranch_execz .LBB4_932
; %bb.929:                              ;   in Loop: Header=BB4_354 Depth=4
	v_and_b32_e32 v0, 0x7f, v20
	v_cmp_ne_u32_e32 vcc, s81, v0
	v_mov_b32_e32 v4, 0x7f800001
	s_and_saveexec_b64 s[48:49], vcc
	s_cbranch_execz .LBB4_931
; %bb.930:                              ;   in Loop: Header=BB4_354 Depth=4
	v_and_b32_e32 v4, 7, v20
	v_lshrrev_b32_e32 v6, 3, v0
	v_cmp_gt_u32_e32 vcc, 8, v0
	v_ffbh_u32_e32 v0, v4
	v_min_u32_e32 v0, 32, v0
	v_subrev_u32_e32 v50, 28, v0
	v_lshlrev_b64 v[42:43], v50, v[20:21]
	v_sub_u32_e32 v0, 29, v0
	v_and_b32_e32 v50, 7, v42
	v_cndmask_b32_e32 v0, v6, v0, vcc
	v_cndmask_b32_e32 v4, v4, v50, vcc
	v_lshlrev_b32_e32 v6, 16, v2
	v_lshlrev_b32_e32 v4, 20, v4
	v_and_b32_e32 v6, 0x80000000, v6
	v_lshl_add_u32 v0, v0, 23, v54
	v_or3_b32 v4, v6, v0, v4
.LBB4_931:                              ;   in Loop: Header=BB4_354 Depth=4
	s_or_b64 exec, exec, s[48:49]
.LBB4_932:                              ;   in Loop: Header=BB4_354 Depth=4
	s_or_b64 exec, exec, s[38:39]
.LBB4_933:                              ;   in Loop: Header=BB4_354 Depth=4
	s_or_b64 exec, exec, s[40:41]
	v_cmp_ne_u16_e32 vcc, 0, v17
	s_and_saveexec_b64 s[40:41], vcc
	s_cbranch_execz .LBB4_939
; %bb.934:                              ;   in Loop: Header=BB4_354 Depth=4
	v_cmp_ne_u16_e32 vcc, s80, v17
	v_bfrev_b32_e32 v5, 1
	s_and_saveexec_b64 s[38:39], vcc
	s_cbranch_execz .LBB4_938
; %bb.935:                              ;   in Loop: Header=BB4_354 Depth=4
	v_and_b32_e32 v0, 0x7f, v17
	v_cmp_ne_u32_e32 vcc, s81, v0
	v_mov_b32_e32 v5, 0x7f800001
	s_and_saveexec_b64 s[48:49], vcc
	s_cbranch_execz .LBB4_937
; %bb.936:                              ;   in Loop: Header=BB4_354 Depth=4
	v_and_b32_e32 v50, 7, v17
	v_lshrrev_b32_e32 v55, 3, v0
	v_cmp_gt_u32_e32 vcc, 8, v0
	v_ffbh_u32_e32 v0, v50
	v_min_u32_e32 v0, 32, v0
	v_subrev_u32_e32 v5, 28, v0
	v_lshlrev_b64 v[5:6], v5, v[17:18]
	v_sub_u32_e32 v0, 29, v0
	v_and_b32_e32 v5, 7, v5
	v_cndmask_b32_e32 v0, v55, v0, vcc
	v_cndmask_b32_e32 v5, v50, v5, vcc
	v_lshlrev_b32_e32 v6, 16, v16
	v_lshlrev_b32_e32 v5, 20, v5
	v_and_b32_e32 v6, 0x80000000, v6
	v_lshl_add_u32 v0, v0, 23, v54
	v_or3_b32 v5, v6, v0, v5
.LBB4_937:                              ;   in Loop: Header=BB4_354 Depth=4
	s_or_b64 exec, exec, s[48:49]
.LBB4_938:                              ;   in Loop: Header=BB4_354 Depth=4
	s_or_b64 exec, exec, s[38:39]
.LBB4_939:                              ;   in Loop: Header=BB4_354 Depth=4
	s_or_b64 exec, exec, s[40:41]
	v_max_f32_e32 v0, v5, v5
	v_max_f32_e32 v4, v4, v4
	;; [unrolled: 1-line block ×3, first 2 shown]
	s_mov_b64 s[40:41], 0
.LBB4_940:                              ;   in Loop: Header=BB4_354 Depth=4
	s_and_b64 vcc, exec, s[40:41]
	s_cbranch_vccz .LBB4_954
; %bb.941:                              ;   in Loop: Header=BB4_354 Depth=4
	v_mov_b32_e32 v5, 0
	v_mov_b32_e32 v4, 0
	s_and_saveexec_b64 s[40:41], s[28:29]
	s_cbranch_execz .LBB4_947
; %bb.942:                              ;   in Loop: Header=BB4_354 Depth=4
	v_cmp_ne_u16_e32 vcc, s80, v20
	v_bfrev_b32_e32 v4, 1
	s_and_saveexec_b64 s[28:29], vcc
	s_cbranch_execz .LBB4_946
; %bb.943:                              ;   in Loop: Header=BB4_354 Depth=4
	v_and_b32_e32 v0, 0x7f, v20
	v_cmp_ne_u32_e32 vcc, s81, v0
	v_mov_b32_e32 v4, 0x7f800001
	s_and_saveexec_b64 s[38:39], vcc
	s_cbranch_execz .LBB4_945
; %bb.944:                              ;   in Loop: Header=BB4_354 Depth=4
	v_and_b32_e32 v4, 7, v20
	v_lshrrev_b32_e32 v6, 3, v0
	v_cmp_gt_u32_e32 vcc, 8, v0
	v_ffbh_u32_e32 v0, v4
	v_min_u32_e32 v0, 32, v0
	v_subrev_u32_e32 v50, 28, v0
	v_lshlrev_b64 v[42:43], v50, v[20:21]
	v_sub_u32_e32 v0, 29, v0
	v_and_b32_e32 v20, 7, v42
	v_cndmask_b32_e32 v0, v6, v0, vcc
	v_cndmask_b32_e32 v4, v4, v20, vcc
	v_lshlrev_b32_e32 v2, 16, v2
	v_lshlrev_b32_e32 v4, 20, v4
	v_and_b32_e32 v2, 0x80000000, v2
	v_lshl_add_u32 v0, v0, 23, v54
	v_or3_b32 v4, v2, v0, v4
.LBB4_945:                              ;   in Loop: Header=BB4_354 Depth=4
	s_or_b64 exec, exec, s[38:39]
.LBB4_946:                              ;   in Loop: Header=BB4_354 Depth=4
	s_or_b64 exec, exec, s[28:29]
.LBB4_947:                              ;   in Loop: Header=BB4_354 Depth=4
	s_or_b64 exec, exec, s[40:41]
	v_cmp_ne_u16_e32 vcc, 0, v17
	s_and_saveexec_b64 s[28:29], vcc
	s_cbranch_execz .LBB4_953
; %bb.948:                              ;   in Loop: Header=BB4_354 Depth=4
	v_cmp_ne_u16_e32 vcc, s80, v17
	v_bfrev_b32_e32 v5, 1
	s_and_saveexec_b64 s[40:41], vcc
	s_cbranch_execz .LBB4_952
; %bb.949:                              ;   in Loop: Header=BB4_354 Depth=4
	v_and_b32_e32 v0, 0x7f, v17
	v_cmp_ne_u32_e32 vcc, s81, v0
	v_mov_b32_e32 v5, 0x7f800001
	s_and_saveexec_b64 s[38:39], vcc
	s_cbranch_execz .LBB4_951
; %bb.950:                              ;   in Loop: Header=BB4_354 Depth=4
	v_and_b32_e32 v2, 7, v17
	v_lshrrev_b32_e32 v20, 3, v0
	v_cmp_gt_u32_e32 vcc, 8, v0
	v_ffbh_u32_e32 v0, v2
	v_min_u32_e32 v0, 32, v0
	v_subrev_u32_e32 v5, 28, v0
	v_lshlrev_b64 v[5:6], v5, v[17:18]
	v_sub_u32_e32 v0, 29, v0
	v_and_b32_e32 v5, 7, v5
	v_cndmask_b32_e32 v0, v20, v0, vcc
	v_cndmask_b32_e32 v2, v2, v5, vcc
	v_lshlrev_b32_e32 v5, 16, v16
	v_lshlrev_b32_e32 v2, 20, v2
	v_and_b32_e32 v5, 0x80000000, v5
	v_lshl_add_u32 v0, v0, 23, v54
	v_or3_b32 v5, v5, v0, v2
.LBB4_951:                              ;   in Loop: Header=BB4_354 Depth=4
	s_or_b64 exec, exec, s[38:39]
.LBB4_952:                              ;   in Loop: Header=BB4_354 Depth=4
	s_or_b64 exec, exec, s[40:41]
.LBB4_953:                              ;   in Loop: Header=BB4_354 Depth=4
	s_or_b64 exec, exec, s[28:29]
	v_max_f32_e32 v0, v5, v5
	v_max_f32_e32 v2, v4, v4
	v_min_f32_e32 v4, v2, v0
.LBB4_954:                              ;   in Loop: Header=BB4_354 Depth=4
	v_and_b32_e32 v2, 0x7f800000, v4
	v_cmp_ne_u64_e32 vcc, s[76:77], v[2:3]
                                        ; implicit-def: $vgpr20
	s_and_saveexec_b64 s[28:29], vcc
	s_xor_b64 s[40:41], exec, s[28:29]
	s_cbranch_execz .LBB4_968
; %bb.955:                              ;   in Loop: Header=BB4_354 Depth=4
	v_and_b32_e32 v2, 0x7fffffff, v4
	v_cmp_gt_u64_e32 vcc, s[78:79], v[2:3]
	v_and_b32_sdwa v6, v4, s80 dst_sel:DWORD dst_unused:UNUSED_PAD src0_sel:BYTE_3 src1_sel:DWORD
                                        ; implicit-def: $vgpr20
	s_and_saveexec_b64 s[28:29], vcc
	s_xor_b64 s[38:39], exec, s[28:29]
	s_cbranch_execz .LBB4_965
; %bb.956:                              ;   in Loop: Header=BB4_354 Depth=4
	v_mov_b32_e32 v20, 0
	v_cmp_ne_u32_e32 vcc, 0, v4
	s_and_saveexec_b64 s[48:49], vcc
	s_cbranch_execz .LBB4_964
; %bb.957:                              ;   in Loop: Header=BB4_354 Depth=4
	v_bfe_u32 v20, v4, 23, 8
	v_cmp_gt_u32_e64 s[28:29], s83, v20
	v_sub_u32_e32 v2, 0x79, v20
	v_and_b32_e32 v0, 0x7fffff, v4
	v_cmp_eq_u32_e32 vcc, 0, v20
	v_cndmask_b32_e64 v2, 0, v2, s[28:29]
	v_mov_b32_e32 v5, 0x78
	v_or_b32_e32 v4, 0x800000, v0
	v_cndmask_b32_e32 v50, v2, v5, vcc
	v_cndmask_b32_e32 v2, v4, v0, vcc
	v_add_u32_e32 v0, 20, v50
	v_lshlrev_b64 v[4:5], v0, -1
	v_add_u32_e32 v0, 19, v50
	v_lshlrev_b64 v[16:17], v0, 1
	v_bfi_b32 v5, v5, 0, 0
	v_bfi_b32 v4, v4, 0, v2
	v_cmp_eq_u64_e64 s[28:29], v[4:5], v[16:17]
	v_lshrrev_b64 v[16:17], v50, v[2:3]
	v_mov_b32_e32 v4, v16
	v_mov_b32_e32 v5, v17
	s_and_saveexec_b64 s[50:51], s[28:29]
; %bb.958:                              ;   in Loop: Header=BB4_354 Depth=4
	v_bfe_u32 v0, v16, 20, 1
	v_add_co_u32_e64 v0, s[28:29], v16, v0
	v_add_co_u32_e64 v4, s[28:29], -1, v0
; %bb.959:                              ;   in Loop: Header=BB4_354 Depth=4
	s_or_b64 exec, exec, s[50:51]
	v_add_u32_e32 v0, 0xffffff81, v20
	v_mov_b32_e32 v2, 0xffffff82
	v_cndmask_b32_e32 v0, v0, v2, vcc
	v_lshrrev_b32_e32 v2, 23, v16
	v_add3_u32 v5, v50, v0, v2
	v_add_u32_e32 v0, 6, v5
	v_and_b32_e32 v2, 0xfffff, v4
	v_add_u32_e32 v2, v2, v16
	v_cmp_ne_u32_e32 vcc, 0, v0
                                        ; implicit-def: $vgpr16_vgpr17
                                        ; implicit-def: $vgpr4
	s_and_saveexec_b64 s[28:29], vcc
	s_xor_b64 s[28:29], exec, s[28:29]
; %bb.960:                              ;   in Loop: Header=BB4_354 Depth=4
	v_cmp_lt_u64_e32 vcc, s[88:89], v[2:3]
	v_add_u32_e32 v4, 7, v5
	v_cndmask_b32_e32 v4, v0, v4, vcc
	v_cndmask_b32_e64 v0, 0, 1, vcc
	v_lshrrev_b64 v[16:17], v0, v[2:3]
; %bb.961:                              ;   in Loop: Header=BB4_354 Depth=4
	s_andn2_saveexec_b64 s[28:29], s[28:29]
; %bb.962:                              ;   in Loop: Header=BB4_354 Depth=4
	v_mov_b32_e32 v17, v3
	v_bfe_u32 v4, v2, 23, 1
	v_mov_b32_e32 v16, v2
; %bb.963:                              ;   in Loop: Header=BB4_354 Depth=4
	s_or_b64 exec, exec, s[28:29]
	v_lshrrev_b64 v[16:17], 20, v[16:17]
	v_cmp_gt_i32_e32 vcc, 16, v4
	v_cndmask_b32_e32 v17, 0, v17, vcc
	v_cndmask_b32_e32 v16, 7, v16, vcc
	v_min_i32_e32 v0, 15, v4
	v_cmp_eq_u64_e64 s[28:29], 0, v[16:17]
	v_lshlrev_b32_e32 v0, 3, v0
	v_cmp_eq_u32_e32 vcc, 0, v4
	v_and_b32_e32 v0, 0xf8, v0
	v_and_or_b32 v0, v16, 7, v0
	s_and_b64 s[28:29], vcc, s[28:29]
	v_cndmask_b32_e64 v0, v0, 0, s[28:29]
	v_or_b32_e32 v20, v0, v6
.LBB4_964:                              ;   in Loop: Header=BB4_354 Depth=4
	s_or_b64 exec, exec, s[48:49]
                                        ; implicit-def: $vgpr6
.LBB4_965:                              ;   in Loop: Header=BB4_354 Depth=4
	s_andn2_saveexec_b64 s[28:29], s[38:39]
; %bb.966:                              ;   in Loop: Header=BB4_354 Depth=4
	v_or_b32_e32 v20, 0x7e, v6
; %bb.967:                              ;   in Loop: Header=BB4_354 Depth=4
	s_or_b64 exec, exec, s[28:29]
                                        ; implicit-def: $vgpr4
.LBB4_968:                              ;   in Loop: Header=BB4_354 Depth=4
	s_andn2_saveexec_b64 s[28:29], s[40:41]
; %bb.969:                              ;   in Loop: Header=BB4_354 Depth=4
	v_or_b32_sdwa v20, v4, s81 dst_sel:DWORD dst_unused:UNUSED_PAD src0_sel:BYTE_3 src1_sel:DWORD
; %bb.970:                              ;   in Loop: Header=BB4_354 Depth=4
	s_or_b64 exec, exec, s[28:29]
	v_lshrrev_b32_e32 v16, 16, v23
	v_lshrrev_b32_e32 v2, 16, v19
	v_cmp_ne_u16_sdwa s[28:29], v16, v3 src0_sel:BYTE_0 src1_sel:DWORD
	s_mov_b64 s[40:41], -1
	s_and_b64 vcc, exec, s[46:47]
                                        ; implicit-def: $vgpr4
	s_cbranch_vccz .LBB4_984
; %bb.971:                              ;   in Loop: Header=BB4_354 Depth=4
	v_mov_b32_e32 v5, 0
	v_mov_b32_e32 v4, 0
	s_and_saveexec_b64 s[40:41], s[28:29]
	s_cbranch_execz .LBB4_977
; %bb.972:                              ;   in Loop: Header=BB4_354 Depth=4
	v_cmp_ne_u16_sdwa vcc, v16, s80 src0_sel:BYTE_0 src1_sel:DWORD
	v_bfrev_b32_e32 v4, 1
	s_and_saveexec_b64 s[38:39], vcc
	s_cbranch_execz .LBB4_976
; %bb.973:                              ;   in Loop: Header=BB4_354 Depth=4
	v_bfe_u32 v0, v23, 16, 7
	v_cmp_ne_u32_e32 vcc, s81, v0
	v_mov_b32_e32 v4, 0x7f800001
	s_and_saveexec_b64 s[48:49], vcc
	s_cbranch_execz .LBB4_975
; %bb.974:                              ;   in Loop: Header=BB4_354 Depth=4
	v_and_b32_e32 v4, 7, v16
	v_lshrrev_b32_e32 v6, 3, v0
	v_cmp_gt_u32_e32 vcc, 8, v0
	v_ffbh_u32_e32 v0, v4
	v_min_u32_e32 v0, 32, v0
	v_subrev_u32_e32 v17, 28, v0
	v_lshlrev_b64 v[42:43], v17, v[16:17]
	v_sub_u32_e32 v0, 29, v0
	v_and_b32_e32 v17, 7, v42
	v_cndmask_b32_e32 v0, v6, v0, vcc
	v_cndmask_b32_e32 v4, v4, v17, vcc
	v_lshlrev_b32_e32 v6, 24, v16
	v_lshlrev_b32_e32 v4, 20, v4
	v_and_b32_e32 v6, 0x80000000, v6
	v_lshl_add_u32 v0, v0, 23, v54
	v_or3_b32 v4, v6, v0, v4
.LBB4_975:                              ;   in Loop: Header=BB4_354 Depth=4
	s_or_b64 exec, exec, s[48:49]
.LBB4_976:                              ;   in Loop: Header=BB4_354 Depth=4
	s_or_b64 exec, exec, s[38:39]
.LBB4_977:                              ;   in Loop: Header=BB4_354 Depth=4
	s_or_b64 exec, exec, s[40:41]
	v_cmp_ne_u16_sdwa vcc, v2, v3 src0_sel:BYTE_0 src1_sel:DWORD
	s_and_saveexec_b64 s[40:41], vcc
	s_cbranch_execz .LBB4_983
; %bb.978:                              ;   in Loop: Header=BB4_354 Depth=4
	v_cmp_ne_u16_sdwa vcc, v2, s80 src0_sel:BYTE_0 src1_sel:DWORD
	v_bfrev_b32_e32 v5, 1
	s_and_saveexec_b64 s[38:39], vcc
	s_cbranch_execz .LBB4_982
; %bb.979:                              ;   in Loop: Header=BB4_354 Depth=4
	v_bfe_u32 v0, v19, 16, 7
	v_cmp_ne_u32_e32 vcc, s81, v0
	v_mov_b32_e32 v5, 0x7f800001
	s_and_saveexec_b64 s[48:49], vcc
	s_cbranch_execz .LBB4_981
; %bb.980:                              ;   in Loop: Header=BB4_354 Depth=4
	v_and_b32_e32 v17, 7, v2
	v_lshrrev_b32_e32 v50, 3, v0
	v_cmp_gt_u32_e32 vcc, 8, v0
	v_ffbh_u32_e32 v0, v17
	v_min_u32_e32 v0, 32, v0
	v_subrev_u32_e32 v5, 28, v0
	v_lshlrev_b64 v[5:6], v5, v[2:3]
	v_sub_u32_e32 v0, 29, v0
	v_and_b32_e32 v5, 7, v5
	v_cndmask_b32_e32 v0, v50, v0, vcc
	v_cndmask_b32_e32 v5, v17, v5, vcc
	v_lshlrev_b32_e32 v6, 24, v2
	v_lshlrev_b32_e32 v5, 20, v5
	v_and_b32_e32 v6, 0x80000000, v6
	v_lshl_add_u32 v0, v0, 23, v54
	v_or3_b32 v5, v6, v0, v5
.LBB4_981:                              ;   in Loop: Header=BB4_354 Depth=4
	s_or_b64 exec, exec, s[48:49]
.LBB4_982:                              ;   in Loop: Header=BB4_354 Depth=4
	s_or_b64 exec, exec, s[38:39]
.LBB4_983:                              ;   in Loop: Header=BB4_354 Depth=4
	s_or_b64 exec, exec, s[40:41]
	v_max_f32_e32 v0, v5, v5
	v_max_f32_e32 v4, v4, v4
	;; [unrolled: 1-line block ×3, first 2 shown]
	s_mov_b64 s[40:41], 0
.LBB4_984:                              ;   in Loop: Header=BB4_354 Depth=4
	s_and_b64 vcc, exec, s[40:41]
	s_cbranch_vccz .LBB4_998
; %bb.985:                              ;   in Loop: Header=BB4_354 Depth=4
	v_mov_b32_e32 v5, 0
	v_mov_b32_e32 v4, 0
	s_and_saveexec_b64 s[40:41], s[28:29]
	s_cbranch_execz .LBB4_991
; %bb.986:                              ;   in Loop: Header=BB4_354 Depth=4
	v_cmp_ne_u16_sdwa vcc, v16, s80 src0_sel:BYTE_0 src1_sel:DWORD
	v_bfrev_b32_e32 v4, 1
	s_and_saveexec_b64 s[28:29], vcc
	s_cbranch_execz .LBB4_990
; %bb.987:                              ;   in Loop: Header=BB4_354 Depth=4
	v_bfe_u32 v0, v23, 16, 7
	v_cmp_ne_u32_e32 vcc, s81, v0
	v_mov_b32_e32 v4, 0x7f800001
	s_and_saveexec_b64 s[38:39], vcc
	s_cbranch_execz .LBB4_989
; %bb.988:                              ;   in Loop: Header=BB4_354 Depth=4
	v_and_b32_e32 v4, 7, v16
	v_lshrrev_b32_e32 v6, 3, v0
	v_cmp_gt_u32_e32 vcc, 8, v0
	v_ffbh_u32_e32 v0, v4
	v_min_u32_e32 v0, 32, v0
	v_subrev_u32_e32 v17, 28, v0
	v_lshlrev_b64 v[42:43], v17, v[16:17]
	v_sub_u32_e32 v0, 29, v0
	v_and_b32_e32 v17, 7, v42
	v_cndmask_b32_e32 v0, v6, v0, vcc
	v_cndmask_b32_e32 v4, v4, v17, vcc
	v_lshlrev_b32_e32 v6, 24, v16
	v_lshlrev_b32_e32 v4, 20, v4
	v_and_b32_e32 v6, 0x80000000, v6
	v_lshl_add_u32 v0, v0, 23, v54
	v_or3_b32 v4, v6, v0, v4
.LBB4_989:                              ;   in Loop: Header=BB4_354 Depth=4
	s_or_b64 exec, exec, s[38:39]
.LBB4_990:                              ;   in Loop: Header=BB4_354 Depth=4
	s_or_b64 exec, exec, s[28:29]
.LBB4_991:                              ;   in Loop: Header=BB4_354 Depth=4
	s_or_b64 exec, exec, s[40:41]
	v_cmp_ne_u16_sdwa s[40:41], v2, v3 src0_sel:BYTE_0 src1_sel:DWORD
	s_and_saveexec_b64 s[28:29], s[40:41]
	s_cbranch_execz .LBB4_997
; %bb.992:                              ;   in Loop: Header=BB4_354 Depth=4
	v_cmp_ne_u16_sdwa vcc, v2, s80 src0_sel:BYTE_0 src1_sel:DWORD
	v_bfrev_b32_e32 v5, 1
	s_and_saveexec_b64 s[40:41], vcc
	s_cbranch_execz .LBB4_996
; %bb.993:                              ;   in Loop: Header=BB4_354 Depth=4
	v_bfe_u32 v0, v19, 16, 7
	v_cmp_ne_u32_e32 vcc, s81, v0
	v_mov_b32_e32 v5, 0x7f800001
	s_and_saveexec_b64 s[38:39], vcc
	s_cbranch_execz .LBB4_995
; %bb.994:                              ;   in Loop: Header=BB4_354 Depth=4
	v_and_b32_e32 v16, 7, v2
	v_lshrrev_b32_e32 v17, 3, v0
	v_cmp_gt_u32_e32 vcc, 8, v0
	v_ffbh_u32_e32 v0, v16
	v_min_u32_e32 v0, 32, v0
	v_subrev_u32_e32 v5, 28, v0
	v_lshlrev_b64 v[5:6], v5, v[2:3]
	v_sub_u32_e32 v0, 29, v0
	v_and_b32_e32 v5, 7, v5
	v_cndmask_b32_e32 v0, v17, v0, vcc
	v_cndmask_b32_e32 v5, v16, v5, vcc
	v_lshlrev_b32_e32 v2, 24, v2
	v_lshlrev_b32_e32 v5, 20, v5
	v_and_b32_e32 v2, 0x80000000, v2
	v_lshl_add_u32 v0, v0, 23, v54
	v_or3_b32 v5, v2, v0, v5
.LBB4_995:                              ;   in Loop: Header=BB4_354 Depth=4
	s_or_b64 exec, exec, s[38:39]
.LBB4_996:                              ;   in Loop: Header=BB4_354 Depth=4
	s_or_b64 exec, exec, s[40:41]
.LBB4_997:                              ;   in Loop: Header=BB4_354 Depth=4
	s_or_b64 exec, exec, s[28:29]
	v_max_f32_e32 v0, v5, v5
	v_max_f32_e32 v2, v4, v4
	v_min_f32_e32 v4, v2, v0
.LBB4_998:                              ;   in Loop: Header=BB4_354 Depth=4
	v_and_b32_e32 v2, 0x7f800000, v4
	v_cmp_ne_u64_e32 vcc, s[76:77], v[2:3]
                                        ; implicit-def: $vgpr45
	s_and_saveexec_b64 s[28:29], vcc
	s_xor_b64 s[40:41], exec, s[28:29]
	s_cbranch_execz .LBB4_1012
; %bb.999:                              ;   in Loop: Header=BB4_354 Depth=4
	v_and_b32_e32 v2, 0x7fffffff, v4
	v_cmp_gt_u64_e32 vcc, s[78:79], v[2:3]
	v_and_b32_sdwa v6, v4, s80 dst_sel:DWORD dst_unused:UNUSED_PAD src0_sel:BYTE_3 src1_sel:DWORD
                                        ; implicit-def: $vgpr45
	s_and_saveexec_b64 s[28:29], vcc
	s_xor_b64 s[38:39], exec, s[28:29]
	s_cbranch_execz .LBB4_1009
; %bb.1000:                             ;   in Loop: Header=BB4_354 Depth=4
	v_mov_b32_e32 v45, 0
	v_cmp_ne_u32_e32 vcc, 0, v4
	s_and_saveexec_b64 s[48:49], vcc
	s_cbranch_execz .LBB4_1008
; %bb.1001:                             ;   in Loop: Header=BB4_354 Depth=4
	v_bfe_u32 v50, v4, 23, 8
	v_cmp_gt_u32_e64 s[28:29], s83, v50
	v_sub_u32_e32 v2, 0x79, v50
	v_and_b32_e32 v0, 0x7fffff, v4
	v_cmp_eq_u32_e32 vcc, 0, v50
	v_cndmask_b32_e64 v2, 0, v2, s[28:29]
	v_mov_b32_e32 v5, 0x78
	v_or_b32_e32 v4, 0x800000, v0
	v_cndmask_b32_e32 v55, v2, v5, vcc
	v_cndmask_b32_e32 v2, v4, v0, vcc
	v_add_u32_e32 v0, 20, v55
	v_lshlrev_b64 v[4:5], v0, -1
	v_add_u32_e32 v0, 19, v55
	v_lshlrev_b64 v[16:17], v0, 1
	v_bfi_b32 v5, v5, 0, 0
	v_bfi_b32 v4, v4, 0, v2
	v_cmp_eq_u64_e64 s[28:29], v[4:5], v[16:17]
	v_lshrrev_b64 v[16:17], v55, v[2:3]
	v_mov_b32_e32 v4, v16
	v_mov_b32_e32 v5, v17
	s_and_saveexec_b64 s[50:51], s[28:29]
; %bb.1002:                             ;   in Loop: Header=BB4_354 Depth=4
	v_bfe_u32 v0, v16, 20, 1
	v_add_co_u32_e64 v0, s[28:29], v16, v0
	v_add_co_u32_e64 v4, s[28:29], -1, v0
; %bb.1003:                             ;   in Loop: Header=BB4_354 Depth=4
	s_or_b64 exec, exec, s[50:51]
	v_add_u32_e32 v0, 0xffffff81, v50
	v_mov_b32_e32 v2, 0xffffff82
	v_cndmask_b32_e32 v0, v0, v2, vcc
	v_lshrrev_b32_e32 v2, 23, v16
	v_add3_u32 v5, v55, v0, v2
	v_add_u32_e32 v0, 6, v5
	v_and_b32_e32 v2, 0xfffff, v4
	v_add_u32_e32 v2, v2, v16
	v_cmp_ne_u32_e32 vcc, 0, v0
                                        ; implicit-def: $vgpr16_vgpr17
                                        ; implicit-def: $vgpr4
	s_and_saveexec_b64 s[28:29], vcc
	s_xor_b64 s[28:29], exec, s[28:29]
; %bb.1004:                             ;   in Loop: Header=BB4_354 Depth=4
	v_cmp_lt_u64_e32 vcc, s[88:89], v[2:3]
	v_add_u32_e32 v4, 7, v5
	v_cndmask_b32_e32 v4, v0, v4, vcc
	v_cndmask_b32_e64 v0, 0, 1, vcc
	v_lshrrev_b64 v[16:17], v0, v[2:3]
; %bb.1005:                             ;   in Loop: Header=BB4_354 Depth=4
	s_andn2_saveexec_b64 s[28:29], s[28:29]
; %bb.1006:                             ;   in Loop: Header=BB4_354 Depth=4
	v_mov_b32_e32 v17, v3
	v_bfe_u32 v4, v2, 23, 1
	v_mov_b32_e32 v16, v2
; %bb.1007:                             ;   in Loop: Header=BB4_354 Depth=4
	s_or_b64 exec, exec, s[28:29]
	v_lshrrev_b64 v[16:17], 20, v[16:17]
	v_cmp_gt_i32_e32 vcc, 16, v4
	v_cndmask_b32_e32 v17, 0, v17, vcc
	v_cndmask_b32_e32 v16, 7, v16, vcc
	v_min_i32_e32 v0, 15, v4
	v_cmp_eq_u64_e64 s[28:29], 0, v[16:17]
	v_lshlrev_b32_e32 v0, 3, v0
	v_cmp_eq_u32_e32 vcc, 0, v4
	v_and_b32_e32 v0, 0xf8, v0
	v_and_or_b32 v0, v16, 7, v0
	s_and_b64 s[28:29], vcc, s[28:29]
	v_cndmask_b32_e64 v0, v0, 0, s[28:29]
	v_or_b32_e32 v45, v0, v6
.LBB4_1008:                             ;   in Loop: Header=BB4_354 Depth=4
	s_or_b64 exec, exec, s[48:49]
                                        ; implicit-def: $vgpr6
.LBB4_1009:                             ;   in Loop: Header=BB4_354 Depth=4
	s_andn2_saveexec_b64 s[28:29], s[38:39]
; %bb.1010:                             ;   in Loop: Header=BB4_354 Depth=4
	v_or_b32_e32 v45, 0x7e, v6
; %bb.1011:                             ;   in Loop: Header=BB4_354 Depth=4
	s_or_b64 exec, exec, s[28:29]
                                        ; implicit-def: $vgpr4
.LBB4_1012:                             ;   in Loop: Header=BB4_354 Depth=4
	s_andn2_saveexec_b64 s[28:29], s[40:41]
; %bb.1013:                             ;   in Loop: Header=BB4_354 Depth=4
	v_or_b32_sdwa v45, v4, s81 dst_sel:DWORD dst_unused:UNUSED_PAD src0_sel:BYTE_3 src1_sel:DWORD
; %bb.1014:                             ;   in Loop: Header=BB4_354 Depth=4
	s_or_b64 exec, exec, s[28:29]
	v_cmp_lt_u64_e64 s[28:29], s[62:63], v[22:23]
	v_lshrrev_b32_e32 v16, 24, v23
	v_lshrrev_b32_e32 v2, 24, v19
	s_mov_b64 s[40:41], -1
	s_and_b64 vcc, exec, s[46:47]
                                        ; implicit-def: $vgpr4
	s_cbranch_vccz .LBB4_1028
; %bb.1015:                             ;   in Loop: Header=BB4_354 Depth=4
	v_mov_b32_e32 v5, 0
	v_mov_b32_e32 v4, 0
	s_and_saveexec_b64 s[40:41], s[28:29]
	s_cbranch_execz .LBB4_1021
; %bb.1016:                             ;   in Loop: Header=BB4_354 Depth=4
	v_cmp_ne_u32_e32 vcc, s80, v16
	v_bfrev_b32_e32 v4, 1
	s_and_saveexec_b64 s[38:39], vcc
	s_cbranch_execz .LBB4_1020
; %bb.1017:                             ;   in Loop: Header=BB4_354 Depth=4
	v_bfe_u32 v0, v23, 24, 7
	v_cmp_ne_u32_e32 vcc, s81, v0
	v_mov_b32_e32 v4, 0x7f800001
	s_and_saveexec_b64 s[48:49], vcc
	s_cbranch_execz .LBB4_1019
; %bb.1018:                             ;   in Loop: Header=BB4_354 Depth=4
	v_and_b32_e32 v4, 7, v16
	v_lshrrev_b32_e32 v6, 3, v0
	v_cmp_gt_u32_e32 vcc, 8, v0
	v_ffbh_u32_e32 v0, v4
	v_min_u32_e32 v0, 32, v0
	v_subrev_u32_e32 v17, 28, v0
	v_lshlrev_b64 v[42:43], v17, v[16:17]
	v_sub_u32_e32 v0, 29, v0
	v_and_b32_e32 v17, 7, v42
	v_cndmask_b32_e32 v0, v6, v0, vcc
	v_cndmask_b32_e32 v4, v4, v17, vcc
	v_lshlrev_b32_e32 v6, 24, v16
	v_lshlrev_b32_e32 v4, 20, v4
	v_and_b32_e32 v6, 0x80000000, v6
	v_lshl_add_u32 v0, v0, 23, v54
	v_or3_b32 v4, v6, v0, v4
.LBB4_1019:                             ;   in Loop: Header=BB4_354 Depth=4
	s_or_b64 exec, exec, s[48:49]
.LBB4_1020:                             ;   in Loop: Header=BB4_354 Depth=4
	s_or_b64 exec, exec, s[38:39]
.LBB4_1021:                             ;   in Loop: Header=BB4_354 Depth=4
	s_or_b64 exec, exec, s[40:41]
	v_cmp_lt_u64_e32 vcc, s[62:63], v[18:19]
	s_and_saveexec_b64 s[40:41], vcc
	s_cbranch_execz .LBB4_1027
; %bb.1022:                             ;   in Loop: Header=BB4_354 Depth=4
	v_cmp_ne_u32_e32 vcc, s80, v2
	v_bfrev_b32_e32 v5, 1
	s_and_saveexec_b64 s[38:39], vcc
	s_cbranch_execz .LBB4_1026
; %bb.1023:                             ;   in Loop: Header=BB4_354 Depth=4
	v_bfe_u32 v0, v19, 24, 7
	v_cmp_ne_u32_e32 vcc, s81, v0
	v_mov_b32_e32 v5, 0x7f800001
	s_and_saveexec_b64 s[48:49], vcc
	s_cbranch_execz .LBB4_1025
; %bb.1024:                             ;   in Loop: Header=BB4_354 Depth=4
	v_and_b32_e32 v17, 7, v2
	v_lshrrev_b32_e32 v22, 3, v0
	v_cmp_gt_u32_e32 vcc, 8, v0
	v_ffbh_u32_e32 v0, v17
	v_min_u32_e32 v0, 32, v0
	v_subrev_u32_e32 v5, 28, v0
	v_lshlrev_b64 v[5:6], v5, v[2:3]
	v_sub_u32_e32 v0, 29, v0
	v_and_b32_e32 v5, 7, v5
	v_cndmask_b32_e32 v0, v22, v0, vcc
	v_cndmask_b32_e32 v5, v17, v5, vcc
	v_lshlrev_b32_e32 v6, 24, v2
	v_lshlrev_b32_e32 v5, 20, v5
	v_and_b32_e32 v6, 0x80000000, v6
	v_lshl_add_u32 v0, v0, 23, v54
	v_or3_b32 v5, v6, v0, v5
.LBB4_1025:                             ;   in Loop: Header=BB4_354 Depth=4
	s_or_b64 exec, exec, s[48:49]
.LBB4_1026:                             ;   in Loop: Header=BB4_354 Depth=4
	s_or_b64 exec, exec, s[38:39]
.LBB4_1027:                             ;   in Loop: Header=BB4_354 Depth=4
	s_or_b64 exec, exec, s[40:41]
	v_max_f32_e32 v0, v5, v5
	v_max_f32_e32 v4, v4, v4
	;; [unrolled: 1-line block ×3, first 2 shown]
	s_mov_b64 s[40:41], 0
.LBB4_1028:                             ;   in Loop: Header=BB4_354 Depth=4
	s_and_b64 vcc, exec, s[40:41]
	s_cbranch_vccz .LBB4_1042
; %bb.1029:                             ;   in Loop: Header=BB4_354 Depth=4
	v_mov_b32_e32 v5, 0
	v_mov_b32_e32 v4, 0
	s_and_saveexec_b64 s[40:41], s[28:29]
	s_cbranch_execz .LBB4_1035
; %bb.1030:                             ;   in Loop: Header=BB4_354 Depth=4
	v_cmp_ne_u32_e32 vcc, s80, v16
	v_bfrev_b32_e32 v4, 1
	s_and_saveexec_b64 s[28:29], vcc
	s_cbranch_execz .LBB4_1034
; %bb.1031:                             ;   in Loop: Header=BB4_354 Depth=4
	v_bfe_u32 v0, v23, 24, 7
	v_cmp_ne_u32_e32 vcc, s81, v0
	v_mov_b32_e32 v4, 0x7f800001
	s_and_saveexec_b64 s[38:39], vcc
	s_cbranch_execz .LBB4_1033
; %bb.1032:                             ;   in Loop: Header=BB4_354 Depth=4
	v_and_b32_e32 v4, 7, v16
	v_lshrrev_b32_e32 v6, 3, v0
	v_cmp_gt_u32_e32 vcc, 8, v0
	v_ffbh_u32_e32 v0, v4
	v_min_u32_e32 v0, 32, v0
	v_subrev_u32_e32 v17, 28, v0
	v_lshlrev_b64 v[22:23], v17, v[16:17]
	v_sub_u32_e32 v0, 29, v0
	v_and_b32_e32 v17, 7, v22
	v_cndmask_b32_e32 v0, v6, v0, vcc
	v_cndmask_b32_e32 v4, v4, v17, vcc
	v_lshlrev_b32_e32 v6, 24, v16
	v_lshlrev_b32_e32 v4, 20, v4
	v_and_b32_e32 v6, 0x80000000, v6
	v_lshl_add_u32 v0, v0, 23, v54
	v_or3_b32 v4, v6, v0, v4
.LBB4_1033:                             ;   in Loop: Header=BB4_354 Depth=4
	s_or_b64 exec, exec, s[38:39]
.LBB4_1034:                             ;   in Loop: Header=BB4_354 Depth=4
	s_or_b64 exec, exec, s[28:29]
.LBB4_1035:                             ;   in Loop: Header=BB4_354 Depth=4
	s_or_b64 exec, exec, s[40:41]
	v_cmp_lt_u64_e32 vcc, s[62:63], v[18:19]
	s_and_saveexec_b64 s[28:29], vcc
	s_cbranch_execz .LBB4_1041
; %bb.1036:                             ;   in Loop: Header=BB4_354 Depth=4
	v_cmp_ne_u32_e32 vcc, s80, v2
	v_bfrev_b32_e32 v5, 1
	s_and_saveexec_b64 s[40:41], vcc
	s_cbranch_execz .LBB4_1040
; %bb.1037:                             ;   in Loop: Header=BB4_354 Depth=4
	v_bfe_u32 v0, v19, 24, 7
	v_cmp_ne_u32_e32 vcc, s81, v0
	v_mov_b32_e32 v5, 0x7f800001
	s_and_saveexec_b64 s[38:39], vcc
	s_cbranch_execz .LBB4_1039
; %bb.1038:                             ;   in Loop: Header=BB4_354 Depth=4
	v_and_b32_e32 v16, 7, v2
	v_lshrrev_b32_e32 v17, 3, v0
	v_cmp_gt_u32_e32 vcc, 8, v0
	v_ffbh_u32_e32 v0, v16
	v_min_u32_e32 v0, 32, v0
	v_subrev_u32_e32 v5, 28, v0
	v_lshlrev_b64 v[5:6], v5, v[2:3]
	v_sub_u32_e32 v0, 29, v0
	v_and_b32_e32 v5, 7, v5
	v_cndmask_b32_e32 v0, v17, v0, vcc
	v_cndmask_b32_e32 v5, v16, v5, vcc
	v_lshlrev_b32_e32 v2, 24, v2
	v_lshlrev_b32_e32 v5, 20, v5
	v_and_b32_e32 v2, 0x80000000, v2
	v_lshl_add_u32 v0, v0, 23, v54
	v_or3_b32 v5, v2, v0, v5
.LBB4_1039:                             ;   in Loop: Header=BB4_354 Depth=4
	s_or_b64 exec, exec, s[38:39]
.LBB4_1040:                             ;   in Loop: Header=BB4_354 Depth=4
	s_or_b64 exec, exec, s[40:41]
.LBB4_1041:                             ;   in Loop: Header=BB4_354 Depth=4
	s_or_b64 exec, exec, s[28:29]
	v_max_f32_e32 v0, v5, v5
	v_max_f32_e32 v2, v4, v4
	v_min_f32_e32 v4, v2, v0
.LBB4_1042:                             ;   in Loop: Header=BB4_354 Depth=4
	v_and_b32_e32 v2, 0x7f800000, v4
	v_cmp_ne_u64_e32 vcc, s[76:77], v[2:3]
                                        ; implicit-def: $vgpr19
	s_and_saveexec_b64 s[28:29], vcc
	s_xor_b64 s[40:41], exec, s[28:29]
	s_cbranch_execz .LBB4_1056
; %bb.1043:                             ;   in Loop: Header=BB4_354 Depth=4
	v_and_b32_e32 v2, 0x7fffffff, v4
	v_cmp_gt_u64_e32 vcc, s[78:79], v[2:3]
	v_and_b32_sdwa v6, v4, s80 dst_sel:DWORD dst_unused:UNUSED_PAD src0_sel:BYTE_3 src1_sel:DWORD
                                        ; implicit-def: $vgpr19
	s_and_saveexec_b64 s[28:29], vcc
	s_xor_b64 s[38:39], exec, s[28:29]
	s_cbranch_execz .LBB4_1053
; %bb.1044:                             ;   in Loop: Header=BB4_354 Depth=4
	v_mov_b32_e32 v19, 0
	v_cmp_ne_u32_e32 vcc, 0, v4
	s_and_saveexec_b64 s[48:49], vcc
	s_cbranch_execz .LBB4_1052
; %bb.1045:                             ;   in Loop: Header=BB4_354 Depth=4
	v_bfe_u32 v18, v4, 23, 8
	v_cmp_gt_u32_e64 s[28:29], s83, v18
	v_sub_u32_e32 v2, 0x79, v18
	v_and_b32_e32 v0, 0x7fffff, v4
	v_cmp_eq_u32_e32 vcc, 0, v18
	v_cndmask_b32_e64 v2, 0, v2, s[28:29]
	v_mov_b32_e32 v5, 0x78
	v_or_b32_e32 v4, 0x800000, v0
	v_cndmask_b32_e32 v19, v2, v5, vcc
	v_cndmask_b32_e32 v2, v4, v0, vcc
	v_add_u32_e32 v0, 20, v19
	v_lshlrev_b64 v[4:5], v0, -1
	v_add_u32_e32 v0, 19, v19
	v_lshlrev_b64 v[16:17], v0, 1
	v_bfi_b32 v5, v5, 0, 0
	v_bfi_b32 v4, v4, 0, v2
	v_cmp_eq_u64_e64 s[28:29], v[4:5], v[16:17]
	v_lshrrev_b64 v[16:17], v19, v[2:3]
	v_mov_b32_e32 v4, v16
	v_mov_b32_e32 v5, v17
	s_and_saveexec_b64 s[50:51], s[28:29]
; %bb.1046:                             ;   in Loop: Header=BB4_354 Depth=4
	v_bfe_u32 v0, v16, 20, 1
	v_add_co_u32_e64 v0, s[28:29], v16, v0
	v_add_co_u32_e64 v4, s[28:29], -1, v0
; %bb.1047:                             ;   in Loop: Header=BB4_354 Depth=4
	s_or_b64 exec, exec, s[50:51]
	v_add_u32_e32 v0, 0xffffff81, v18
	v_mov_b32_e32 v2, 0xffffff82
	v_cndmask_b32_e32 v0, v0, v2, vcc
	v_lshrrev_b32_e32 v2, 23, v16
	v_add3_u32 v5, v19, v0, v2
	v_add_u32_e32 v0, 6, v5
	v_and_b32_e32 v2, 0xfffff, v4
	v_add_u32_e32 v2, v2, v16
	v_cmp_ne_u32_e32 vcc, 0, v0
                                        ; implicit-def: $vgpr16_vgpr17
                                        ; implicit-def: $vgpr4
	s_and_saveexec_b64 s[28:29], vcc
	s_xor_b64 s[28:29], exec, s[28:29]
; %bb.1048:                             ;   in Loop: Header=BB4_354 Depth=4
	v_cmp_lt_u64_e32 vcc, s[88:89], v[2:3]
	v_add_u32_e32 v4, 7, v5
	v_cndmask_b32_e32 v4, v0, v4, vcc
	v_cndmask_b32_e64 v0, 0, 1, vcc
	v_lshrrev_b64 v[16:17], v0, v[2:3]
; %bb.1049:                             ;   in Loop: Header=BB4_354 Depth=4
	s_andn2_saveexec_b64 s[28:29], s[28:29]
; %bb.1050:                             ;   in Loop: Header=BB4_354 Depth=4
	v_mov_b32_e32 v17, v3
	v_bfe_u32 v4, v2, 23, 1
	v_mov_b32_e32 v16, v2
; %bb.1051:                             ;   in Loop: Header=BB4_354 Depth=4
	s_or_b64 exec, exec, s[28:29]
	v_lshrrev_b64 v[16:17], 20, v[16:17]
	v_cmp_gt_i32_e32 vcc, 16, v4
	v_cndmask_b32_e32 v17, 0, v17, vcc
	v_cndmask_b32_e32 v16, 7, v16, vcc
	v_min_i32_e32 v0, 15, v4
	v_cmp_eq_u64_e64 s[28:29], 0, v[16:17]
	v_lshlrev_b32_e32 v0, 3, v0
	v_cmp_eq_u32_e32 vcc, 0, v4
	v_and_b32_e32 v0, 0xf8, v0
	v_and_or_b32 v0, v16, 7, v0
	s_and_b64 s[28:29], vcc, s[28:29]
	v_cndmask_b32_e64 v0, v0, 0, s[28:29]
	v_or_b32_e32 v19, v0, v6
.LBB4_1052:                             ;   in Loop: Header=BB4_354 Depth=4
	s_or_b64 exec, exec, s[48:49]
                                        ; implicit-def: $vgpr6
.LBB4_1053:                             ;   in Loop: Header=BB4_354 Depth=4
	s_andn2_saveexec_b64 s[28:29], s[38:39]
; %bb.1054:                             ;   in Loop: Header=BB4_354 Depth=4
	v_or_b32_e32 v19, 0x7e, v6
; %bb.1055:                             ;   in Loop: Header=BB4_354 Depth=4
	s_or_b64 exec, exec, s[28:29]
                                        ; implicit-def: $vgpr4
.LBB4_1056:                             ;   in Loop: Header=BB4_354 Depth=4
	s_andn2_saveexec_b64 s[28:29], s[40:41]
; %bb.1057:                             ;   in Loop: Header=BB4_354 Depth=4
	v_or_b32_sdwa v19, v4, s81 dst_sel:DWORD dst_unused:UNUSED_PAD src0_sel:BYTE_3 src1_sel:DWORD
; %bb.1058:                             ;   in Loop: Header=BB4_354 Depth=4
	s_or_b64 exec, exec, s[28:29]
	v_cndmask_b32_e64 v0, 0, 1, s[46:47]
	v_cmp_ne_u16_sdwa s[40:41], v12, v3 src0_sel:BYTE_0 src1_sel:DWORD
	v_cmp_ne_u32_e64 s[28:29], 1, v0
	s_andn2_b64 vcc, exec, s[46:47]
	s_mov_b64 s[38:39], -1
                                        ; implicit-def: $vgpr4
	s_cbranch_vccnz .LBB4_1072
; %bb.1059:                             ;   in Loop: Header=BB4_354 Depth=4
	v_mov_b32_e32 v4, 0
	v_mov_b32_e32 v2, 0
	s_and_saveexec_b64 s[38:39], s[40:41]
	s_cbranch_execz .LBB4_1065
; %bb.1060:                             ;   in Loop: Header=BB4_354 Depth=4
	v_cmp_ne_u16_sdwa vcc, v12, s80 src0_sel:BYTE_0 src1_sel:DWORD
	v_bfrev_b32_e32 v2, 1
	s_and_saveexec_b64 s[48:49], vcc
	s_cbranch_execz .LBB4_1064
; %bb.1061:                             ;   in Loop: Header=BB4_354 Depth=4
	v_and_b32_e32 v0, 0x7f, v12
	v_cmp_ne_u32_e32 vcc, s81, v0
	v_mov_b32_e32 v2, 0x7f800001
	s_and_saveexec_b64 s[50:51], vcc
	s_cbranch_execz .LBB4_1063
; %bb.1062:                             ;   in Loop: Header=BB4_354 Depth=4
	v_and_b32_e32 v2, 7, v12
	v_lshrrev_b32_e32 v5, 3, v0
	v_cmp_gt_u32_e32 vcc, 8, v0
	v_ffbh_u32_e32 v0, v2
	v_min_u32_e32 v0, 32, v0
	v_subrev_u32_e32 v2, 28, v0
	v_sub_u32_e32 v0, 29, v0
	v_cndmask_b32_e32 v2, 0, v2, vcc
	v_cndmask_b32_e32 v0, v5, v0, vcc
	v_lshlrev_b64 v[5:6], v2, v[12:13]
	v_lshl_add_u32 v0, v0, 23, v54
	v_lshlrev_b32_e32 v2, 20, v5
	v_lshlrev_b32_e32 v5, 24, v12
	v_and_b32_e32 v2, 0x700000, v2
	v_and_b32_e32 v5, 0x80000000, v5
	v_or3_b32 v2, v5, v0, v2
.LBB4_1063:                             ;   in Loop: Header=BB4_354 Depth=4
	s_or_b64 exec, exec, s[50:51]
.LBB4_1064:                             ;   in Loop: Header=BB4_354 Depth=4
	s_or_b64 exec, exec, s[48:49]
.LBB4_1065:                             ;   in Loop: Header=BB4_354 Depth=4
	s_or_b64 exec, exec, s[38:39]
	s_waitcnt vmcnt(0)
	v_cmp_ne_u16_sdwa vcc, v8, v3 src0_sel:BYTE_0 src1_sel:DWORD
	s_and_saveexec_b64 s[38:39], vcc
	s_cbranch_execz .LBB4_1071
; %bb.1066:                             ;   in Loop: Header=BB4_354 Depth=4
	v_cmp_ne_u16_sdwa vcc, v8, s80 src0_sel:BYTE_0 src1_sel:DWORD
	v_bfrev_b32_e32 v4, 1
	s_and_saveexec_b64 s[48:49], vcc
	s_cbranch_execz .LBB4_1070
; %bb.1067:                             ;   in Loop: Header=BB4_354 Depth=4
	v_and_b32_e32 v0, 0x7f, v8
	v_cmp_ne_u32_e32 vcc, s81, v0
	v_mov_b32_e32 v4, 0x7f800001
	s_and_saveexec_b64 s[50:51], vcc
	s_cbranch_execz .LBB4_1069
; %bb.1068:                             ;   in Loop: Header=BB4_354 Depth=4
	v_and_b32_e32 v4, 7, v8
	v_lshrrev_b32_e32 v5, 3, v0
	v_cmp_gt_u32_e32 vcc, 8, v0
	v_ffbh_u32_e32 v0, v4
	v_min_u32_e32 v0, 32, v0
	v_subrev_u32_e32 v4, 28, v0
	v_sub_u32_e32 v0, 29, v0
	v_cndmask_b32_e32 v4, 0, v4, vcc
	v_cndmask_b32_e32 v0, v5, v0, vcc
	v_lshlrev_b64 v[4:5], v4, v[8:9]
	v_lshlrev_b32_e32 v5, 24, v8
	v_lshlrev_b32_e32 v4, 20, v4
	v_and_b32_e32 v4, 0x700000, v4
	v_and_b32_e32 v5, 0x80000000, v5
	v_lshl_add_u32 v0, v0, 23, v54
	v_or3_b32 v4, v5, v0, v4
.LBB4_1069:                             ;   in Loop: Header=BB4_354 Depth=4
	s_or_b64 exec, exec, s[50:51]
.LBB4_1070:                             ;   in Loop: Header=BB4_354 Depth=4
	s_or_b64 exec, exec, s[48:49]
.LBB4_1071:                             ;   in Loop: Header=BB4_354 Depth=4
	s_or_b64 exec, exec, s[38:39]
	v_max_f32_e32 v0, v4, v4
	v_max_f32_e32 v2, v2, v2
	;; [unrolled: 1-line block ×3, first 2 shown]
	s_mov_b64 s[38:39], 0
.LBB4_1072:                             ;   in Loop: Header=BB4_354 Depth=4
	s_and_b64 vcc, exec, s[38:39]
	s_cbranch_vccz .LBB4_1086
; %bb.1073:                             ;   in Loop: Header=BB4_354 Depth=4
	v_mov_b32_e32 v4, 0
	v_mov_b32_e32 v2, 0
	s_and_saveexec_b64 s[38:39], s[40:41]
	s_cbranch_execz .LBB4_1079
; %bb.1074:                             ;   in Loop: Header=BB4_354 Depth=4
	v_cmp_ne_u16_sdwa vcc, v12, s80 src0_sel:BYTE_0 src1_sel:DWORD
	v_bfrev_b32_e32 v2, 1
	s_and_saveexec_b64 s[40:41], vcc
	s_cbranch_execz .LBB4_1078
; %bb.1075:                             ;   in Loop: Header=BB4_354 Depth=4
	v_and_b32_e32 v0, 0x7f, v12
	v_cmp_ne_u32_e32 vcc, s81, v0
	v_mov_b32_e32 v2, 0x7f800001
	s_and_saveexec_b64 s[48:49], vcc
	s_cbranch_execz .LBB4_1077
; %bb.1076:                             ;   in Loop: Header=BB4_354 Depth=4
	v_and_b32_e32 v2, 7, v12
	v_lshrrev_b32_e32 v5, 3, v0
	v_cmp_gt_u32_e32 vcc, 8, v0
	v_ffbh_u32_e32 v0, v2
	v_min_u32_e32 v0, 32, v0
	v_subrev_u32_e32 v2, 28, v0
	v_sub_u32_e32 v0, 29, v0
	v_cndmask_b32_e32 v2, 0, v2, vcc
	v_cndmask_b32_e32 v0, v5, v0, vcc
	v_lshlrev_b64 v[5:6], v2, v[12:13]
	v_lshl_add_u32 v0, v0, 23, v54
	v_lshlrev_b32_e32 v2, 20, v5
	v_lshlrev_b32_e32 v5, 24, v12
	v_and_b32_e32 v2, 0x700000, v2
	v_and_b32_e32 v5, 0x80000000, v5
	v_or3_b32 v2, v5, v0, v2
.LBB4_1077:                             ;   in Loop: Header=BB4_354 Depth=4
	s_or_b64 exec, exec, s[48:49]
.LBB4_1078:                             ;   in Loop: Header=BB4_354 Depth=4
	s_or_b64 exec, exec, s[40:41]
.LBB4_1079:                             ;   in Loop: Header=BB4_354 Depth=4
	s_or_b64 exec, exec, s[38:39]
	s_waitcnt vmcnt(0)
	v_cmp_ne_u16_sdwa vcc, v8, v3 src0_sel:BYTE_0 src1_sel:DWORD
	s_and_saveexec_b64 s[40:41], vcc
	s_cbranch_execz .LBB4_1085
; %bb.1080:                             ;   in Loop: Header=BB4_354 Depth=4
	v_cmp_ne_u16_sdwa vcc, v8, s80 src0_sel:BYTE_0 src1_sel:DWORD
	v_bfrev_b32_e32 v4, 1
	s_and_saveexec_b64 s[38:39], vcc
	s_cbranch_execz .LBB4_1084
; %bb.1081:                             ;   in Loop: Header=BB4_354 Depth=4
	v_and_b32_e32 v0, 0x7f, v8
	v_cmp_ne_u32_e32 vcc, s81, v0
	v_mov_b32_e32 v4, 0x7f800001
	s_and_saveexec_b64 s[48:49], vcc
	s_cbranch_execz .LBB4_1083
; %bb.1082:                             ;   in Loop: Header=BB4_354 Depth=4
	v_and_b32_e32 v4, 7, v8
	v_lshrrev_b32_e32 v5, 3, v0
	v_cmp_gt_u32_e32 vcc, 8, v0
	v_ffbh_u32_e32 v0, v4
	v_min_u32_e32 v0, 32, v0
	v_subrev_u32_e32 v4, 28, v0
	v_sub_u32_e32 v0, 29, v0
	v_cndmask_b32_e32 v4, 0, v4, vcc
	v_cndmask_b32_e32 v0, v5, v0, vcc
	v_lshlrev_b64 v[4:5], v4, v[8:9]
	v_lshlrev_b32_e32 v5, 24, v8
	v_lshlrev_b32_e32 v4, 20, v4
	v_and_b32_e32 v4, 0x700000, v4
	v_and_b32_e32 v5, 0x80000000, v5
	v_lshl_add_u32 v0, v0, 23, v54
	v_or3_b32 v4, v5, v0, v4
.LBB4_1083:                             ;   in Loop: Header=BB4_354 Depth=4
	s_or_b64 exec, exec, s[48:49]
.LBB4_1084:                             ;   in Loop: Header=BB4_354 Depth=4
	s_or_b64 exec, exec, s[38:39]
.LBB4_1085:                             ;   in Loop: Header=BB4_354 Depth=4
	s_or_b64 exec, exec, s[40:41]
	v_max_f32_e32 v0, v4, v4
	v_max_f32_e32 v2, v2, v2
	v_min_f32_e32 v4, v2, v0
.LBB4_1086:                             ;   in Loop: Header=BB4_354 Depth=4
	v_and_b32_e32 v2, 0x7f800000, v4
	v_cmp_ne_u64_e32 vcc, s[76:77], v[2:3]
                                        ; implicit-def: $vgpr22
	s_and_saveexec_b64 s[40:41], vcc
	s_xor_b64 s[38:39], exec, s[40:41]
	s_cbranch_execz .LBB4_1100
; %bb.1087:                             ;   in Loop: Header=BB4_354 Depth=4
	v_and_b32_e32 v2, 0x7fffffff, v4
	v_cmp_gt_u64_e32 vcc, s[78:79], v[2:3]
	v_and_b32_sdwa v6, v4, s80 dst_sel:DWORD dst_unused:UNUSED_PAD src0_sel:BYTE_3 src1_sel:DWORD
                                        ; implicit-def: $vgpr22
	s_and_saveexec_b64 s[40:41], vcc
	s_xor_b64 s[48:49], exec, s[40:41]
	s_cbranch_execz .LBB4_1097
; %bb.1088:                             ;   in Loop: Header=BB4_354 Depth=4
	v_mov_b32_e32 v22, 0
	v_cmp_ne_u32_e32 vcc, 0, v4
	s_and_saveexec_b64 s[50:51], vcc
	s_cbranch_execz .LBB4_1096
; %bb.1089:                             ;   in Loop: Header=BB4_354 Depth=4
	v_bfe_u32 v18, v4, 23, 8
	v_cmp_gt_u32_e64 s[40:41], s83, v18
	v_sub_u32_e32 v2, 0x79, v18
	v_and_b32_e32 v0, 0x7fffff, v4
	v_cmp_eq_u32_e32 vcc, 0, v18
	v_cndmask_b32_e64 v2, 0, v2, s[40:41]
	v_mov_b32_e32 v5, 0x78
	v_or_b32_e32 v4, 0x800000, v0
	v_cndmask_b32_e32 v22, v2, v5, vcc
	v_cndmask_b32_e32 v2, v4, v0, vcc
	v_add_u32_e32 v0, 20, v22
	v_lshlrev_b64 v[4:5], v0, -1
	v_add_u32_e32 v0, 19, v22
	v_lshlrev_b64 v[16:17], v0, 1
	v_bfi_b32 v5, v5, 0, 0
	v_bfi_b32 v4, v4, 0, v2
	v_cmp_eq_u64_e64 s[40:41], v[4:5], v[16:17]
	v_lshrrev_b64 v[16:17], v22, v[2:3]
	v_mov_b32_e32 v4, v16
	v_mov_b32_e32 v5, v17
	s_and_saveexec_b64 s[52:53], s[40:41]
; %bb.1090:                             ;   in Loop: Header=BB4_354 Depth=4
	v_bfe_u32 v0, v16, 20, 1
	v_add_co_u32_e64 v0, s[40:41], v16, v0
	v_add_co_u32_e64 v4, s[40:41], -1, v0
; %bb.1091:                             ;   in Loop: Header=BB4_354 Depth=4
	s_or_b64 exec, exec, s[52:53]
	v_add_u32_e32 v0, 0xffffff81, v18
	v_mov_b32_e32 v2, 0xffffff82
	v_cndmask_b32_e32 v0, v0, v2, vcc
	v_lshrrev_b32_e32 v2, 23, v16
	v_add3_u32 v18, v22, v0, v2
	v_add_u32_e32 v5, 6, v18
	v_and_b32_e32 v0, 0xfffff, v4
	v_add_u32_e32 v2, v0, v16
	v_cmp_ne_u32_e32 vcc, 0, v5
                                        ; implicit-def: $vgpr16_vgpr17
                                        ; implicit-def: $vgpr0
	s_and_saveexec_b64 s[40:41], vcc
	s_xor_b64 s[40:41], exec, s[40:41]
; %bb.1092:                             ;   in Loop: Header=BB4_354 Depth=4
	v_cmp_lt_u64_e32 vcc, s[88:89], v[2:3]
	v_add_u32_e32 v0, 7, v18
	v_cndmask_b32_e64 v4, 0, 1, vcc
	v_lshrrev_b64 v[16:17], v4, v[2:3]
	v_cndmask_b32_e32 v0, v5, v0, vcc
; %bb.1093:                             ;   in Loop: Header=BB4_354 Depth=4
	s_andn2_saveexec_b64 s[40:41], s[40:41]
; %bb.1094:                             ;   in Loop: Header=BB4_354 Depth=4
	v_mov_b32_e32 v17, v3
	v_bfe_u32 v0, v2, 23, 1
	v_mov_b32_e32 v16, v2
; %bb.1095:                             ;   in Loop: Header=BB4_354 Depth=4
	s_or_b64 exec, exec, s[40:41]
	v_lshrrev_b64 v[4:5], 20, v[16:17]
	v_cmp_gt_i32_e32 vcc, 16, v0
	v_cndmask_b32_e32 v5, 0, v5, vcc
	v_cndmask_b32_e32 v4, 7, v4, vcc
	v_cmp_eq_u32_e32 vcc, 0, v0
	v_min_i32_e32 v0, 15, v0
	v_cmp_eq_u64_e64 s[40:41], 0, v[4:5]
	v_lshlrev_b32_e32 v0, 3, v0
	v_and_b32_e32 v0, 0xf8, v0
	v_and_or_b32 v0, v4, 7, v0
	s_and_b64 s[40:41], vcc, s[40:41]
	v_cndmask_b32_e64 v0, v0, 0, s[40:41]
	v_or_b32_e32 v22, v0, v6
.LBB4_1096:                             ;   in Loop: Header=BB4_354 Depth=4
	s_or_b64 exec, exec, s[50:51]
                                        ; implicit-def: $vgpr6
.LBB4_1097:                             ;   in Loop: Header=BB4_354 Depth=4
	s_andn2_saveexec_b64 s[40:41], s[48:49]
; %bb.1098:                             ;   in Loop: Header=BB4_354 Depth=4
	v_or_b32_e32 v22, 0x7e, v6
; %bb.1099:                             ;   in Loop: Header=BB4_354 Depth=4
	s_or_b64 exec, exec, s[40:41]
                                        ; implicit-def: $vgpr4
.LBB4_1100:                             ;   in Loop: Header=BB4_354 Depth=4
	s_andn2_saveexec_b64 s[40:41], s[38:39]
; %bb.1101:                             ;   in Loop: Header=BB4_354 Depth=4
	v_or_b32_sdwa v22, v4, s81 dst_sel:DWORD dst_unused:UNUSED_PAD src0_sel:BYTE_3 src1_sel:DWORD
; %bb.1102:                             ;   in Loop: Header=BB4_354 Depth=4
	s_or_b64 exec, exec, s[40:41]
	v_lshrrev_b16_e32 v16, 8, v12
	s_waitcnt vmcnt(0)
	v_lshrrev_b16_e32 v2, 8, v8
	v_cmp_ne_u16_e64 s[40:41], 0, v16
	s_and_b64 vcc, exec, s[28:29]
	s_mov_b64 s[38:39], -1
                                        ; implicit-def: $vgpr4
	s_cbranch_vccnz .LBB4_1116
; %bb.1103:                             ;   in Loop: Header=BB4_354 Depth=4
	v_mov_b32_e32 v5, 0
	v_mov_b32_e32 v4, 0
	s_and_saveexec_b64 s[38:39], s[40:41]
	s_cbranch_execz .LBB4_1109
; %bb.1104:                             ;   in Loop: Header=BB4_354 Depth=4
	v_cmp_ne_u16_e32 vcc, s80, v16
	v_bfrev_b32_e32 v4, 1
	s_and_saveexec_b64 s[48:49], vcc
	s_cbranch_execz .LBB4_1108
; %bb.1105:                             ;   in Loop: Header=BB4_354 Depth=4
	v_and_b32_e32 v0, 0x7f, v16
	v_cmp_ne_u32_e32 vcc, s81, v0
	v_mov_b32_e32 v4, 0x7f800001
	s_and_saveexec_b64 s[50:51], vcc
	s_cbranch_execz .LBB4_1107
; %bb.1106:                             ;   in Loop: Header=BB4_354 Depth=4
	v_and_b32_e32 v4, 7, v16
	v_lshrrev_b32_e32 v6, 3, v0
	v_cmp_gt_u32_e32 vcc, 8, v0
	v_ffbh_u32_e32 v0, v4
	v_min_u32_e32 v0, 32, v0
	v_subrev_u32_e32 v17, 28, v0
	v_lshlrev_b64 v[17:18], v17, v[16:17]
	v_sub_u32_e32 v0, 29, v0
	v_and_b32_e32 v17, 7, v17
	v_cndmask_b32_e32 v0, v6, v0, vcc
	v_cndmask_b32_e32 v4, v4, v17, vcc
	v_lshlrev_b32_e32 v6, 16, v12
	v_lshlrev_b32_e32 v4, 20, v4
	v_and_b32_e32 v6, 0x80000000, v6
	v_lshl_add_u32 v0, v0, 23, v54
	v_or3_b32 v4, v6, v0, v4
.LBB4_1107:                             ;   in Loop: Header=BB4_354 Depth=4
	s_or_b64 exec, exec, s[50:51]
.LBB4_1108:                             ;   in Loop: Header=BB4_354 Depth=4
	s_or_b64 exec, exec, s[48:49]
.LBB4_1109:                             ;   in Loop: Header=BB4_354 Depth=4
	s_or_b64 exec, exec, s[38:39]
	v_cmp_ne_u16_e32 vcc, 0, v2
	s_and_saveexec_b64 s[38:39], vcc
	s_cbranch_execz .LBB4_1115
; %bb.1110:                             ;   in Loop: Header=BB4_354 Depth=4
	v_cmp_ne_u16_e32 vcc, s80, v2
	v_bfrev_b32_e32 v5, 1
	s_and_saveexec_b64 s[48:49], vcc
	s_cbranch_execz .LBB4_1114
; %bb.1111:                             ;   in Loop: Header=BB4_354 Depth=4
	v_and_b32_e32 v0, 0x7f, v2
	v_cmp_ne_u32_e32 vcc, s81, v0
	v_mov_b32_e32 v5, 0x7f800001
	s_and_saveexec_b64 s[50:51], vcc
	s_cbranch_execz .LBB4_1113
; %bb.1112:                             ;   in Loop: Header=BB4_354 Depth=4
	v_and_b32_e32 v17, 7, v2
	v_lshrrev_b32_e32 v18, 3, v0
	v_cmp_gt_u32_e32 vcc, 8, v0
	v_ffbh_u32_e32 v0, v17
	v_min_u32_e32 v0, 32, v0
	v_subrev_u32_e32 v5, 28, v0
	v_lshlrev_b64 v[5:6], v5, v[2:3]
	v_sub_u32_e32 v0, 29, v0
	v_and_b32_e32 v5, 7, v5
	v_cndmask_b32_e32 v0, v18, v0, vcc
	v_cndmask_b32_e32 v5, v17, v5, vcc
	v_lshlrev_b32_e32 v6, 16, v8
	v_lshlrev_b32_e32 v5, 20, v5
	v_and_b32_e32 v6, 0x80000000, v6
	v_lshl_add_u32 v0, v0, 23, v54
	v_or3_b32 v5, v6, v0, v5
.LBB4_1113:                             ;   in Loop: Header=BB4_354 Depth=4
	s_or_b64 exec, exec, s[50:51]
.LBB4_1114:                             ;   in Loop: Header=BB4_354 Depth=4
	s_or_b64 exec, exec, s[48:49]
.LBB4_1115:                             ;   in Loop: Header=BB4_354 Depth=4
	s_or_b64 exec, exec, s[38:39]
	v_max_f32_e32 v0, v5, v5
	v_max_f32_e32 v4, v4, v4
	;; [unrolled: 1-line block ×3, first 2 shown]
	s_mov_b64 s[38:39], 0
.LBB4_1116:                             ;   in Loop: Header=BB4_354 Depth=4
	s_and_b64 vcc, exec, s[38:39]
	s_cbranch_vccz .LBB4_1130
; %bb.1117:                             ;   in Loop: Header=BB4_354 Depth=4
	v_mov_b32_e32 v5, 0
	v_mov_b32_e32 v4, 0
	s_and_saveexec_b64 s[38:39], s[40:41]
	s_cbranch_execz .LBB4_1123
; %bb.1118:                             ;   in Loop: Header=BB4_354 Depth=4
	v_cmp_ne_u16_e32 vcc, s80, v16
	v_bfrev_b32_e32 v4, 1
	s_and_saveexec_b64 s[40:41], vcc
	s_cbranch_execz .LBB4_1122
; %bb.1119:                             ;   in Loop: Header=BB4_354 Depth=4
	v_and_b32_e32 v0, 0x7f, v16
	v_cmp_ne_u32_e32 vcc, s81, v0
	v_mov_b32_e32 v4, 0x7f800001
	s_and_saveexec_b64 s[48:49], vcc
	s_cbranch_execz .LBB4_1121
; %bb.1120:                             ;   in Loop: Header=BB4_354 Depth=4
	v_and_b32_e32 v4, 7, v16
	v_lshrrev_b32_e32 v6, 3, v0
	v_cmp_gt_u32_e32 vcc, 8, v0
	v_ffbh_u32_e32 v0, v4
	v_min_u32_e32 v0, 32, v0
	v_subrev_u32_e32 v17, 28, v0
	v_lshlrev_b64 v[16:17], v17, v[16:17]
	v_sub_u32_e32 v0, 29, v0
	v_and_b32_e32 v16, 7, v16
	v_cndmask_b32_e32 v0, v6, v0, vcc
	v_cndmask_b32_e32 v4, v4, v16, vcc
	v_lshlrev_b32_e32 v6, 16, v12
	v_lshlrev_b32_e32 v4, 20, v4
	v_and_b32_e32 v6, 0x80000000, v6
	v_lshl_add_u32 v0, v0, 23, v54
	v_or3_b32 v4, v6, v0, v4
.LBB4_1121:                             ;   in Loop: Header=BB4_354 Depth=4
	s_or_b64 exec, exec, s[48:49]
.LBB4_1122:                             ;   in Loop: Header=BB4_354 Depth=4
	s_or_b64 exec, exec, s[40:41]
.LBB4_1123:                             ;   in Loop: Header=BB4_354 Depth=4
	s_or_b64 exec, exec, s[38:39]
	v_cmp_ne_u16_e32 vcc, 0, v2
	s_and_saveexec_b64 s[40:41], vcc
	s_cbranch_execz .LBB4_1129
; %bb.1124:                             ;   in Loop: Header=BB4_354 Depth=4
	v_cmp_ne_u16_e32 vcc, s80, v2
	v_bfrev_b32_e32 v5, 1
	s_and_saveexec_b64 s[38:39], vcc
	s_cbranch_execz .LBB4_1128
; %bb.1125:                             ;   in Loop: Header=BB4_354 Depth=4
	v_and_b32_e32 v0, 0x7f, v2
	v_cmp_ne_u32_e32 vcc, s81, v0
	v_mov_b32_e32 v5, 0x7f800001
	s_and_saveexec_b64 s[48:49], vcc
	s_cbranch_execz .LBB4_1127
; %bb.1126:                             ;   in Loop: Header=BB4_354 Depth=4
	v_and_b32_e32 v16, 7, v2
	v_lshrrev_b32_e32 v17, 3, v0
	v_cmp_gt_u32_e32 vcc, 8, v0
	v_ffbh_u32_e32 v0, v16
	v_min_u32_e32 v0, 32, v0
	v_subrev_u32_e32 v5, 28, v0
	v_lshlrev_b64 v[5:6], v5, v[2:3]
	v_sub_u32_e32 v0, 29, v0
	v_and_b32_e32 v2, 7, v5
	v_cndmask_b32_e32 v0, v17, v0, vcc
	v_cndmask_b32_e32 v2, v16, v2, vcc
	v_lshlrev_b32_e32 v5, 16, v8
	v_lshlrev_b32_e32 v2, 20, v2
	v_and_b32_e32 v5, 0x80000000, v5
	v_lshl_add_u32 v0, v0, 23, v54
	v_or3_b32 v5, v5, v0, v2
.LBB4_1127:                             ;   in Loop: Header=BB4_354 Depth=4
	s_or_b64 exec, exec, s[48:49]
.LBB4_1128:                             ;   in Loop: Header=BB4_354 Depth=4
	s_or_b64 exec, exec, s[38:39]
.LBB4_1129:                             ;   in Loop: Header=BB4_354 Depth=4
	s_or_b64 exec, exec, s[40:41]
	v_max_f32_e32 v0, v5, v5
	v_max_f32_e32 v2, v4, v4
	v_min_f32_e32 v4, v2, v0
.LBB4_1130:                             ;   in Loop: Header=BB4_354 Depth=4
	v_and_b32_e32 v2, 0x7f800000, v4
	v_cmp_ne_u64_e32 vcc, s[76:77], v[2:3]
                                        ; implicit-def: $vgpr23
	s_and_saveexec_b64 s[40:41], vcc
	s_xor_b64 s[38:39], exec, s[40:41]
	s_cbranch_execz .LBB4_1144
; %bb.1131:                             ;   in Loop: Header=BB4_354 Depth=4
	v_and_b32_e32 v2, 0x7fffffff, v4
	v_cmp_gt_u64_e32 vcc, s[78:79], v[2:3]
	v_and_b32_sdwa v6, v4, s80 dst_sel:DWORD dst_unused:UNUSED_PAD src0_sel:BYTE_3 src1_sel:DWORD
                                        ; implicit-def: $vgpr23
	s_and_saveexec_b64 s[40:41], vcc
	s_xor_b64 s[48:49], exec, s[40:41]
	s_cbranch_execz .LBB4_1141
; %bb.1132:                             ;   in Loop: Header=BB4_354 Depth=4
	v_mov_b32_e32 v23, 0
	v_cmp_ne_u32_e32 vcc, 0, v4
	s_and_saveexec_b64 s[50:51], vcc
	s_cbranch_execz .LBB4_1140
; %bb.1133:                             ;   in Loop: Header=BB4_354 Depth=4
	v_bfe_u32 v18, v4, 23, 8
	v_cmp_gt_u32_e64 s[40:41], s83, v18
	v_sub_u32_e32 v2, 0x79, v18
	v_and_b32_e32 v0, 0x7fffff, v4
	v_cmp_eq_u32_e32 vcc, 0, v18
	v_cndmask_b32_e64 v2, 0, v2, s[40:41]
	v_mov_b32_e32 v5, 0x78
	v_or_b32_e32 v4, 0x800000, v0
	v_cndmask_b32_e32 v23, v2, v5, vcc
	v_cndmask_b32_e32 v2, v4, v0, vcc
	v_add_u32_e32 v0, 20, v23
	v_lshlrev_b64 v[4:5], v0, -1
	v_add_u32_e32 v0, 19, v23
	v_lshlrev_b64 v[16:17], v0, 1
	v_bfi_b32 v5, v5, 0, 0
	v_bfi_b32 v4, v4, 0, v2
	v_cmp_eq_u64_e64 s[40:41], v[4:5], v[16:17]
	v_lshrrev_b64 v[16:17], v23, v[2:3]
	v_mov_b32_e32 v4, v16
	v_mov_b32_e32 v5, v17
	s_and_saveexec_b64 s[52:53], s[40:41]
; %bb.1134:                             ;   in Loop: Header=BB4_354 Depth=4
	v_bfe_u32 v0, v16, 20, 1
	v_add_co_u32_e64 v0, s[40:41], v16, v0
	v_add_co_u32_e64 v4, s[40:41], -1, v0
; %bb.1135:                             ;   in Loop: Header=BB4_354 Depth=4
	s_or_b64 exec, exec, s[52:53]
	v_add_u32_e32 v0, 0xffffff81, v18
	v_mov_b32_e32 v2, 0xffffff82
	v_cndmask_b32_e32 v0, v0, v2, vcc
	v_lshrrev_b32_e32 v2, 23, v16
	v_add3_u32 v18, v23, v0, v2
	v_add_u32_e32 v5, 6, v18
	v_and_b32_e32 v0, 0xfffff, v4
	v_add_u32_e32 v2, v0, v16
	v_cmp_ne_u32_e32 vcc, 0, v5
                                        ; implicit-def: $vgpr16_vgpr17
                                        ; implicit-def: $vgpr0
	s_and_saveexec_b64 s[40:41], vcc
	s_xor_b64 s[40:41], exec, s[40:41]
; %bb.1136:                             ;   in Loop: Header=BB4_354 Depth=4
	v_cmp_lt_u64_e32 vcc, s[88:89], v[2:3]
	v_add_u32_e32 v0, 7, v18
	v_cndmask_b32_e64 v4, 0, 1, vcc
	v_lshrrev_b64 v[16:17], v4, v[2:3]
	v_cndmask_b32_e32 v0, v5, v0, vcc
; %bb.1137:                             ;   in Loop: Header=BB4_354 Depth=4
	s_andn2_saveexec_b64 s[40:41], s[40:41]
; %bb.1138:                             ;   in Loop: Header=BB4_354 Depth=4
	v_mov_b32_e32 v17, v3
	v_bfe_u32 v0, v2, 23, 1
	v_mov_b32_e32 v16, v2
; %bb.1139:                             ;   in Loop: Header=BB4_354 Depth=4
	s_or_b64 exec, exec, s[40:41]
	v_lshrrev_b64 v[4:5], 20, v[16:17]
	v_cmp_gt_i32_e32 vcc, 16, v0
	v_cndmask_b32_e32 v5, 0, v5, vcc
	v_cndmask_b32_e32 v4, 7, v4, vcc
	v_cmp_eq_u32_e32 vcc, 0, v0
	v_min_i32_e32 v0, 15, v0
	v_cmp_eq_u64_e64 s[40:41], 0, v[4:5]
	v_lshlrev_b32_e32 v0, 3, v0
	v_and_b32_e32 v0, 0xf8, v0
	v_and_or_b32 v0, v4, 7, v0
	s_and_b64 s[40:41], vcc, s[40:41]
	v_cndmask_b32_e64 v0, v0, 0, s[40:41]
	v_or_b32_e32 v23, v0, v6
.LBB4_1140:                             ;   in Loop: Header=BB4_354 Depth=4
	s_or_b64 exec, exec, s[50:51]
                                        ; implicit-def: $vgpr6
.LBB4_1141:                             ;   in Loop: Header=BB4_354 Depth=4
	s_andn2_saveexec_b64 s[40:41], s[48:49]
; %bb.1142:                             ;   in Loop: Header=BB4_354 Depth=4
	v_or_b32_e32 v23, 0x7e, v6
; %bb.1143:                             ;   in Loop: Header=BB4_354 Depth=4
	s_or_b64 exec, exec, s[40:41]
                                        ; implicit-def: $vgpr4
.LBB4_1144:                             ;   in Loop: Header=BB4_354 Depth=4
	s_andn2_saveexec_b64 s[40:41], s[38:39]
; %bb.1145:                             ;   in Loop: Header=BB4_354 Depth=4
	v_or_b32_sdwa v23, v4, s81 dst_sel:DWORD dst_unused:UNUSED_PAD src0_sel:BYTE_3 src1_sel:DWORD
; %bb.1146:                             ;   in Loop: Header=BB4_354 Depth=4
	s_or_b64 exec, exec, s[40:41]
	v_lshrrev_b32_e32 v16, 16, v12
	v_lshrrev_b32_e32 v2, 16, v8
	v_cmp_ne_u16_sdwa s[40:41], v16, v3 src0_sel:BYTE_0 src1_sel:DWORD
	s_and_b64 vcc, exec, s[28:29]
	s_mov_b64 s[38:39], -1
                                        ; implicit-def: $vgpr4
	s_cbranch_vccnz .LBB4_1160
; %bb.1147:                             ;   in Loop: Header=BB4_354 Depth=4
	v_mov_b32_e32 v5, 0
	v_mov_b32_e32 v4, 0
	s_and_saveexec_b64 s[38:39], s[40:41]
	s_cbranch_execz .LBB4_1153
; %bb.1148:                             ;   in Loop: Header=BB4_354 Depth=4
	v_cmp_ne_u16_sdwa vcc, v16, s80 src0_sel:BYTE_0 src1_sel:DWORD
	v_bfrev_b32_e32 v4, 1
	s_and_saveexec_b64 s[48:49], vcc
	s_cbranch_execz .LBB4_1152
; %bb.1149:                             ;   in Loop: Header=BB4_354 Depth=4
	v_bfe_u32 v0, v12, 16, 7
	v_cmp_ne_u32_e32 vcc, s81, v0
	v_mov_b32_e32 v4, 0x7f800001
	s_and_saveexec_b64 s[50:51], vcc
	s_cbranch_execz .LBB4_1151
; %bb.1150:                             ;   in Loop: Header=BB4_354 Depth=4
	v_and_b32_e32 v4, 7, v16
	v_lshrrev_b32_e32 v6, 3, v0
	v_cmp_gt_u32_e32 vcc, 8, v0
	v_ffbh_u32_e32 v0, v4
	v_min_u32_e32 v0, 32, v0
	v_subrev_u32_e32 v17, 28, v0
	v_lshlrev_b64 v[17:18], v17, v[16:17]
	v_sub_u32_e32 v0, 29, v0
	v_and_b32_e32 v17, 7, v17
	v_cndmask_b32_e32 v0, v6, v0, vcc
	v_cndmask_b32_e32 v4, v4, v17, vcc
	v_lshlrev_b32_e32 v6, 24, v16
	v_lshlrev_b32_e32 v4, 20, v4
	v_and_b32_e32 v6, 0x80000000, v6
	v_lshl_add_u32 v0, v0, 23, v54
	v_or3_b32 v4, v6, v0, v4
.LBB4_1151:                             ;   in Loop: Header=BB4_354 Depth=4
	s_or_b64 exec, exec, s[50:51]
.LBB4_1152:                             ;   in Loop: Header=BB4_354 Depth=4
	s_or_b64 exec, exec, s[48:49]
.LBB4_1153:                             ;   in Loop: Header=BB4_354 Depth=4
	s_or_b64 exec, exec, s[38:39]
	v_cmp_ne_u16_sdwa vcc, v2, v3 src0_sel:BYTE_0 src1_sel:DWORD
	s_and_saveexec_b64 s[38:39], vcc
	s_cbranch_execz .LBB4_1159
; %bb.1154:                             ;   in Loop: Header=BB4_354 Depth=4
	v_cmp_ne_u16_sdwa vcc, v2, s80 src0_sel:BYTE_0 src1_sel:DWORD
	v_bfrev_b32_e32 v5, 1
	s_and_saveexec_b64 s[48:49], vcc
	s_cbranch_execz .LBB4_1158
; %bb.1155:                             ;   in Loop: Header=BB4_354 Depth=4
	v_bfe_u32 v0, v8, 16, 7
	v_cmp_ne_u32_e32 vcc, s81, v0
	v_mov_b32_e32 v5, 0x7f800001
	s_and_saveexec_b64 s[50:51], vcc
	s_cbranch_execz .LBB4_1157
; %bb.1156:                             ;   in Loop: Header=BB4_354 Depth=4
	v_and_b32_e32 v17, 7, v2
	v_lshrrev_b32_e32 v18, 3, v0
	v_cmp_gt_u32_e32 vcc, 8, v0
	v_ffbh_u32_e32 v0, v17
	v_min_u32_e32 v0, 32, v0
	v_subrev_u32_e32 v5, 28, v0
	v_lshlrev_b64 v[5:6], v5, v[2:3]
	v_sub_u32_e32 v0, 29, v0
	v_and_b32_e32 v5, 7, v5
	v_cndmask_b32_e32 v0, v18, v0, vcc
	v_cndmask_b32_e32 v5, v17, v5, vcc
	v_lshlrev_b32_e32 v6, 24, v2
	v_lshlrev_b32_e32 v5, 20, v5
	v_and_b32_e32 v6, 0x80000000, v6
	v_lshl_add_u32 v0, v0, 23, v54
	v_or3_b32 v5, v6, v0, v5
.LBB4_1157:                             ;   in Loop: Header=BB4_354 Depth=4
	s_or_b64 exec, exec, s[50:51]
.LBB4_1158:                             ;   in Loop: Header=BB4_354 Depth=4
	s_or_b64 exec, exec, s[48:49]
.LBB4_1159:                             ;   in Loop: Header=BB4_354 Depth=4
	s_or_b64 exec, exec, s[38:39]
	v_max_f32_e32 v0, v5, v5
	v_max_f32_e32 v4, v4, v4
	;; [unrolled: 1-line block ×3, first 2 shown]
	s_mov_b64 s[38:39], 0
.LBB4_1160:                             ;   in Loop: Header=BB4_354 Depth=4
	s_and_b64 vcc, exec, s[38:39]
	s_cbranch_vccz .LBB4_1174
; %bb.1161:                             ;   in Loop: Header=BB4_354 Depth=4
	v_mov_b32_e32 v5, 0
	v_mov_b32_e32 v4, 0
	s_and_saveexec_b64 s[38:39], s[40:41]
	s_cbranch_execz .LBB4_1167
; %bb.1162:                             ;   in Loop: Header=BB4_354 Depth=4
	v_cmp_ne_u16_sdwa vcc, v16, s80 src0_sel:BYTE_0 src1_sel:DWORD
	v_bfrev_b32_e32 v4, 1
	s_and_saveexec_b64 s[40:41], vcc
	s_cbranch_execz .LBB4_1166
; %bb.1163:                             ;   in Loop: Header=BB4_354 Depth=4
	v_bfe_u32 v0, v12, 16, 7
	v_cmp_ne_u32_e32 vcc, s81, v0
	v_mov_b32_e32 v4, 0x7f800001
	s_and_saveexec_b64 s[48:49], vcc
	s_cbranch_execz .LBB4_1165
; %bb.1164:                             ;   in Loop: Header=BB4_354 Depth=4
	v_and_b32_e32 v4, 7, v16
	v_lshrrev_b32_e32 v6, 3, v0
	v_cmp_gt_u32_e32 vcc, 8, v0
	v_ffbh_u32_e32 v0, v4
	v_min_u32_e32 v0, 32, v0
	v_subrev_u32_e32 v17, 28, v0
	v_lshlrev_b64 v[17:18], v17, v[16:17]
	v_sub_u32_e32 v0, 29, v0
	v_and_b32_e32 v17, 7, v17
	v_cndmask_b32_e32 v0, v6, v0, vcc
	v_cndmask_b32_e32 v4, v4, v17, vcc
	v_lshlrev_b32_e32 v6, 24, v16
	v_lshlrev_b32_e32 v4, 20, v4
	v_and_b32_e32 v6, 0x80000000, v6
	v_lshl_add_u32 v0, v0, 23, v54
	v_or3_b32 v4, v6, v0, v4
.LBB4_1165:                             ;   in Loop: Header=BB4_354 Depth=4
	s_or_b64 exec, exec, s[48:49]
.LBB4_1166:                             ;   in Loop: Header=BB4_354 Depth=4
	s_or_b64 exec, exec, s[40:41]
.LBB4_1167:                             ;   in Loop: Header=BB4_354 Depth=4
	s_or_b64 exec, exec, s[38:39]
	v_cmp_ne_u16_sdwa vcc, v2, v3 src0_sel:BYTE_0 src1_sel:DWORD
	s_and_saveexec_b64 s[40:41], vcc
	s_cbranch_execz .LBB4_1173
; %bb.1168:                             ;   in Loop: Header=BB4_354 Depth=4
	v_cmp_ne_u16_sdwa vcc, v2, s80 src0_sel:BYTE_0 src1_sel:DWORD
	v_bfrev_b32_e32 v5, 1
	s_and_saveexec_b64 s[38:39], vcc
	s_cbranch_execz .LBB4_1172
; %bb.1169:                             ;   in Loop: Header=BB4_354 Depth=4
	v_bfe_u32 v0, v8, 16, 7
	v_cmp_ne_u32_e32 vcc, s81, v0
	v_mov_b32_e32 v5, 0x7f800001
	s_and_saveexec_b64 s[48:49], vcc
	s_cbranch_execz .LBB4_1171
; %bb.1170:                             ;   in Loop: Header=BB4_354 Depth=4
	v_and_b32_e32 v16, 7, v2
	v_lshrrev_b32_e32 v17, 3, v0
	v_cmp_gt_u32_e32 vcc, 8, v0
	v_ffbh_u32_e32 v0, v16
	v_min_u32_e32 v0, 32, v0
	v_subrev_u32_e32 v5, 28, v0
	v_lshlrev_b64 v[5:6], v5, v[2:3]
	v_sub_u32_e32 v0, 29, v0
	v_and_b32_e32 v5, 7, v5
	v_cndmask_b32_e32 v0, v17, v0, vcc
	v_cndmask_b32_e32 v5, v16, v5, vcc
	v_lshlrev_b32_e32 v2, 24, v2
	v_lshlrev_b32_e32 v5, 20, v5
	v_and_b32_e32 v2, 0x80000000, v2
	v_lshl_add_u32 v0, v0, 23, v54
	v_or3_b32 v5, v2, v0, v5
.LBB4_1171:                             ;   in Loop: Header=BB4_354 Depth=4
	s_or_b64 exec, exec, s[48:49]
.LBB4_1172:                             ;   in Loop: Header=BB4_354 Depth=4
	s_or_b64 exec, exec, s[38:39]
.LBB4_1173:                             ;   in Loop: Header=BB4_354 Depth=4
	s_or_b64 exec, exec, s[40:41]
	v_max_f32_e32 v0, v5, v5
	v_max_f32_e32 v2, v4, v4
	v_min_f32_e32 v4, v2, v0
.LBB4_1174:                             ;   in Loop: Header=BB4_354 Depth=4
	v_and_b32_e32 v2, 0x7f800000, v4
	v_cmp_ne_u64_e32 vcc, s[76:77], v[2:3]
                                        ; implicit-def: $vgpr6
	s_and_saveexec_b64 s[40:41], vcc
	s_xor_b64 s[38:39], exec, s[40:41]
	s_cbranch_execz .LBB4_1188
; %bb.1175:                             ;   in Loop: Header=BB4_354 Depth=4
	v_and_b32_e32 v2, 0x7fffffff, v4
	v_cmp_gt_u64_e32 vcc, s[78:79], v[2:3]
	v_and_b32_sdwa v18, v4, s80 dst_sel:DWORD dst_unused:UNUSED_PAD src0_sel:BYTE_3 src1_sel:DWORD
                                        ; implicit-def: $vgpr6
	s_and_saveexec_b64 s[40:41], vcc
	s_xor_b64 s[48:49], exec, s[40:41]
	s_cbranch_execz .LBB4_1185
; %bb.1176:                             ;   in Loop: Header=BB4_354 Depth=4
	v_mov_b32_e32 v6, 0
	v_cmp_ne_u32_e32 vcc, 0, v4
	s_and_saveexec_b64 s[50:51], vcc
	s_cbranch_execz .LBB4_1184
; %bb.1177:                             ;   in Loop: Header=BB4_354 Depth=4
	v_bfe_u32 v6, v4, 23, 8
	v_cmp_gt_u32_e64 s[40:41], s83, v6
	v_sub_u32_e32 v2, 0x79, v6
	v_and_b32_e32 v0, 0x7fffff, v4
	v_cmp_eq_u32_e32 vcc, 0, v6
	v_cndmask_b32_e64 v2, 0, v2, s[40:41]
	v_mov_b32_e32 v5, 0x78
	v_or_b32_e32 v4, 0x800000, v0
	v_cndmask_b32_e32 v50, v2, v5, vcc
	v_cndmask_b32_e32 v2, v4, v0, vcc
	v_add_u32_e32 v0, 20, v50
	v_lshlrev_b64 v[4:5], v0, -1
	v_add_u32_e32 v0, 19, v50
	v_lshlrev_b64 v[16:17], v0, 1
	v_bfi_b32 v5, v5, 0, 0
	v_bfi_b32 v4, v4, 0, v2
	v_cmp_eq_u64_e64 s[40:41], v[4:5], v[16:17]
	v_lshrrev_b64 v[16:17], v50, v[2:3]
	v_mov_b32_e32 v4, v16
	v_mov_b32_e32 v5, v17
	s_and_saveexec_b64 s[52:53], s[40:41]
; %bb.1178:                             ;   in Loop: Header=BB4_354 Depth=4
	v_bfe_u32 v0, v16, 20, 1
	v_add_co_u32_e64 v0, s[40:41], v16, v0
	v_add_co_u32_e64 v4, s[40:41], -1, v0
; %bb.1179:                             ;   in Loop: Header=BB4_354 Depth=4
	s_or_b64 exec, exec, s[52:53]
	v_add_u32_e32 v0, 0xffffff81, v6
	v_mov_b32_e32 v2, 0xffffff82
	v_cndmask_b32_e32 v0, v0, v2, vcc
	v_lshrrev_b32_e32 v2, 23, v16
	v_add3_u32 v6, v50, v0, v2
	v_add_u32_e32 v5, 6, v6
	v_and_b32_e32 v0, 0xfffff, v4
	v_add_u32_e32 v2, v0, v16
	v_cmp_ne_u32_e32 vcc, 0, v5
                                        ; implicit-def: $vgpr16_vgpr17
                                        ; implicit-def: $vgpr0
	s_and_saveexec_b64 s[40:41], vcc
	s_xor_b64 s[40:41], exec, s[40:41]
; %bb.1180:                             ;   in Loop: Header=BB4_354 Depth=4
	v_cmp_lt_u64_e32 vcc, s[88:89], v[2:3]
	v_add_u32_e32 v0, 7, v6
	v_cndmask_b32_e64 v4, 0, 1, vcc
	v_lshrrev_b64 v[16:17], v4, v[2:3]
	v_cndmask_b32_e32 v0, v5, v0, vcc
; %bb.1181:                             ;   in Loop: Header=BB4_354 Depth=4
	s_andn2_saveexec_b64 s[40:41], s[40:41]
; %bb.1182:                             ;   in Loop: Header=BB4_354 Depth=4
	v_mov_b32_e32 v17, v3
	v_bfe_u32 v0, v2, 23, 1
	v_mov_b32_e32 v16, v2
; %bb.1183:                             ;   in Loop: Header=BB4_354 Depth=4
	s_or_b64 exec, exec, s[40:41]
	v_lshrrev_b64 v[4:5], 20, v[16:17]
	v_cmp_gt_i32_e32 vcc, 16, v0
	v_cndmask_b32_e32 v5, 0, v5, vcc
	v_cndmask_b32_e32 v4, 7, v4, vcc
	v_cmp_eq_u32_e32 vcc, 0, v0
	v_min_i32_e32 v0, 15, v0
	v_cmp_eq_u64_e64 s[40:41], 0, v[4:5]
	v_lshlrev_b32_e32 v0, 3, v0
	v_and_b32_e32 v0, 0xf8, v0
	v_and_or_b32 v0, v4, 7, v0
	s_and_b64 s[40:41], vcc, s[40:41]
	v_cndmask_b32_e64 v0, v0, 0, s[40:41]
	v_or_b32_e32 v6, v0, v18
.LBB4_1184:                             ;   in Loop: Header=BB4_354 Depth=4
	s_or_b64 exec, exec, s[50:51]
                                        ; implicit-def: $vgpr18
.LBB4_1185:                             ;   in Loop: Header=BB4_354 Depth=4
	s_andn2_saveexec_b64 s[40:41], s[48:49]
; %bb.1186:                             ;   in Loop: Header=BB4_354 Depth=4
	v_or_b32_e32 v6, 0x7e, v18
; %bb.1187:                             ;   in Loop: Header=BB4_354 Depth=4
	s_or_b64 exec, exec, s[40:41]
                                        ; implicit-def: $vgpr4
.LBB4_1188:                             ;   in Loop: Header=BB4_354 Depth=4
	s_andn2_saveexec_b64 s[40:41], s[38:39]
; %bb.1189:                             ;   in Loop: Header=BB4_354 Depth=4
	v_or_b32_sdwa v6, v4, s81 dst_sel:DWORD dst_unused:UNUSED_PAD src0_sel:BYTE_3 src1_sel:DWORD
; %bb.1190:                             ;   in Loop: Header=BB4_354 Depth=4
	s_or_b64 exec, exec, s[40:41]
	v_lshrrev_b32_e32 v16, 24, v12
	v_lshrrev_b32_e32 v2, 24, v8
	v_cmp_lt_u32_e64 s[40:41], s63, v12
	s_and_b64 vcc, exec, s[28:29]
	s_mov_b64 s[38:39], -1
                                        ; implicit-def: $vgpr4
	s_cbranch_vccnz .LBB4_1204
; %bb.1191:                             ;   in Loop: Header=BB4_354 Depth=4
	v_mov_b32_e32 v5, 0
	v_mov_b32_e32 v4, 0
	s_and_saveexec_b64 s[38:39], s[40:41]
	s_cbranch_execz .LBB4_1197
; %bb.1192:                             ;   in Loop: Header=BB4_354 Depth=4
	v_cmp_ne_u32_e32 vcc, s80, v16
	v_bfrev_b32_e32 v4, 1
	s_and_saveexec_b64 s[48:49], vcc
	s_cbranch_execz .LBB4_1196
; %bb.1193:                             ;   in Loop: Header=BB4_354 Depth=4
	v_bfe_u32 v0, v12, 24, 7
	v_cmp_ne_u32_e32 vcc, s81, v0
	v_mov_b32_e32 v4, 0x7f800001
	s_and_saveexec_b64 s[50:51], vcc
	s_cbranch_execz .LBB4_1195
; %bb.1194:                             ;   in Loop: Header=BB4_354 Depth=4
	v_and_b32_e32 v4, 7, v16
	v_lshrrev_b32_e32 v50, 3, v0
	v_cmp_gt_u32_e32 vcc, 8, v0
	v_ffbh_u32_e32 v0, v4
	v_min_u32_e32 v0, 32, v0
	v_subrev_u32_e32 v17, 28, v0
	v_lshlrev_b64 v[17:18], v17, v[16:17]
	v_sub_u32_e32 v0, 29, v0
	v_and_b32_e32 v17, 7, v17
	v_cndmask_b32_e32 v0, v50, v0, vcc
	v_cndmask_b32_e32 v4, v4, v17, vcc
	v_lshlrev_b32_e32 v17, 24, v16
	v_lshlrev_b32_e32 v4, 20, v4
	v_and_b32_e32 v17, 0x80000000, v17
	v_lshl_add_u32 v0, v0, 23, v54
	v_or3_b32 v4, v17, v0, v4
.LBB4_1195:                             ;   in Loop: Header=BB4_354 Depth=4
	s_or_b64 exec, exec, s[50:51]
.LBB4_1196:                             ;   in Loop: Header=BB4_354 Depth=4
	s_or_b64 exec, exec, s[48:49]
.LBB4_1197:                             ;   in Loop: Header=BB4_354 Depth=4
	s_or_b64 exec, exec, s[38:39]
	v_cmp_lt_u32_e32 vcc, s63, v8
	s_and_saveexec_b64 s[38:39], vcc
	s_cbranch_execz .LBB4_1203
; %bb.1198:                             ;   in Loop: Header=BB4_354 Depth=4
	v_cmp_ne_u32_e32 vcc, s80, v2
	v_bfrev_b32_e32 v5, 1
	s_and_saveexec_b64 s[48:49], vcc
	s_cbranch_execz .LBB4_1202
; %bb.1199:                             ;   in Loop: Header=BB4_354 Depth=4
	v_bfe_u32 v0, v8, 24, 7
	v_cmp_ne_u32_e32 vcc, s81, v0
	v_mov_b32_e32 v5, 0x7f800001
	s_and_saveexec_b64 s[50:51], vcc
	s_cbranch_execz .LBB4_1201
; %bb.1200:                             ;   in Loop: Header=BB4_354 Depth=4
	v_and_b32_e32 v5, 7, v2
	v_lshrrev_b32_e32 v50, 3, v0
	v_cmp_gt_u32_e32 vcc, 8, v0
	v_ffbh_u32_e32 v0, v5
	v_min_u32_e32 v0, 32, v0
	v_subrev_u32_e32 v17, 28, v0
	v_lshlrev_b64 v[17:18], v17, v[2:3]
	v_sub_u32_e32 v0, 29, v0
	v_and_b32_e32 v17, 7, v17
	v_cndmask_b32_e32 v0, v50, v0, vcc
	v_cndmask_b32_e32 v5, v5, v17, vcc
	v_lshlrev_b32_e32 v17, 24, v2
	v_lshlrev_b32_e32 v5, 20, v5
	v_and_b32_e32 v17, 0x80000000, v17
	v_lshl_add_u32 v0, v0, 23, v54
	v_or3_b32 v5, v17, v0, v5
.LBB4_1201:                             ;   in Loop: Header=BB4_354 Depth=4
	s_or_b64 exec, exec, s[50:51]
.LBB4_1202:                             ;   in Loop: Header=BB4_354 Depth=4
	s_or_b64 exec, exec, s[48:49]
.LBB4_1203:                             ;   in Loop: Header=BB4_354 Depth=4
	s_or_b64 exec, exec, s[38:39]
	v_max_f32_e32 v0, v5, v5
	v_max_f32_e32 v4, v4, v4
	;; [unrolled: 1-line block ×3, first 2 shown]
	s_mov_b64 s[38:39], 0
.LBB4_1204:                             ;   in Loop: Header=BB4_354 Depth=4
	s_and_b64 vcc, exec, s[38:39]
	s_cbranch_vccz .LBB4_1218
; %bb.1205:                             ;   in Loop: Header=BB4_354 Depth=4
	v_mov_b32_e32 v5, 0
	v_mov_b32_e32 v4, 0
	s_and_saveexec_b64 s[38:39], s[40:41]
	s_cbranch_execz .LBB4_1211
; %bb.1206:                             ;   in Loop: Header=BB4_354 Depth=4
	v_cmp_ne_u32_e32 vcc, s80, v16
	v_bfrev_b32_e32 v4, 1
	s_and_saveexec_b64 s[40:41], vcc
	s_cbranch_execz .LBB4_1210
; %bb.1207:                             ;   in Loop: Header=BB4_354 Depth=4
	v_bfe_u32 v0, v12, 24, 7
	v_cmp_ne_u32_e32 vcc, s81, v0
	v_mov_b32_e32 v4, 0x7f800001
	s_and_saveexec_b64 s[48:49], vcc
	s_cbranch_execz .LBB4_1209
; %bb.1208:                             ;   in Loop: Header=BB4_354 Depth=4
	v_and_b32_e32 v4, 7, v16
	v_lshrrev_b32_e32 v50, 3, v0
	v_cmp_gt_u32_e32 vcc, 8, v0
	v_ffbh_u32_e32 v0, v4
	v_min_u32_e32 v0, 32, v0
	v_subrev_u32_e32 v17, 28, v0
	v_lshlrev_b64 v[17:18], v17, v[16:17]
	v_sub_u32_e32 v0, 29, v0
	v_and_b32_e32 v17, 7, v17
	v_cndmask_b32_e32 v0, v50, v0, vcc
	v_cndmask_b32_e32 v4, v4, v17, vcc
	v_lshlrev_b32_e32 v16, 24, v16
	v_lshlrev_b32_e32 v4, 20, v4
	v_and_b32_e32 v16, 0x80000000, v16
	v_lshl_add_u32 v0, v0, 23, v54
	v_or3_b32 v4, v16, v0, v4
.LBB4_1209:                             ;   in Loop: Header=BB4_354 Depth=4
	s_or_b64 exec, exec, s[48:49]
.LBB4_1210:                             ;   in Loop: Header=BB4_354 Depth=4
	s_or_b64 exec, exec, s[40:41]
.LBB4_1211:                             ;   in Loop: Header=BB4_354 Depth=4
	s_or_b64 exec, exec, s[38:39]
	v_cmp_lt_u32_e32 vcc, s63, v8
	s_and_saveexec_b64 s[40:41], vcc
	s_cbranch_execz .LBB4_1217
; %bb.1212:                             ;   in Loop: Header=BB4_354 Depth=4
	v_cmp_ne_u32_e32 vcc, s80, v2
	v_bfrev_b32_e32 v5, 1
	s_and_saveexec_b64 s[38:39], vcc
	s_cbranch_execz .LBB4_1216
; %bb.1213:                             ;   in Loop: Header=BB4_354 Depth=4
	v_bfe_u32 v0, v8, 24, 7
	v_cmp_ne_u32_e32 vcc, s81, v0
	v_mov_b32_e32 v5, 0x7f800001
	s_and_saveexec_b64 s[48:49], vcc
	s_cbranch_execz .LBB4_1215
; %bb.1214:                             ;   in Loop: Header=BB4_354 Depth=4
	v_and_b32_e32 v5, 7, v2
	v_lshrrev_b32_e32 v18, 3, v0
	v_cmp_gt_u32_e32 vcc, 8, v0
	v_ffbh_u32_e32 v0, v5
	v_min_u32_e32 v0, 32, v0
	v_subrev_u32_e32 v16, 28, v0
	v_lshlrev_b64 v[16:17], v16, v[2:3]
	v_sub_u32_e32 v0, 29, v0
	v_and_b32_e32 v16, 7, v16
	v_cndmask_b32_e32 v0, v18, v0, vcc
	v_cndmask_b32_e32 v5, v5, v16, vcc
	v_lshlrev_b32_e32 v2, 24, v2
	v_lshlrev_b32_e32 v5, 20, v5
	v_and_b32_e32 v2, 0x80000000, v2
	v_lshl_add_u32 v0, v0, 23, v54
	v_or3_b32 v5, v2, v0, v5
.LBB4_1215:                             ;   in Loop: Header=BB4_354 Depth=4
	s_or_b64 exec, exec, s[48:49]
.LBB4_1216:                             ;   in Loop: Header=BB4_354 Depth=4
	s_or_b64 exec, exec, s[38:39]
.LBB4_1217:                             ;   in Loop: Header=BB4_354 Depth=4
	s_or_b64 exec, exec, s[40:41]
	v_max_f32_e32 v0, v5, v5
	v_max_f32_e32 v2, v4, v4
	v_min_f32_e32 v4, v2, v0
.LBB4_1218:                             ;   in Loop: Header=BB4_354 Depth=4
	v_and_b32_e32 v2, 0x7f800000, v4
	v_cmp_ne_u64_e32 vcc, s[76:77], v[2:3]
                                        ; implicit-def: $vgpr56
	s_and_saveexec_b64 s[40:41], vcc
	s_xor_b64 s[38:39], exec, s[40:41]
	s_cbranch_execz .LBB4_1232
; %bb.1219:                             ;   in Loop: Header=BB4_354 Depth=4
	v_and_b32_e32 v2, 0x7fffffff, v4
	v_cmp_gt_u64_e32 vcc, s[78:79], v[2:3]
	v_and_b32_sdwa v18, v4, s80 dst_sel:DWORD dst_unused:UNUSED_PAD src0_sel:BYTE_3 src1_sel:DWORD
                                        ; implicit-def: $vgpr56
	s_and_saveexec_b64 s[40:41], vcc
	s_xor_b64 s[48:49], exec, s[40:41]
	s_cbranch_execz .LBB4_1229
; %bb.1220:                             ;   in Loop: Header=BB4_354 Depth=4
	v_mov_b32_e32 v56, 0
	v_cmp_ne_u32_e32 vcc, 0, v4
	s_and_saveexec_b64 s[50:51], vcc
	s_cbranch_execz .LBB4_1228
; %bb.1221:                             ;   in Loop: Header=BB4_354 Depth=4
	v_bfe_u32 v50, v4, 23, 8
	v_cmp_gt_u32_e64 s[40:41], s83, v50
	v_sub_u32_e32 v2, 0x79, v50
	v_and_b32_e32 v0, 0x7fffff, v4
	v_cmp_eq_u32_e32 vcc, 0, v50
	v_cndmask_b32_e64 v2, 0, v2, s[40:41]
	v_mov_b32_e32 v5, 0x78
	v_or_b32_e32 v4, 0x800000, v0
	v_cndmask_b32_e32 v55, v2, v5, vcc
	v_cndmask_b32_e32 v2, v4, v0, vcc
	v_add_u32_e32 v0, 20, v55
	v_lshlrev_b64 v[4:5], v0, -1
	v_add_u32_e32 v0, 19, v55
	v_lshlrev_b64 v[16:17], v0, 1
	v_bfi_b32 v5, v5, 0, 0
	v_bfi_b32 v4, v4, 0, v2
	v_cmp_eq_u64_e64 s[40:41], v[4:5], v[16:17]
	v_lshrrev_b64 v[16:17], v55, v[2:3]
	v_mov_b32_e32 v4, v16
	v_mov_b32_e32 v5, v17
	s_and_saveexec_b64 s[52:53], s[40:41]
; %bb.1222:                             ;   in Loop: Header=BB4_354 Depth=4
	v_bfe_u32 v0, v16, 20, 1
	v_add_co_u32_e64 v0, s[40:41], v16, v0
	v_add_co_u32_e64 v4, s[40:41], -1, v0
; %bb.1223:                             ;   in Loop: Header=BB4_354 Depth=4
	s_or_b64 exec, exec, s[52:53]
	v_add_u32_e32 v0, 0xffffff81, v50
	v_mov_b32_e32 v2, 0xffffff82
	v_cndmask_b32_e32 v0, v0, v2, vcc
	v_lshrrev_b32_e32 v2, 23, v16
	v_add3_u32 v50, v55, v0, v2
	v_add_u32_e32 v5, 6, v50
	v_and_b32_e32 v0, 0xfffff, v4
	v_add_u32_e32 v2, v0, v16
	v_cmp_ne_u32_e32 vcc, 0, v5
                                        ; implicit-def: $vgpr16_vgpr17
                                        ; implicit-def: $vgpr0
	s_and_saveexec_b64 s[40:41], vcc
	s_xor_b64 s[40:41], exec, s[40:41]
; %bb.1224:                             ;   in Loop: Header=BB4_354 Depth=4
	v_cmp_lt_u64_e32 vcc, s[88:89], v[2:3]
	v_add_u32_e32 v0, 7, v50
	v_cndmask_b32_e64 v4, 0, 1, vcc
	v_lshrrev_b64 v[16:17], v4, v[2:3]
	v_cndmask_b32_e32 v0, v5, v0, vcc
; %bb.1225:                             ;   in Loop: Header=BB4_354 Depth=4
	s_andn2_saveexec_b64 s[40:41], s[40:41]
; %bb.1226:                             ;   in Loop: Header=BB4_354 Depth=4
	v_mov_b32_e32 v17, v3
	v_bfe_u32 v0, v2, 23, 1
	v_mov_b32_e32 v16, v2
; %bb.1227:                             ;   in Loop: Header=BB4_354 Depth=4
	s_or_b64 exec, exec, s[40:41]
	v_lshrrev_b64 v[4:5], 20, v[16:17]
	v_cmp_gt_i32_e32 vcc, 16, v0
	v_cndmask_b32_e32 v5, 0, v5, vcc
	v_cndmask_b32_e32 v4, 7, v4, vcc
	v_cmp_eq_u32_e32 vcc, 0, v0
	v_min_i32_e32 v0, 15, v0
	v_cmp_eq_u64_e64 s[40:41], 0, v[4:5]
	v_lshlrev_b32_e32 v0, 3, v0
	v_and_b32_e32 v0, 0xf8, v0
	v_and_or_b32 v0, v4, 7, v0
	s_and_b64 s[40:41], vcc, s[40:41]
	v_cndmask_b32_e64 v0, v0, 0, s[40:41]
	v_or_b32_e32 v56, v0, v18
.LBB4_1228:                             ;   in Loop: Header=BB4_354 Depth=4
	s_or_b64 exec, exec, s[50:51]
                                        ; implicit-def: $vgpr18
.LBB4_1229:                             ;   in Loop: Header=BB4_354 Depth=4
	s_andn2_saveexec_b64 s[40:41], s[48:49]
; %bb.1230:                             ;   in Loop: Header=BB4_354 Depth=4
	v_or_b32_e32 v56, 0x7e, v18
; %bb.1231:                             ;   in Loop: Header=BB4_354 Depth=4
	s_or_b64 exec, exec, s[40:41]
                                        ; implicit-def: $vgpr4
.LBB4_1232:                             ;   in Loop: Header=BB4_354 Depth=4
	s_andn2_saveexec_b64 s[40:41], s[38:39]
; %bb.1233:                             ;   in Loop: Header=BB4_354 Depth=4
	v_or_b32_sdwa v56, v4, s81 dst_sel:DWORD dst_unused:UNUSED_PAD src0_sel:BYTE_3 src1_sel:DWORD
; %bb.1234:                             ;   in Loop: Header=BB4_354 Depth=4
	s_or_b64 exec, exec, s[40:41]
	v_mov_b32_e32 v2, v13
	v_mov_b32_e32 v16, v9
	;; [unrolled: 1-line block ×3, first 2 shown]
	v_cmp_ne_u16_sdwa s[40:41], v13, v3 src0_sel:BYTE_0 src1_sel:DWORD
	s_and_b64 vcc, exec, s[28:29]
	s_mov_b64 s[38:39], -1
                                        ; implicit-def: $vgpr4
	s_cbranch_vccnz .LBB4_1248
; %bb.1235:                             ;   in Loop: Header=BB4_354 Depth=4
	v_mov_b32_e32 v5, 0
	v_mov_b32_e32 v4, 0
	s_and_saveexec_b64 s[38:39], s[40:41]
	s_cbranch_execz .LBB4_1241
; %bb.1236:                             ;   in Loop: Header=BB4_354 Depth=4
	v_cmp_ne_u16_sdwa vcc, v13, s80 src0_sel:BYTE_0 src1_sel:DWORD
	v_bfrev_b32_e32 v4, 1
	s_and_saveexec_b64 s[48:49], vcc
	s_cbranch_execz .LBB4_1240
; %bb.1237:                             ;   in Loop: Header=BB4_354 Depth=4
	v_and_b32_e32 v0, 0x7f, v13
	v_cmp_ne_u32_e32 vcc, s81, v0
	v_mov_b32_e32 v4, 0x7f800001
	s_and_saveexec_b64 s[50:51], vcc
	s_cbranch_execz .LBB4_1239
; %bb.1238:                             ;   in Loop: Header=BB4_354 Depth=4
	v_and_b32_e32 v4, 7, v13
	v_lshrrev_b32_e32 v18, 3, v0
	v_cmp_gt_u32_e32 vcc, 8, v0
	v_ffbh_u32_e32 v0, v4
	v_min_u32_e32 v0, 32, v0
	v_subrev_u32_e32 v4, 28, v0
	v_cndmask_b32_e32 v4, 0, v4, vcc
	v_lshlrev_b64 v[42:43], v4, v[2:3]
	v_sub_u32_e32 v0, 29, v0
	v_cndmask_b32_e32 v0, v18, v0, vcc
	v_lshlrev_b32_e32 v4, 20, v42
	v_lshlrev_b32_e32 v18, 24, v2
	v_and_b32_e32 v4, 0x700000, v4
	v_and_b32_e32 v18, 0x80000000, v18
	v_lshl_add_u32 v0, v0, 23, v54
	v_or3_b32 v4, v18, v0, v4
.LBB4_1239:                             ;   in Loop: Header=BB4_354 Depth=4
	s_or_b64 exec, exec, s[50:51]
.LBB4_1240:                             ;   in Loop: Header=BB4_354 Depth=4
	s_or_b64 exec, exec, s[48:49]
.LBB4_1241:                             ;   in Loop: Header=BB4_354 Depth=4
	s_or_b64 exec, exec, s[38:39]
	v_cmp_ne_u16_sdwa vcc, v9, v3 src0_sel:BYTE_0 src1_sel:DWORD
	s_and_saveexec_b64 s[38:39], vcc
	s_cbranch_execz .LBB4_1247
; %bb.1242:                             ;   in Loop: Header=BB4_354 Depth=4
	v_cmp_ne_u16_sdwa vcc, v9, s80 src0_sel:BYTE_0 src1_sel:DWORD
	v_bfrev_b32_e32 v5, 1
	s_and_saveexec_b64 s[48:49], vcc
	s_cbranch_execz .LBB4_1246
; %bb.1243:                             ;   in Loop: Header=BB4_354 Depth=4
	v_and_b32_e32 v0, 0x7f, v9
	v_cmp_ne_u32_e32 vcc, s81, v0
	v_mov_b32_e32 v5, 0x7f800001
	s_and_saveexec_b64 s[50:51], vcc
	s_cbranch_execz .LBB4_1245
; %bb.1244:                             ;   in Loop: Header=BB4_354 Depth=4
	v_and_b32_e32 v5, 7, v9
	v_lshrrev_b32_e32 v18, 3, v0
	v_cmp_gt_u32_e32 vcc, 8, v0
	v_ffbh_u32_e32 v0, v5
	v_min_u32_e32 v0, 32, v0
	v_subrev_u32_e32 v5, 28, v0
	v_cndmask_b32_e32 v5, 0, v5, vcc
	v_lshlrev_b64 v[42:43], v5, v[16:17]
	v_sub_u32_e32 v0, 29, v0
	v_cndmask_b32_e32 v0, v18, v0, vcc
	v_lshlrev_b32_e32 v5, 20, v42
	v_lshlrev_b32_e32 v18, 24, v16
	v_and_b32_e32 v5, 0x700000, v5
	v_and_b32_e32 v18, 0x80000000, v18
	v_lshl_add_u32 v0, v0, 23, v54
	v_or3_b32 v5, v18, v0, v5
.LBB4_1245:                             ;   in Loop: Header=BB4_354 Depth=4
	s_or_b64 exec, exec, s[50:51]
.LBB4_1246:                             ;   in Loop: Header=BB4_354 Depth=4
	s_or_b64 exec, exec, s[48:49]
.LBB4_1247:                             ;   in Loop: Header=BB4_354 Depth=4
	s_or_b64 exec, exec, s[38:39]
	v_max_f32_e32 v0, v5, v5
	v_max_f32_e32 v4, v4, v4
	;; [unrolled: 1-line block ×3, first 2 shown]
	s_mov_b64 s[38:39], 0
.LBB4_1248:                             ;   in Loop: Header=BB4_354 Depth=4
	s_and_b64 vcc, exec, s[38:39]
	s_cbranch_vccz .LBB4_1262
; %bb.1249:                             ;   in Loop: Header=BB4_354 Depth=4
	v_mov_b32_e32 v5, 0
	v_mov_b32_e32 v4, 0
	s_and_saveexec_b64 s[38:39], s[40:41]
	s_cbranch_execz .LBB4_1255
; %bb.1250:                             ;   in Loop: Header=BB4_354 Depth=4
	v_cmp_ne_u16_sdwa vcc, v13, s80 src0_sel:BYTE_0 src1_sel:DWORD
	v_bfrev_b32_e32 v4, 1
	s_and_saveexec_b64 s[40:41], vcc
	s_cbranch_execz .LBB4_1254
; %bb.1251:                             ;   in Loop: Header=BB4_354 Depth=4
	v_and_b32_e32 v0, 0x7f, v13
	v_cmp_ne_u32_e32 vcc, s81, v0
	v_mov_b32_e32 v4, 0x7f800001
	s_and_saveexec_b64 s[48:49], vcc
	s_cbranch_execz .LBB4_1253
; %bb.1252:                             ;   in Loop: Header=BB4_354 Depth=4
	v_and_b32_e32 v4, 7, v13
	v_lshrrev_b32_e32 v18, 3, v0
	v_cmp_gt_u32_e32 vcc, 8, v0
	v_ffbh_u32_e32 v0, v4
	v_min_u32_e32 v0, 32, v0
	v_subrev_u32_e32 v4, 28, v0
	v_cndmask_b32_e32 v4, 0, v4, vcc
	v_lshlrev_b64 v[42:43], v4, v[2:3]
	v_sub_u32_e32 v0, 29, v0
	v_cndmask_b32_e32 v0, v18, v0, vcc
	v_lshlrev_b32_e32 v4, 20, v42
	v_lshlrev_b32_e32 v18, 24, v2
	v_and_b32_e32 v4, 0x700000, v4
	v_and_b32_e32 v18, 0x80000000, v18
	v_lshl_add_u32 v0, v0, 23, v54
	v_or3_b32 v4, v18, v0, v4
.LBB4_1253:                             ;   in Loop: Header=BB4_354 Depth=4
	s_or_b64 exec, exec, s[48:49]
.LBB4_1254:                             ;   in Loop: Header=BB4_354 Depth=4
	s_or_b64 exec, exec, s[40:41]
.LBB4_1255:                             ;   in Loop: Header=BB4_354 Depth=4
	s_or_b64 exec, exec, s[38:39]
	v_cmp_ne_u16_sdwa vcc, v9, v3 src0_sel:BYTE_0 src1_sel:DWORD
	s_and_saveexec_b64 s[40:41], vcc
	s_cbranch_execz .LBB4_1261
; %bb.1256:                             ;   in Loop: Header=BB4_354 Depth=4
	v_cmp_ne_u16_sdwa vcc, v9, s80 src0_sel:BYTE_0 src1_sel:DWORD
	v_bfrev_b32_e32 v5, 1
	s_and_saveexec_b64 s[38:39], vcc
	s_cbranch_execz .LBB4_1260
; %bb.1257:                             ;   in Loop: Header=BB4_354 Depth=4
	v_and_b32_e32 v0, 0x7f, v9
	v_cmp_ne_u32_e32 vcc, s81, v0
	v_mov_b32_e32 v5, 0x7f800001
	s_and_saveexec_b64 s[48:49], vcc
	s_cbranch_execz .LBB4_1259
; %bb.1258:                             ;   in Loop: Header=BB4_354 Depth=4
	v_and_b32_e32 v5, 7, v9
	v_lshrrev_b32_e32 v18, 3, v0
	v_cmp_gt_u32_e32 vcc, 8, v0
	v_ffbh_u32_e32 v0, v5
	v_min_u32_e32 v0, 32, v0
	v_subrev_u32_e32 v5, 28, v0
	v_sub_u32_e32 v0, 29, v0
	v_cndmask_b32_e32 v5, 0, v5, vcc
	v_cndmask_b32_e32 v0, v18, v0, vcc
	v_lshlrev_b64 v[17:18], v5, v[16:17]
	v_lshl_add_u32 v0, v0, 23, v54
	v_lshlrev_b32_e32 v5, 20, v17
	v_lshlrev_b32_e32 v17, 24, v16
	v_and_b32_e32 v5, 0x700000, v5
	v_and_b32_e32 v17, 0x80000000, v17
	v_or3_b32 v5, v17, v0, v5
.LBB4_1259:                             ;   in Loop: Header=BB4_354 Depth=4
	s_or_b64 exec, exec, s[48:49]
.LBB4_1260:                             ;   in Loop: Header=BB4_354 Depth=4
	s_or_b64 exec, exec, s[38:39]
.LBB4_1261:                             ;   in Loop: Header=BB4_354 Depth=4
	s_or_b64 exec, exec, s[40:41]
	v_max_f32_e32 v0, v5, v5
	v_max_f32_e32 v4, v4, v4
	v_min_f32_e32 v4, v4, v0
.LBB4_1262:                             ;   in Loop: Header=BB4_354 Depth=4
	v_and_b32_e32 v17, 0x7f800000, v4
	v_mov_b32_e32 v18, v3
	v_cmp_ne_u64_e32 vcc, s[76:77], v[17:18]
                                        ; implicit-def: $vgpr57
	s_and_saveexec_b64 s[40:41], vcc
	s_xor_b64 s[38:39], exec, s[40:41]
	s_cbranch_execz .LBB4_1276
; %bb.1263:                             ;   in Loop: Header=BB4_354 Depth=4
	v_and_b32_e32 v17, 0x7fffffff, v4
	v_mov_b32_e32 v18, v3
	v_cmp_gt_u64_e32 vcc, s[78:79], v[17:18]
	v_and_b32_sdwa v50, v4, s80 dst_sel:DWORD dst_unused:UNUSED_PAD src0_sel:BYTE_3 src1_sel:DWORD
                                        ; implicit-def: $vgpr57
	s_and_saveexec_b64 s[40:41], vcc
	s_xor_b64 s[48:49], exec, s[40:41]
	s_cbranch_execz .LBB4_1273
; %bb.1264:                             ;   in Loop: Header=BB4_354 Depth=4
	v_mov_b32_e32 v57, 0
	v_cmp_ne_u32_e32 vcc, 0, v4
	s_and_saveexec_b64 s[50:51], vcc
	s_cbranch_execz .LBB4_1272
; %bb.1265:                             ;   in Loop: Header=BB4_354 Depth=4
	v_bfe_u32 v55, v4, 23, 8
	v_and_b32_e32 v0, 0x7fffff, v4
	v_cmp_gt_u32_e64 s[40:41], s83, v55
	v_sub_u32_e32 v4, 0x79, v55
	v_cmp_eq_u32_e32 vcc, 0, v55
	v_cndmask_b32_e64 v4, 0, v4, s[40:41]
	v_mov_b32_e32 v17, 0x78
	v_or_b32_e32 v5, 0x800000, v0
	v_cndmask_b32_e32 v42, v4, v17, vcc
	v_cndmask_b32_e32 v4, v5, v0, vcc
	v_add_u32_e32 v0, 20, v42
	v_lshlrev_b64 v[17:18], v0, -1
	v_add_u32_e32 v0, 19, v42
	v_lshlrev_b64 v[57:58], v0, 1
	v_mov_b32_e32 v5, v3
	v_bfi_b32 v18, v18, 0, 0
	v_bfi_b32 v17, v17, 0, v4
	v_cmp_eq_u64_e64 s[40:41], v[17:18], v[57:58]
	v_lshrrev_b64 v[17:18], v42, v[4:5]
	v_mov_b32_e32 v4, v17
	v_mov_b32_e32 v5, v18
	s_and_saveexec_b64 s[52:53], s[40:41]
; %bb.1266:                             ;   in Loop: Header=BB4_354 Depth=4
	v_bfe_u32 v0, v17, 20, 1
	v_add_co_u32_e64 v0, s[40:41], v17, v0
	v_add_co_u32_e64 v4, s[40:41], -1, v0
; %bb.1267:                             ;   in Loop: Header=BB4_354 Depth=4
	s_or_b64 exec, exec, s[52:53]
	v_add_u32_e32 v0, 0xffffff81, v55
	v_mov_b32_e32 v5, 0xffffff82
	v_cndmask_b32_e32 v0, v0, v5, vcc
	v_lshrrev_b32_e32 v5, 23, v17
	v_add3_u32 v55, v42, v0, v5
	v_add_u32_e32 v5, 6, v55
	v_and_b32_e32 v0, 0xfffff, v4
	v_add_u32_e32 v17, v0, v17
	v_mov_b32_e32 v18, v3
	v_cmp_ne_u32_e32 vcc, 0, v5
                                        ; implicit-def: $vgpr0
	s_and_saveexec_b64 s[40:41], vcc
	s_xor_b64 s[40:41], exec, s[40:41]
; %bb.1268:                             ;   in Loop: Header=BB4_354 Depth=4
	v_cmp_lt_u64_e32 vcc, s[88:89], v[17:18]
	v_add_u32_e32 v0, 7, v55
	v_cndmask_b32_e64 v4, 0, 1, vcc
	v_lshrrev_b64 v[17:18], v4, v[17:18]
	v_cndmask_b32_e32 v0, v5, v0, vcc
; %bb.1269:                             ;   in Loop: Header=BB4_354 Depth=4
	s_andn2_saveexec_b64 s[40:41], s[40:41]
; %bb.1270:                             ;   in Loop: Header=BB4_354 Depth=4
	v_bfe_u32 v0, v17, 23, 1
; %bb.1271:                             ;   in Loop: Header=BB4_354 Depth=4
	s_or_b64 exec, exec, s[40:41]
	v_lshrrev_b64 v[4:5], 20, v[17:18]
	v_cmp_gt_i32_e32 vcc, 16, v0
	v_cndmask_b32_e32 v5, 0, v5, vcc
	v_cndmask_b32_e32 v4, 7, v4, vcc
	v_cmp_eq_u32_e32 vcc, 0, v0
	v_min_i32_e32 v0, 15, v0
	v_cmp_eq_u64_e64 s[40:41], 0, v[4:5]
	v_lshlrev_b32_e32 v0, 3, v0
	v_and_b32_e32 v0, 0xf8, v0
	v_and_or_b32 v0, v4, 7, v0
	s_and_b64 s[40:41], vcc, s[40:41]
	v_cndmask_b32_e64 v0, v0, 0, s[40:41]
	v_or_b32_e32 v57, v0, v50
.LBB4_1272:                             ;   in Loop: Header=BB4_354 Depth=4
	s_or_b64 exec, exec, s[50:51]
                                        ; implicit-def: $vgpr50
.LBB4_1273:                             ;   in Loop: Header=BB4_354 Depth=4
	s_andn2_saveexec_b64 s[40:41], s[48:49]
; %bb.1274:                             ;   in Loop: Header=BB4_354 Depth=4
	v_or_b32_e32 v57, 0x7e, v50
; %bb.1275:                             ;   in Loop: Header=BB4_354 Depth=4
	s_or_b64 exec, exec, s[40:41]
                                        ; implicit-def: $vgpr4
.LBB4_1276:                             ;   in Loop: Header=BB4_354 Depth=4
	s_andn2_saveexec_b64 s[40:41], s[38:39]
; %bb.1277:                             ;   in Loop: Header=BB4_354 Depth=4
	v_or_b32_sdwa v57, v4, s81 dst_sel:DWORD dst_unused:UNUSED_PAD src0_sel:BYTE_3 src1_sel:DWORD
; %bb.1278:                             ;   in Loop: Header=BB4_354 Depth=4
	s_or_b64 exec, exec, s[40:41]
	v_lshrrev_b16_e32 v18, 8, v2
	v_lshrrev_b16_e32 v17, 8, v16
	v_cmp_ne_u16_e64 s[40:41], 0, v18
	s_and_b64 vcc, exec, s[28:29]
	s_mov_b64 s[38:39], -1
                                        ; implicit-def: $vgpr4
	s_cbranch_vccnz .LBB4_1292
; %bb.1279:                             ;   in Loop: Header=BB4_354 Depth=4
	v_mov_b32_e32 v5, 0
	v_mov_b32_e32 v4, 0
	s_and_saveexec_b64 s[38:39], s[40:41]
	s_cbranch_execz .LBB4_1285
; %bb.1280:                             ;   in Loop: Header=BB4_354 Depth=4
	v_cmp_ne_u16_e32 vcc, s80, v18
	v_bfrev_b32_e32 v4, 1
	s_and_saveexec_b64 s[48:49], vcc
	s_cbranch_execz .LBB4_1284
; %bb.1281:                             ;   in Loop: Header=BB4_354 Depth=4
	v_and_b32_e32 v0, 0x7f, v18
	v_cmp_ne_u32_e32 vcc, s81, v0
	v_mov_b32_e32 v4, 0x7f800001
	s_and_saveexec_b64 s[50:51], vcc
	s_cbranch_execz .LBB4_1283
; %bb.1282:                             ;   in Loop: Header=BB4_354 Depth=4
	v_and_b32_e32 v4, 7, v18
	v_lshrrev_b32_e32 v50, 3, v0
	v_cmp_gt_u32_e32 vcc, 8, v0
	v_ffbh_u32_e32 v0, v4
	v_min_u32_e32 v0, 32, v0
	v_subrev_u32_e32 v55, 28, v0
	v_lshlrev_b64 v[42:43], v55, v[18:19]
	v_sub_u32_e32 v0, 29, v0
	v_and_b32_e32 v55, 7, v42
	v_cndmask_b32_e32 v0, v50, v0, vcc
	v_cndmask_b32_e32 v4, v4, v55, vcc
	v_lshlrev_b32_e32 v50, 16, v2
	v_lshlrev_b32_e32 v4, 20, v4
	v_and_b32_e32 v50, 0x80000000, v50
	v_lshl_add_u32 v0, v0, 23, v54
	v_or3_b32 v4, v50, v0, v4
.LBB4_1283:                             ;   in Loop: Header=BB4_354 Depth=4
	s_or_b64 exec, exec, s[50:51]
.LBB4_1284:                             ;   in Loop: Header=BB4_354 Depth=4
	s_or_b64 exec, exec, s[48:49]
.LBB4_1285:                             ;   in Loop: Header=BB4_354 Depth=4
	s_or_b64 exec, exec, s[38:39]
	v_cmp_ne_u16_e32 vcc, 0, v17
	s_and_saveexec_b64 s[38:39], vcc
	s_cbranch_execz .LBB4_1291
; %bb.1286:                             ;   in Loop: Header=BB4_354 Depth=4
	v_cmp_ne_u16_e32 vcc, s80, v17
	v_bfrev_b32_e32 v5, 1
	s_and_saveexec_b64 s[48:49], vcc
	s_cbranch_execz .LBB4_1290
; %bb.1287:                             ;   in Loop: Header=BB4_354 Depth=4
	v_and_b32_e32 v0, 0x7f, v17
	v_cmp_ne_u32_e32 vcc, s81, v0
	v_mov_b32_e32 v5, 0x7f800001
	s_and_saveexec_b64 s[50:51], vcc
	s_cbranch_execz .LBB4_1289
; %bb.1288:                             ;   in Loop: Header=BB4_354 Depth=4
	v_and_b32_e32 v5, 7, v17
	v_lshrrev_b32_e32 v50, 3, v0
	v_cmp_gt_u32_e32 vcc, 8, v0
	v_ffbh_u32_e32 v0, v5
	v_min_u32_e32 v0, 32, v0
	v_subrev_u32_e32 v55, 28, v0
	v_lshlrev_b64 v[42:43], v55, v[17:18]
	v_sub_u32_e32 v0, 29, v0
	v_and_b32_e32 v55, 7, v42
	v_cndmask_b32_e32 v0, v50, v0, vcc
	v_cndmask_b32_e32 v5, v5, v55, vcc
	v_lshlrev_b32_e32 v50, 16, v16
	v_lshlrev_b32_e32 v5, 20, v5
	v_and_b32_e32 v50, 0x80000000, v50
	v_lshl_add_u32 v0, v0, 23, v54
	v_or3_b32 v5, v50, v0, v5
.LBB4_1289:                             ;   in Loop: Header=BB4_354 Depth=4
	s_or_b64 exec, exec, s[50:51]
.LBB4_1290:                             ;   in Loop: Header=BB4_354 Depth=4
	s_or_b64 exec, exec, s[48:49]
.LBB4_1291:                             ;   in Loop: Header=BB4_354 Depth=4
	s_or_b64 exec, exec, s[38:39]
	v_max_f32_e32 v0, v5, v5
	v_max_f32_e32 v4, v4, v4
	;; [unrolled: 1-line block ×3, first 2 shown]
	s_mov_b64 s[38:39], 0
.LBB4_1292:                             ;   in Loop: Header=BB4_354 Depth=4
	s_and_b64 vcc, exec, s[38:39]
	s_cbranch_vccz .LBB4_1306
; %bb.1293:                             ;   in Loop: Header=BB4_354 Depth=4
	v_mov_b32_e32 v5, 0
	v_mov_b32_e32 v4, 0
	s_and_saveexec_b64 s[38:39], s[40:41]
	s_cbranch_execz .LBB4_1299
; %bb.1294:                             ;   in Loop: Header=BB4_354 Depth=4
	v_cmp_ne_u16_e32 vcc, s80, v18
	v_bfrev_b32_e32 v4, 1
	s_and_saveexec_b64 s[40:41], vcc
	s_cbranch_execz .LBB4_1298
; %bb.1295:                             ;   in Loop: Header=BB4_354 Depth=4
	v_and_b32_e32 v0, 0x7f, v18
	v_cmp_ne_u32_e32 vcc, s81, v0
	v_mov_b32_e32 v4, 0x7f800001
	s_and_saveexec_b64 s[48:49], vcc
	s_cbranch_execz .LBB4_1297
; %bb.1296:                             ;   in Loop: Header=BB4_354 Depth=4
	v_and_b32_e32 v4, 7, v18
	v_lshrrev_b32_e32 v50, 3, v0
	v_cmp_gt_u32_e32 vcc, 8, v0
	v_ffbh_u32_e32 v0, v4
	v_min_u32_e32 v0, 32, v0
	v_subrev_u32_e32 v55, 28, v0
	v_lshlrev_b64 v[42:43], v55, v[18:19]
	v_sub_u32_e32 v0, 29, v0
	v_and_b32_e32 v18, 7, v42
	v_cndmask_b32_e32 v0, v50, v0, vcc
	v_cndmask_b32_e32 v4, v4, v18, vcc
	v_lshlrev_b32_e32 v2, 16, v2
	v_lshlrev_b32_e32 v4, 20, v4
	v_and_b32_e32 v2, 0x80000000, v2
	v_lshl_add_u32 v0, v0, 23, v54
	v_or3_b32 v4, v2, v0, v4
.LBB4_1297:                             ;   in Loop: Header=BB4_354 Depth=4
	s_or_b64 exec, exec, s[48:49]
.LBB4_1298:                             ;   in Loop: Header=BB4_354 Depth=4
	s_or_b64 exec, exec, s[40:41]
.LBB4_1299:                             ;   in Loop: Header=BB4_354 Depth=4
	s_or_b64 exec, exec, s[38:39]
	v_cmp_ne_u16_e32 vcc, 0, v17
	s_and_saveexec_b64 s[40:41], vcc
	s_cbranch_execz .LBB4_1305
; %bb.1300:                             ;   in Loop: Header=BB4_354 Depth=4
	v_cmp_ne_u16_e32 vcc, s80, v17
	v_bfrev_b32_e32 v5, 1
	s_and_saveexec_b64 s[38:39], vcc
	s_cbranch_execz .LBB4_1304
; %bb.1301:                             ;   in Loop: Header=BB4_354 Depth=4
	v_and_b32_e32 v0, 0x7f, v17
	v_cmp_ne_u32_e32 vcc, s81, v0
	v_mov_b32_e32 v5, 0x7f800001
	s_and_saveexec_b64 s[48:49], vcc
	s_cbranch_execz .LBB4_1303
; %bb.1302:                             ;   in Loop: Header=BB4_354 Depth=4
	v_and_b32_e32 v2, 7, v17
	v_lshrrev_b32_e32 v5, 3, v0
	v_cmp_gt_u32_e32 vcc, 8, v0
	v_ffbh_u32_e32 v0, v2
	v_min_u32_e32 v0, 32, v0
	v_subrev_u32_e32 v18, 28, v0
	v_lshlrev_b64 v[17:18], v18, v[17:18]
	v_sub_u32_e32 v0, 29, v0
	v_and_b32_e32 v17, 7, v17
	v_cndmask_b32_e32 v0, v5, v0, vcc
	v_cndmask_b32_e32 v2, v2, v17, vcc
	v_lshlrev_b32_e32 v5, 16, v16
	v_lshlrev_b32_e32 v2, 20, v2
	v_and_b32_e32 v5, 0x80000000, v5
	v_lshl_add_u32 v0, v0, 23, v54
	v_or3_b32 v5, v5, v0, v2
.LBB4_1303:                             ;   in Loop: Header=BB4_354 Depth=4
	s_or_b64 exec, exec, s[48:49]
.LBB4_1304:                             ;   in Loop: Header=BB4_354 Depth=4
	s_or_b64 exec, exec, s[38:39]
.LBB4_1305:                             ;   in Loop: Header=BB4_354 Depth=4
	s_or_b64 exec, exec, s[40:41]
	v_max_f32_e32 v0, v5, v5
	v_max_f32_e32 v2, v4, v4
	v_min_f32_e32 v4, v2, v0
.LBB4_1306:                             ;   in Loop: Header=BB4_354 Depth=4
	v_and_b32_e32 v2, 0x7f800000, v4
	v_cmp_ne_u64_e32 vcc, s[76:77], v[2:3]
                                        ; implicit-def: $vgpr18
	s_and_saveexec_b64 s[40:41], vcc
	s_xor_b64 s[38:39], exec, s[40:41]
	s_cbranch_execz .LBB4_1320
; %bb.1307:                             ;   in Loop: Header=BB4_354 Depth=4
	v_and_b32_e32 v2, 0x7fffffff, v4
	v_cmp_gt_u64_e32 vcc, s[78:79], v[2:3]
	v_and_b32_sdwa v50, v4, s80 dst_sel:DWORD dst_unused:UNUSED_PAD src0_sel:BYTE_3 src1_sel:DWORD
                                        ; implicit-def: $vgpr18
	s_and_saveexec_b64 s[40:41], vcc
	s_xor_b64 s[48:49], exec, s[40:41]
	s_cbranch_execz .LBB4_1317
; %bb.1308:                             ;   in Loop: Header=BB4_354 Depth=4
	v_mov_b32_e32 v18, 0
	v_cmp_ne_u32_e32 vcc, 0, v4
	s_and_saveexec_b64 s[50:51], vcc
	s_cbranch_execz .LBB4_1316
; %bb.1309:                             ;   in Loop: Header=BB4_354 Depth=4
	v_bfe_u32 v18, v4, 23, 8
	v_cmp_gt_u32_e64 s[40:41], s83, v18
	v_sub_u32_e32 v2, 0x79, v18
	v_and_b32_e32 v0, 0x7fffff, v4
	v_cmp_eq_u32_e32 vcc, 0, v18
	v_cndmask_b32_e64 v2, 0, v2, s[40:41]
	v_mov_b32_e32 v5, 0x78
	v_or_b32_e32 v4, 0x800000, v0
	v_cndmask_b32_e32 v55, v2, v5, vcc
	v_cndmask_b32_e32 v2, v4, v0, vcc
	v_add_u32_e32 v0, 20, v55
	v_lshlrev_b64 v[4:5], v0, -1
	v_add_u32_e32 v0, 19, v55
	v_lshlrev_b64 v[16:17], v0, 1
	v_bfi_b32 v5, v5, 0, 0
	v_bfi_b32 v4, v4, 0, v2
	v_cmp_eq_u64_e64 s[40:41], v[4:5], v[16:17]
	v_lshrrev_b64 v[16:17], v55, v[2:3]
	v_mov_b32_e32 v4, v16
	v_mov_b32_e32 v5, v17
	s_and_saveexec_b64 s[52:53], s[40:41]
; %bb.1310:                             ;   in Loop: Header=BB4_354 Depth=4
	v_bfe_u32 v0, v16, 20, 1
	v_add_co_u32_e64 v0, s[40:41], v16, v0
	v_add_co_u32_e64 v4, s[40:41], -1, v0
; %bb.1311:                             ;   in Loop: Header=BB4_354 Depth=4
	s_or_b64 exec, exec, s[52:53]
	v_add_u32_e32 v0, 0xffffff81, v18
	v_mov_b32_e32 v2, 0xffffff82
	v_cndmask_b32_e32 v0, v0, v2, vcc
	v_lshrrev_b32_e32 v2, 23, v16
	v_add3_u32 v18, v55, v0, v2
	v_add_u32_e32 v5, 6, v18
	v_and_b32_e32 v0, 0xfffff, v4
	v_add_u32_e32 v2, v0, v16
	v_cmp_ne_u32_e32 vcc, 0, v5
                                        ; implicit-def: $vgpr16_vgpr17
                                        ; implicit-def: $vgpr0
	s_and_saveexec_b64 s[40:41], vcc
	s_xor_b64 s[40:41], exec, s[40:41]
; %bb.1312:                             ;   in Loop: Header=BB4_354 Depth=4
	v_cmp_lt_u64_e32 vcc, s[88:89], v[2:3]
	v_add_u32_e32 v0, 7, v18
	v_cndmask_b32_e64 v4, 0, 1, vcc
	v_lshrrev_b64 v[16:17], v4, v[2:3]
	v_cndmask_b32_e32 v0, v5, v0, vcc
; %bb.1313:                             ;   in Loop: Header=BB4_354 Depth=4
	s_andn2_saveexec_b64 s[40:41], s[40:41]
; %bb.1314:                             ;   in Loop: Header=BB4_354 Depth=4
	v_mov_b32_e32 v17, v3
	v_bfe_u32 v0, v2, 23, 1
	v_mov_b32_e32 v16, v2
; %bb.1315:                             ;   in Loop: Header=BB4_354 Depth=4
	s_or_b64 exec, exec, s[40:41]
	v_lshrrev_b64 v[4:5], 20, v[16:17]
	v_cmp_gt_i32_e32 vcc, 16, v0
	v_cndmask_b32_e32 v5, 0, v5, vcc
	v_cndmask_b32_e32 v4, 7, v4, vcc
	v_cmp_eq_u32_e32 vcc, 0, v0
	v_min_i32_e32 v0, 15, v0
	v_cmp_eq_u64_e64 s[40:41], 0, v[4:5]
	v_lshlrev_b32_e32 v0, 3, v0
	v_and_b32_e32 v0, 0xf8, v0
	v_and_or_b32 v0, v4, 7, v0
	s_and_b64 s[40:41], vcc, s[40:41]
	v_cndmask_b32_e64 v0, v0, 0, s[40:41]
	v_or_b32_e32 v18, v0, v50
.LBB4_1316:                             ;   in Loop: Header=BB4_354 Depth=4
	s_or_b64 exec, exec, s[50:51]
                                        ; implicit-def: $vgpr50
.LBB4_1317:                             ;   in Loop: Header=BB4_354 Depth=4
	s_andn2_saveexec_b64 s[40:41], s[48:49]
; %bb.1318:                             ;   in Loop: Header=BB4_354 Depth=4
	v_or_b32_e32 v18, 0x7e, v50
; %bb.1319:                             ;   in Loop: Header=BB4_354 Depth=4
	s_or_b64 exec, exec, s[40:41]
                                        ; implicit-def: $vgpr4
.LBB4_1320:                             ;   in Loop: Header=BB4_354 Depth=4
	s_andn2_saveexec_b64 s[40:41], s[38:39]
; %bb.1321:                             ;   in Loop: Header=BB4_354 Depth=4
	v_or_b32_sdwa v18, v4, s81 dst_sel:DWORD dst_unused:UNUSED_PAD src0_sel:BYTE_3 src1_sel:DWORD
; %bb.1322:                             ;   in Loop: Header=BB4_354 Depth=4
	s_or_b64 exec, exec, s[40:41]
	v_lshrrev_b32_e32 v16, 16, v13
	v_lshrrev_b32_e32 v2, 16, v9
	v_cmp_ne_u16_sdwa s[40:41], v16, v3 src0_sel:BYTE_0 src1_sel:DWORD
	s_and_b64 vcc, exec, s[28:29]
	s_mov_b64 s[38:39], -1
                                        ; implicit-def: $vgpr4
	s_cbranch_vccnz .LBB4_1336
; %bb.1323:                             ;   in Loop: Header=BB4_354 Depth=4
	v_mov_b32_e32 v5, 0
	v_mov_b32_e32 v4, 0
	s_and_saveexec_b64 s[38:39], s[40:41]
	s_cbranch_execz .LBB4_1329
; %bb.1324:                             ;   in Loop: Header=BB4_354 Depth=4
	v_cmp_ne_u16_sdwa vcc, v16, s80 src0_sel:BYTE_0 src1_sel:DWORD
	v_bfrev_b32_e32 v4, 1
	s_and_saveexec_b64 s[48:49], vcc
	s_cbranch_execz .LBB4_1328
; %bb.1325:                             ;   in Loop: Header=BB4_354 Depth=4
	v_bfe_u32 v0, v13, 16, 7
	v_cmp_ne_u32_e32 vcc, s81, v0
	v_mov_b32_e32 v4, 0x7f800001
	s_and_saveexec_b64 s[50:51], vcc
	s_cbranch_execz .LBB4_1327
; %bb.1326:                             ;   in Loop: Header=BB4_354 Depth=4
	v_and_b32_e32 v4, 7, v16
	v_lshrrev_b32_e32 v17, 3, v0
	v_cmp_gt_u32_e32 vcc, 8, v0
	v_ffbh_u32_e32 v0, v4
	v_min_u32_e32 v0, 32, v0
	v_subrev_u32_e32 v50, 28, v0
	v_lshlrev_b64 v[42:43], v50, v[16:17]
	v_sub_u32_e32 v0, 29, v0
	v_and_b32_e32 v50, 7, v42
	v_cndmask_b32_e32 v0, v17, v0, vcc
	v_cndmask_b32_e32 v4, v4, v50, vcc
	v_lshlrev_b32_e32 v17, 24, v16
	v_lshlrev_b32_e32 v4, 20, v4
	v_and_b32_e32 v17, 0x80000000, v17
	v_lshl_add_u32 v0, v0, 23, v54
	v_or3_b32 v4, v17, v0, v4
.LBB4_1327:                             ;   in Loop: Header=BB4_354 Depth=4
	s_or_b64 exec, exec, s[50:51]
.LBB4_1328:                             ;   in Loop: Header=BB4_354 Depth=4
	s_or_b64 exec, exec, s[48:49]
.LBB4_1329:                             ;   in Loop: Header=BB4_354 Depth=4
	s_or_b64 exec, exec, s[38:39]
	v_cmp_ne_u16_sdwa vcc, v2, v3 src0_sel:BYTE_0 src1_sel:DWORD
	s_and_saveexec_b64 s[38:39], vcc
	s_cbranch_execz .LBB4_1335
; %bb.1330:                             ;   in Loop: Header=BB4_354 Depth=4
	v_cmp_ne_u16_sdwa vcc, v2, s80 src0_sel:BYTE_0 src1_sel:DWORD
	v_bfrev_b32_e32 v5, 1
	s_and_saveexec_b64 s[48:49], vcc
	s_cbranch_execz .LBB4_1334
; %bb.1331:                             ;   in Loop: Header=BB4_354 Depth=4
	v_bfe_u32 v0, v9, 16, 7
	v_cmp_ne_u32_e32 vcc, s81, v0
	v_mov_b32_e32 v5, 0x7f800001
	s_and_saveexec_b64 s[50:51], vcc
	s_cbranch_execz .LBB4_1333
; %bb.1332:                             ;   in Loop: Header=BB4_354 Depth=4
	v_and_b32_e32 v5, 7, v2
	v_lshrrev_b32_e32 v17, 3, v0
	v_cmp_gt_u32_e32 vcc, 8, v0
	v_ffbh_u32_e32 v0, v5
	v_min_u32_e32 v0, 32, v0
	v_subrev_u32_e32 v50, 28, v0
	v_lshlrev_b64 v[42:43], v50, v[2:3]
	v_sub_u32_e32 v0, 29, v0
	v_and_b32_e32 v50, 7, v42
	v_cndmask_b32_e32 v0, v17, v0, vcc
	v_cndmask_b32_e32 v5, v5, v50, vcc
	v_lshlrev_b32_e32 v17, 24, v2
	v_lshlrev_b32_e32 v5, 20, v5
	v_and_b32_e32 v17, 0x80000000, v17
	v_lshl_add_u32 v0, v0, 23, v54
	v_or3_b32 v5, v17, v0, v5
.LBB4_1333:                             ;   in Loop: Header=BB4_354 Depth=4
	s_or_b64 exec, exec, s[50:51]
.LBB4_1334:                             ;   in Loop: Header=BB4_354 Depth=4
	s_or_b64 exec, exec, s[48:49]
.LBB4_1335:                             ;   in Loop: Header=BB4_354 Depth=4
	s_or_b64 exec, exec, s[38:39]
	v_max_f32_e32 v0, v5, v5
	v_max_f32_e32 v4, v4, v4
	;; [unrolled: 1-line block ×3, first 2 shown]
	s_mov_b64 s[38:39], 0
.LBB4_1336:                             ;   in Loop: Header=BB4_354 Depth=4
	s_and_b64 vcc, exec, s[38:39]
	s_cbranch_vccz .LBB4_1350
; %bb.1337:                             ;   in Loop: Header=BB4_354 Depth=4
	v_mov_b32_e32 v5, 0
	v_mov_b32_e32 v4, 0
	s_and_saveexec_b64 s[38:39], s[40:41]
	s_cbranch_execz .LBB4_1343
; %bb.1338:                             ;   in Loop: Header=BB4_354 Depth=4
	v_cmp_ne_u16_sdwa vcc, v16, s80 src0_sel:BYTE_0 src1_sel:DWORD
	v_bfrev_b32_e32 v4, 1
	s_and_saveexec_b64 s[40:41], vcc
	s_cbranch_execz .LBB4_1342
; %bb.1339:                             ;   in Loop: Header=BB4_354 Depth=4
	v_bfe_u32 v0, v13, 16, 7
	v_cmp_ne_u32_e32 vcc, s81, v0
	v_mov_b32_e32 v4, 0x7f800001
	s_and_saveexec_b64 s[48:49], vcc
	s_cbranch_execz .LBB4_1341
; %bb.1340:                             ;   in Loop: Header=BB4_354 Depth=4
	v_and_b32_e32 v4, 7, v16
	v_lshrrev_b32_e32 v17, 3, v0
	v_cmp_gt_u32_e32 vcc, 8, v0
	v_ffbh_u32_e32 v0, v4
	v_min_u32_e32 v0, 32, v0
	v_subrev_u32_e32 v50, 28, v0
	v_lshlrev_b64 v[42:43], v50, v[16:17]
	v_sub_u32_e32 v0, 29, v0
	v_and_b32_e32 v50, 7, v42
	v_cndmask_b32_e32 v0, v17, v0, vcc
	v_cndmask_b32_e32 v4, v4, v50, vcc
	v_lshlrev_b32_e32 v16, 24, v16
	v_lshlrev_b32_e32 v4, 20, v4
	v_and_b32_e32 v16, 0x80000000, v16
	v_lshl_add_u32 v0, v0, 23, v54
	v_or3_b32 v4, v16, v0, v4
.LBB4_1341:                             ;   in Loop: Header=BB4_354 Depth=4
	s_or_b64 exec, exec, s[48:49]
.LBB4_1342:                             ;   in Loop: Header=BB4_354 Depth=4
	s_or_b64 exec, exec, s[40:41]
.LBB4_1343:                             ;   in Loop: Header=BB4_354 Depth=4
	s_or_b64 exec, exec, s[38:39]
	v_cmp_ne_u16_sdwa vcc, v2, v3 src0_sel:BYTE_0 src1_sel:DWORD
	s_and_saveexec_b64 s[40:41], vcc
	s_cbranch_execz .LBB4_1349
; %bb.1344:                             ;   in Loop: Header=BB4_354 Depth=4
	v_cmp_ne_u16_sdwa vcc, v2, s80 src0_sel:BYTE_0 src1_sel:DWORD
	v_bfrev_b32_e32 v5, 1
	s_and_saveexec_b64 s[38:39], vcc
	s_cbranch_execz .LBB4_1348
; %bb.1345:                             ;   in Loop: Header=BB4_354 Depth=4
	v_bfe_u32 v0, v9, 16, 7
	v_cmp_ne_u32_e32 vcc, s81, v0
	v_mov_b32_e32 v5, 0x7f800001
	s_and_saveexec_b64 s[48:49], vcc
	s_cbranch_execz .LBB4_1347
; %bb.1346:                             ;   in Loop: Header=BB4_354 Depth=4
	v_and_b32_e32 v5, 7, v2
	v_lshrrev_b32_e32 v50, 3, v0
	v_cmp_gt_u32_e32 vcc, 8, v0
	v_ffbh_u32_e32 v0, v5
	v_min_u32_e32 v0, 32, v0
	v_subrev_u32_e32 v16, 28, v0
	v_lshlrev_b64 v[16:17], v16, v[2:3]
	v_sub_u32_e32 v0, 29, v0
	v_and_b32_e32 v16, 7, v16
	v_cndmask_b32_e32 v0, v50, v0, vcc
	v_cndmask_b32_e32 v5, v5, v16, vcc
	v_lshlrev_b32_e32 v2, 24, v2
	v_lshlrev_b32_e32 v5, 20, v5
	v_and_b32_e32 v2, 0x80000000, v2
	v_lshl_add_u32 v0, v0, 23, v54
	v_or3_b32 v5, v2, v0, v5
.LBB4_1347:                             ;   in Loop: Header=BB4_354 Depth=4
	s_or_b64 exec, exec, s[48:49]
.LBB4_1348:                             ;   in Loop: Header=BB4_354 Depth=4
	s_or_b64 exec, exec, s[38:39]
.LBB4_1349:                             ;   in Loop: Header=BB4_354 Depth=4
	s_or_b64 exec, exec, s[40:41]
	v_max_f32_e32 v0, v5, v5
	v_max_f32_e32 v2, v4, v4
	v_min_f32_e32 v4, v2, v0
.LBB4_1350:                             ;   in Loop: Header=BB4_354 Depth=4
	v_and_b32_e32 v2, 0x7f800000, v4
	v_cmp_ne_u64_e32 vcc, s[76:77], v[2:3]
                                        ; implicit-def: $vgpr17
	s_and_saveexec_b64 s[40:41], vcc
	s_xor_b64 s[38:39], exec, s[40:41]
	s_cbranch_execz .LBB4_1364
; %bb.1351:                             ;   in Loop: Header=BB4_354 Depth=4
	v_and_b32_e32 v2, 0x7fffffff, v4
	v_cmp_gt_u64_e32 vcc, s[78:79], v[2:3]
	v_and_b32_sdwa v50, v4, s80 dst_sel:DWORD dst_unused:UNUSED_PAD src0_sel:BYTE_3 src1_sel:DWORD
                                        ; implicit-def: $vgpr17
	s_and_saveexec_b64 s[40:41], vcc
	s_xor_b64 s[48:49], exec, s[40:41]
	s_cbranch_execz .LBB4_1361
; %bb.1352:                             ;   in Loop: Header=BB4_354 Depth=4
	v_mov_b32_e32 v17, 0
	v_cmp_ne_u32_e32 vcc, 0, v4
	s_and_saveexec_b64 s[50:51], vcc
	s_cbranch_execz .LBB4_1360
; %bb.1353:                             ;   in Loop: Header=BB4_354 Depth=4
	v_bfe_u32 v55, v4, 23, 8
	v_cmp_gt_u32_e64 s[40:41], s83, v55
	v_sub_u32_e32 v2, 0x79, v55
	v_and_b32_e32 v0, 0x7fffff, v4
	v_cmp_eq_u32_e32 vcc, 0, v55
	v_cndmask_b32_e64 v2, 0, v2, s[40:41]
	v_mov_b32_e32 v5, 0x78
	v_or_b32_e32 v4, 0x800000, v0
	v_cndmask_b32_e32 v42, v2, v5, vcc
	v_cndmask_b32_e32 v2, v4, v0, vcc
	v_add_u32_e32 v0, 20, v42
	v_lshlrev_b64 v[4:5], v0, -1
	v_add_u32_e32 v0, 19, v42
	v_lshlrev_b64 v[16:17], v0, 1
	v_bfi_b32 v5, v5, 0, 0
	v_bfi_b32 v4, v4, 0, v2
	v_cmp_eq_u64_e64 s[40:41], v[4:5], v[16:17]
	v_lshrrev_b64 v[16:17], v42, v[2:3]
	v_mov_b32_e32 v4, v16
	v_mov_b32_e32 v5, v17
	s_and_saveexec_b64 s[52:53], s[40:41]
; %bb.1354:                             ;   in Loop: Header=BB4_354 Depth=4
	v_bfe_u32 v0, v16, 20, 1
	v_add_co_u32_e64 v0, s[40:41], v16, v0
	v_add_co_u32_e64 v4, s[40:41], -1, v0
; %bb.1355:                             ;   in Loop: Header=BB4_354 Depth=4
	s_or_b64 exec, exec, s[52:53]
	v_add_u32_e32 v0, 0xffffff81, v55
	v_mov_b32_e32 v2, 0xffffff82
	v_cndmask_b32_e32 v0, v0, v2, vcc
	v_lshrrev_b32_e32 v2, 23, v16
	v_add3_u32 v55, v42, v0, v2
	v_add_u32_e32 v5, 6, v55
	v_and_b32_e32 v0, 0xfffff, v4
	v_add_u32_e32 v2, v0, v16
	v_cmp_ne_u32_e32 vcc, 0, v5
                                        ; implicit-def: $vgpr16_vgpr17
                                        ; implicit-def: $vgpr0
	s_and_saveexec_b64 s[40:41], vcc
	s_xor_b64 s[40:41], exec, s[40:41]
; %bb.1356:                             ;   in Loop: Header=BB4_354 Depth=4
	v_cmp_lt_u64_e32 vcc, s[88:89], v[2:3]
	v_add_u32_e32 v0, 7, v55
	v_cndmask_b32_e64 v4, 0, 1, vcc
	v_lshrrev_b64 v[16:17], v4, v[2:3]
	v_cndmask_b32_e32 v0, v5, v0, vcc
; %bb.1357:                             ;   in Loop: Header=BB4_354 Depth=4
	s_andn2_saveexec_b64 s[40:41], s[40:41]
; %bb.1358:                             ;   in Loop: Header=BB4_354 Depth=4
	v_mov_b32_e32 v17, v3
	v_bfe_u32 v0, v2, 23, 1
	v_mov_b32_e32 v16, v2
; %bb.1359:                             ;   in Loop: Header=BB4_354 Depth=4
	s_or_b64 exec, exec, s[40:41]
	v_lshrrev_b64 v[4:5], 20, v[16:17]
	v_cmp_gt_i32_e32 vcc, 16, v0
	v_cndmask_b32_e32 v5, 0, v5, vcc
	v_cndmask_b32_e32 v4, 7, v4, vcc
	v_cmp_eq_u32_e32 vcc, 0, v0
	v_min_i32_e32 v0, 15, v0
	v_cmp_eq_u64_e64 s[40:41], 0, v[4:5]
	v_lshlrev_b32_e32 v0, 3, v0
	v_and_b32_e32 v0, 0xf8, v0
	v_and_or_b32 v0, v4, 7, v0
	s_and_b64 s[40:41], vcc, s[40:41]
	v_cndmask_b32_e64 v0, v0, 0, s[40:41]
	v_or_b32_e32 v17, v0, v50
.LBB4_1360:                             ;   in Loop: Header=BB4_354 Depth=4
	s_or_b64 exec, exec, s[50:51]
                                        ; implicit-def: $vgpr50
.LBB4_1361:                             ;   in Loop: Header=BB4_354 Depth=4
	s_andn2_saveexec_b64 s[40:41], s[48:49]
; %bb.1362:                             ;   in Loop: Header=BB4_354 Depth=4
	v_or_b32_e32 v17, 0x7e, v50
; %bb.1363:                             ;   in Loop: Header=BB4_354 Depth=4
	s_or_b64 exec, exec, s[40:41]
                                        ; implicit-def: $vgpr4
.LBB4_1364:                             ;   in Loop: Header=BB4_354 Depth=4
	s_andn2_saveexec_b64 s[40:41], s[38:39]
; %bb.1365:                             ;   in Loop: Header=BB4_354 Depth=4
	v_or_b32_sdwa v17, v4, s81 dst_sel:DWORD dst_unused:UNUSED_PAD src0_sel:BYTE_3 src1_sel:DWORD
; %bb.1366:                             ;   in Loop: Header=BB4_354 Depth=4
	s_or_b64 exec, exec, s[40:41]
	v_cmp_lt_u64_e64 s[40:41], s[62:63], v[12:13]
	v_lshrrev_b32_e32 v16, 24, v13
	v_lshrrev_b32_e32 v2, 24, v9
	s_and_b64 vcc, exec, s[28:29]
	s_mov_b64 s[38:39], -1
                                        ; implicit-def: $vgpr4
	s_cbranch_vccnz .LBB4_1380
; %bb.1367:                             ;   in Loop: Header=BB4_354 Depth=4
	v_mov_b32_e32 v5, 0
	v_mov_b32_e32 v4, 0
	s_and_saveexec_b64 s[38:39], s[40:41]
	s_cbranch_execz .LBB4_1373
; %bb.1368:                             ;   in Loop: Header=BB4_354 Depth=4
	v_cmp_ne_u32_e32 vcc, s80, v16
	v_bfrev_b32_e32 v4, 1
	s_and_saveexec_b64 s[48:49], vcc
	s_cbranch_execz .LBB4_1372
; %bb.1369:                             ;   in Loop: Header=BB4_354 Depth=4
	v_bfe_u32 v0, v13, 24, 7
	v_cmp_ne_u32_e32 vcc, s81, v0
	v_mov_b32_e32 v4, 0x7f800001
	s_and_saveexec_b64 s[50:51], vcc
	s_cbranch_execz .LBB4_1371
; %bb.1370:                             ;   in Loop: Header=BB4_354 Depth=4
	v_and_b32_e32 v4, 7, v16
	v_lshrrev_b32_e32 v12, 3, v0
	v_cmp_gt_u32_e32 vcc, 8, v0
	v_ffbh_u32_e32 v0, v4
	v_min_u32_e32 v0, 32, v0
	v_subrev_u32_e32 v50, 28, v0
	v_lshlrev_b64 v[42:43], v50, v[16:17]
	v_sub_u32_e32 v0, 29, v0
	v_and_b32_e32 v50, 7, v42
	v_cndmask_b32_e32 v0, v12, v0, vcc
	v_cndmask_b32_e32 v4, v4, v50, vcc
	v_lshlrev_b32_e32 v12, 24, v16
	v_lshlrev_b32_e32 v4, 20, v4
	v_and_b32_e32 v12, 0x80000000, v12
	v_lshl_add_u32 v0, v0, 23, v54
	v_or3_b32 v4, v12, v0, v4
.LBB4_1371:                             ;   in Loop: Header=BB4_354 Depth=4
	s_or_b64 exec, exec, s[50:51]
.LBB4_1372:                             ;   in Loop: Header=BB4_354 Depth=4
	s_or_b64 exec, exec, s[48:49]
.LBB4_1373:                             ;   in Loop: Header=BB4_354 Depth=4
	s_or_b64 exec, exec, s[38:39]
	v_cmp_lt_u64_e32 vcc, s[62:63], v[8:9]
	s_and_saveexec_b64 s[38:39], vcc
	s_cbranch_execz .LBB4_1379
; %bb.1374:                             ;   in Loop: Header=BB4_354 Depth=4
	v_cmp_ne_u32_e32 vcc, s80, v2
	v_bfrev_b32_e32 v5, 1
	s_and_saveexec_b64 s[48:49], vcc
	s_cbranch_execz .LBB4_1378
; %bb.1375:                             ;   in Loop: Header=BB4_354 Depth=4
	v_bfe_u32 v0, v9, 24, 7
	v_cmp_ne_u32_e32 vcc, s81, v0
	v_mov_b32_e32 v5, 0x7f800001
	s_and_saveexec_b64 s[50:51], vcc
	s_cbranch_execz .LBB4_1377
; %bb.1376:                             ;   in Loop: Header=BB4_354 Depth=4
	v_and_b32_e32 v5, 7, v2
	v_lshrrev_b32_e32 v12, 3, v0
	v_cmp_gt_u32_e32 vcc, 8, v0
	v_ffbh_u32_e32 v0, v5
	v_min_u32_e32 v0, 32, v0
	v_subrev_u32_e32 v50, 28, v0
	v_lshlrev_b64 v[42:43], v50, v[2:3]
	v_sub_u32_e32 v0, 29, v0
	v_and_b32_e32 v50, 7, v42
	v_cndmask_b32_e32 v0, v12, v0, vcc
	v_cndmask_b32_e32 v5, v5, v50, vcc
	v_lshlrev_b32_e32 v12, 24, v2
	v_lshlrev_b32_e32 v5, 20, v5
	v_and_b32_e32 v12, 0x80000000, v12
	v_lshl_add_u32 v0, v0, 23, v54
	v_or3_b32 v5, v12, v0, v5
.LBB4_1377:                             ;   in Loop: Header=BB4_354 Depth=4
	s_or_b64 exec, exec, s[50:51]
.LBB4_1378:                             ;   in Loop: Header=BB4_354 Depth=4
	s_or_b64 exec, exec, s[48:49]
.LBB4_1379:                             ;   in Loop: Header=BB4_354 Depth=4
	s_or_b64 exec, exec, s[38:39]
	v_max_f32_e32 v0, v5, v5
	v_max_f32_e32 v4, v4, v4
	;; [unrolled: 1-line block ×3, first 2 shown]
	s_mov_b64 s[38:39], 0
.LBB4_1380:                             ;   in Loop: Header=BB4_354 Depth=4
	s_and_b64 vcc, exec, s[38:39]
	s_cbranch_vccz .LBB4_1394
; %bb.1381:                             ;   in Loop: Header=BB4_354 Depth=4
	v_mov_b32_e32 v5, 0
	v_mov_b32_e32 v4, 0
	s_and_saveexec_b64 s[38:39], s[40:41]
	s_cbranch_execz .LBB4_1387
; %bb.1382:                             ;   in Loop: Header=BB4_354 Depth=4
	v_cmp_ne_u32_e32 vcc, s80, v16
	v_bfrev_b32_e32 v4, 1
	s_and_saveexec_b64 s[40:41], vcc
	s_cbranch_execz .LBB4_1386
; %bb.1383:                             ;   in Loop: Header=BB4_354 Depth=4
	v_bfe_u32 v0, v13, 24, 7
	v_cmp_ne_u32_e32 vcc, s81, v0
	v_mov_b32_e32 v4, 0x7f800001
	s_and_saveexec_b64 s[48:49], vcc
	s_cbranch_execz .LBB4_1385
; %bb.1384:                             ;   in Loop: Header=BB4_354 Depth=4
	v_and_b32_e32 v4, 7, v16
	v_lshrrev_b32_e32 v50, 3, v0
	v_cmp_gt_u32_e32 vcc, 8, v0
	v_ffbh_u32_e32 v0, v4
	v_min_u32_e32 v0, 32, v0
	v_subrev_u32_e32 v12, 28, v0
	v_lshlrev_b64 v[12:13], v12, v[16:17]
	v_sub_u32_e32 v0, 29, v0
	v_and_b32_e32 v12, 7, v12
	v_cndmask_b32_e32 v0, v50, v0, vcc
	v_cndmask_b32_e32 v4, v4, v12, vcc
	v_lshlrev_b32_e32 v12, 24, v16
	v_lshlrev_b32_e32 v4, 20, v4
	v_and_b32_e32 v12, 0x80000000, v12
	v_lshl_add_u32 v0, v0, 23, v54
	v_or3_b32 v4, v12, v0, v4
.LBB4_1385:                             ;   in Loop: Header=BB4_354 Depth=4
	s_or_b64 exec, exec, s[48:49]
.LBB4_1386:                             ;   in Loop: Header=BB4_354 Depth=4
	s_or_b64 exec, exec, s[40:41]
.LBB4_1387:                             ;   in Loop: Header=BB4_354 Depth=4
	s_or_b64 exec, exec, s[38:39]
	v_cmp_lt_u64_e32 vcc, s[62:63], v[8:9]
	s_and_saveexec_b64 s[40:41], vcc
	s_cbranch_execz .LBB4_1393
; %bb.1388:                             ;   in Loop: Header=BB4_354 Depth=4
	v_cmp_ne_u32_e32 vcc, s80, v2
	v_bfrev_b32_e32 v5, 1
	s_and_saveexec_b64 s[38:39], vcc
	s_cbranch_execz .LBB4_1392
; %bb.1389:                             ;   in Loop: Header=BB4_354 Depth=4
	v_bfe_u32 v0, v9, 24, 7
	v_cmp_ne_u32_e32 vcc, s81, v0
	v_mov_b32_e32 v5, 0x7f800001
	s_and_saveexec_b64 s[48:49], vcc
	s_cbranch_execz .LBB4_1391
; %bb.1390:                             ;   in Loop: Header=BB4_354 Depth=4
	v_and_b32_e32 v5, 7, v2
	v_lshrrev_b32_e32 v12, 3, v0
	v_cmp_gt_u32_e32 vcc, 8, v0
	v_ffbh_u32_e32 v0, v5
	v_min_u32_e32 v0, 32, v0
	v_subrev_u32_e32 v8, 28, v0
	v_lshlrev_b64 v[8:9], v8, v[2:3]
	v_sub_u32_e32 v0, 29, v0
	v_and_b32_e32 v8, 7, v8
	v_cndmask_b32_e32 v0, v12, v0, vcc
	v_cndmask_b32_e32 v5, v5, v8, vcc
	v_lshlrev_b32_e32 v2, 24, v2
	v_lshlrev_b32_e32 v5, 20, v5
	v_and_b32_e32 v2, 0x80000000, v2
	v_lshl_add_u32 v0, v0, 23, v54
	v_or3_b32 v5, v2, v0, v5
.LBB4_1391:                             ;   in Loop: Header=BB4_354 Depth=4
	s_or_b64 exec, exec, s[48:49]
.LBB4_1392:                             ;   in Loop: Header=BB4_354 Depth=4
	s_or_b64 exec, exec, s[38:39]
.LBB4_1393:                             ;   in Loop: Header=BB4_354 Depth=4
	s_or_b64 exec, exec, s[40:41]
	v_max_f32_e32 v0, v5, v5
	v_max_f32_e32 v2, v4, v4
	v_min_f32_e32 v4, v2, v0
.LBB4_1394:                             ;   in Loop: Header=BB4_354 Depth=4
	v_and_b32_e32 v2, 0x7f800000, v4
	v_cmp_ne_u64_e32 vcc, s[76:77], v[2:3]
                                        ; implicit-def: $vgpr16
	s_and_saveexec_b64 s[40:41], vcc
	s_xor_b64 s[38:39], exec, s[40:41]
	s_cbranch_execz .LBB4_1408
; %bb.1395:                             ;   in Loop: Header=BB4_354 Depth=4
	v_and_b32_e32 v2, 0x7fffffff, v4
	v_cmp_gt_u64_e32 vcc, s[78:79], v[2:3]
	v_and_b32_sdwa v12, v4, s80 dst_sel:DWORD dst_unused:UNUSED_PAD src0_sel:BYTE_3 src1_sel:DWORD
                                        ; implicit-def: $vgpr16
	s_and_saveexec_b64 s[40:41], vcc
	s_xor_b64 s[48:49], exec, s[40:41]
	s_cbranch_execz .LBB4_1405
; %bb.1396:                             ;   in Loop: Header=BB4_354 Depth=4
	v_mov_b32_e32 v16, 0
	v_cmp_ne_u32_e32 vcc, 0, v4
	s_and_saveexec_b64 s[50:51], vcc
	s_cbranch_execz .LBB4_1404
; %bb.1397:                             ;   in Loop: Header=BB4_354 Depth=4
	v_bfe_u32 v13, v4, 23, 8
	v_cmp_gt_u32_e64 s[40:41], s83, v13
	v_sub_u32_e32 v2, 0x79, v13
	v_and_b32_e32 v0, 0x7fffff, v4
	v_cmp_eq_u32_e32 vcc, 0, v13
	v_cndmask_b32_e64 v2, 0, v2, s[40:41]
	v_mov_b32_e32 v5, 0x78
	v_or_b32_e32 v4, 0x800000, v0
	v_cndmask_b32_e32 v16, v2, v5, vcc
	v_cndmask_b32_e32 v2, v4, v0, vcc
	v_add_u32_e32 v0, 20, v16
	v_lshlrev_b64 v[4:5], v0, -1
	v_add_u32_e32 v0, 19, v16
	v_lshlrev_b64 v[8:9], v0, 1
	v_bfi_b32 v5, v5, 0, 0
	v_bfi_b32 v4, v4, 0, v2
	v_cmp_eq_u64_e64 s[40:41], v[4:5], v[8:9]
	v_lshrrev_b64 v[8:9], v16, v[2:3]
	v_mov_b32_e32 v4, v8
	v_mov_b32_e32 v5, v9
	s_and_saveexec_b64 s[52:53], s[40:41]
; %bb.1398:                             ;   in Loop: Header=BB4_354 Depth=4
	v_bfe_u32 v0, v8, 20, 1
	v_add_co_u32_e64 v0, s[40:41], v8, v0
	v_add_co_u32_e64 v4, s[40:41], -1, v0
; %bb.1399:                             ;   in Loop: Header=BB4_354 Depth=4
	s_or_b64 exec, exec, s[52:53]
	v_add_u32_e32 v0, 0xffffff81, v13
	v_mov_b32_e32 v2, 0xffffff82
	v_cndmask_b32_e32 v0, v0, v2, vcc
	v_lshrrev_b32_e32 v2, 23, v8
	v_add3_u32 v13, v16, v0, v2
	v_add_u32_e32 v5, 6, v13
	v_and_b32_e32 v0, 0xfffff, v4
	v_add_u32_e32 v2, v0, v8
	v_cmp_ne_u32_e32 vcc, 0, v5
                                        ; implicit-def: $vgpr8_vgpr9
                                        ; implicit-def: $vgpr0
	s_and_saveexec_b64 s[40:41], vcc
	s_xor_b64 s[40:41], exec, s[40:41]
; %bb.1400:                             ;   in Loop: Header=BB4_354 Depth=4
	v_cmp_lt_u64_e32 vcc, s[88:89], v[2:3]
	v_add_u32_e32 v0, 7, v13
	v_cndmask_b32_e64 v4, 0, 1, vcc
	v_lshrrev_b64 v[8:9], v4, v[2:3]
	v_cndmask_b32_e32 v0, v5, v0, vcc
; %bb.1401:                             ;   in Loop: Header=BB4_354 Depth=4
	s_andn2_saveexec_b64 s[40:41], s[40:41]
; %bb.1402:                             ;   in Loop: Header=BB4_354 Depth=4
	v_mov_b32_e32 v9, v3
	v_bfe_u32 v0, v2, 23, 1
	v_mov_b32_e32 v8, v2
; %bb.1403:                             ;   in Loop: Header=BB4_354 Depth=4
	s_or_b64 exec, exec, s[40:41]
	v_lshrrev_b64 v[4:5], 20, v[8:9]
	v_cmp_gt_i32_e32 vcc, 16, v0
	v_cndmask_b32_e32 v5, 0, v5, vcc
	v_cndmask_b32_e32 v4, 7, v4, vcc
	v_cmp_eq_u32_e32 vcc, 0, v0
	v_min_i32_e32 v0, 15, v0
	v_cmp_eq_u64_e64 s[40:41], 0, v[4:5]
	v_lshlrev_b32_e32 v0, 3, v0
	v_and_b32_e32 v0, 0xf8, v0
	v_and_or_b32 v0, v4, 7, v0
	s_and_b64 s[40:41], vcc, s[40:41]
	v_cndmask_b32_e64 v0, v0, 0, s[40:41]
	v_or_b32_e32 v16, v0, v12
.LBB4_1404:                             ;   in Loop: Header=BB4_354 Depth=4
	s_or_b64 exec, exec, s[50:51]
                                        ; implicit-def: $vgpr12
.LBB4_1405:                             ;   in Loop: Header=BB4_354 Depth=4
	s_andn2_saveexec_b64 s[40:41], s[48:49]
; %bb.1406:                             ;   in Loop: Header=BB4_354 Depth=4
	v_or_b32_e32 v16, 0x7e, v12
; %bb.1407:                             ;   in Loop: Header=BB4_354 Depth=4
	s_or_b64 exec, exec, s[40:41]
                                        ; implicit-def: $vgpr4
.LBB4_1408:                             ;   in Loop: Header=BB4_354 Depth=4
	s_andn2_saveexec_b64 s[40:41], s[38:39]
; %bb.1409:                             ;   in Loop: Header=BB4_354 Depth=4
	v_or_b32_sdwa v16, v4, s81 dst_sel:DWORD dst_unused:UNUSED_PAD src0_sel:BYTE_3 src1_sel:DWORD
; %bb.1410:                             ;   in Loop: Header=BB4_354 Depth=4
	s_or_b64 exec, exec, s[40:41]
	v_cmp_ne_u16_sdwa s[40:41], v14, v3 src0_sel:BYTE_0 src1_sel:DWORD
	s_and_b64 vcc, exec, s[28:29]
	s_mov_b64 s[38:39], -1
                                        ; implicit-def: $vgpr4
	s_cbranch_vccnz .LBB4_1424
; %bb.1411:                             ;   in Loop: Header=BB4_354 Depth=4
	v_mov_b32_e32 v4, 0
	v_mov_b32_e32 v2, 0
	s_and_saveexec_b64 s[38:39], s[40:41]
	s_cbranch_execz .LBB4_1417
; %bb.1412:                             ;   in Loop: Header=BB4_354 Depth=4
	v_cmp_ne_u16_sdwa vcc, v14, s80 src0_sel:BYTE_0 src1_sel:DWORD
	v_bfrev_b32_e32 v2, 1
	s_and_saveexec_b64 s[48:49], vcc
	s_cbranch_execz .LBB4_1416
; %bb.1413:                             ;   in Loop: Header=BB4_354 Depth=4
	v_and_b32_e32 v0, 0x7f, v14
	v_cmp_ne_u32_e32 vcc, s81, v0
	v_mov_b32_e32 v2, 0x7f800001
	s_and_saveexec_b64 s[50:51], vcc
	s_cbranch_execz .LBB4_1415
; %bb.1414:                             ;   in Loop: Header=BB4_354 Depth=4
	v_and_b32_e32 v2, 7, v14
	v_lshrrev_b32_e32 v5, 3, v0
	v_cmp_gt_u32_e32 vcc, 8, v0
	v_ffbh_u32_e32 v0, v2
	v_min_u32_e32 v0, 32, v0
	v_subrev_u32_e32 v2, 28, v0
	v_cndmask_b32_e32 v2, 0, v2, vcc
	v_lshlrev_b64 v[8:9], v2, v[14:15]
	v_sub_u32_e32 v0, 29, v0
	v_cndmask_b32_e32 v0, v5, v0, vcc
	v_lshlrev_b32_e32 v2, 20, v8
	v_lshlrev_b32_e32 v5, 24, v14
	v_and_b32_e32 v2, 0x700000, v2
	v_and_b32_e32 v5, 0x80000000, v5
	v_lshl_add_u32 v0, v0, 23, v54
	v_or3_b32 v2, v5, v0, v2
.LBB4_1415:                             ;   in Loop: Header=BB4_354 Depth=4
	s_or_b64 exec, exec, s[50:51]
.LBB4_1416:                             ;   in Loop: Header=BB4_354 Depth=4
	s_or_b64 exec, exec, s[48:49]
.LBB4_1417:                             ;   in Loop: Header=BB4_354 Depth=4
	s_or_b64 exec, exec, s[38:39]
	v_cmp_ne_u16_sdwa vcc, v10, v3 src0_sel:BYTE_0 src1_sel:DWORD
	s_and_saveexec_b64 s[38:39], vcc
	s_cbranch_execz .LBB4_1423
; %bb.1418:                             ;   in Loop: Header=BB4_354 Depth=4
	v_cmp_ne_u16_sdwa vcc, v10, s80 src0_sel:BYTE_0 src1_sel:DWORD
	v_bfrev_b32_e32 v4, 1
	s_and_saveexec_b64 s[48:49], vcc
	s_cbranch_execz .LBB4_1422
; %bb.1419:                             ;   in Loop: Header=BB4_354 Depth=4
	v_and_b32_e32 v0, 0x7f, v10
	v_cmp_ne_u32_e32 vcc, s81, v0
	v_mov_b32_e32 v4, 0x7f800001
	s_and_saveexec_b64 s[50:51], vcc
	s_cbranch_execz .LBB4_1421
; %bb.1420:                             ;   in Loop: Header=BB4_354 Depth=4
	v_and_b32_e32 v4, 7, v10
	v_lshrrev_b32_e32 v5, 3, v0
	v_cmp_gt_u32_e32 vcc, 8, v0
	v_ffbh_u32_e32 v0, v4
	v_min_u32_e32 v0, 32, v0
	v_subrev_u32_e32 v4, 28, v0
	v_sub_u32_e32 v0, 29, v0
	v_cndmask_b32_e32 v4, 0, v4, vcc
	v_cndmask_b32_e32 v0, v5, v0, vcc
	v_lshlrev_b64 v[4:5], v4, v[10:11]
	v_lshlrev_b32_e32 v5, 24, v10
	v_lshlrev_b32_e32 v4, 20, v4
	v_and_b32_e32 v4, 0x700000, v4
	v_and_b32_e32 v5, 0x80000000, v5
	v_lshl_add_u32 v0, v0, 23, v54
	v_or3_b32 v4, v5, v0, v4
.LBB4_1421:                             ;   in Loop: Header=BB4_354 Depth=4
	s_or_b64 exec, exec, s[50:51]
.LBB4_1422:                             ;   in Loop: Header=BB4_354 Depth=4
	s_or_b64 exec, exec, s[48:49]
.LBB4_1423:                             ;   in Loop: Header=BB4_354 Depth=4
	s_or_b64 exec, exec, s[38:39]
	v_max_f32_e32 v0, v4, v4
	v_max_f32_e32 v2, v2, v2
	;; [unrolled: 1-line block ×3, first 2 shown]
	s_mov_b64 s[38:39], 0
.LBB4_1424:                             ;   in Loop: Header=BB4_354 Depth=4
	s_and_b64 vcc, exec, s[38:39]
	s_cbranch_vccz .LBB4_1438
; %bb.1425:                             ;   in Loop: Header=BB4_354 Depth=4
	v_mov_b32_e32 v4, 0
	v_mov_b32_e32 v2, 0
	s_and_saveexec_b64 s[38:39], s[40:41]
	s_cbranch_execz .LBB4_1431
; %bb.1426:                             ;   in Loop: Header=BB4_354 Depth=4
	v_cmp_ne_u16_sdwa vcc, v14, s80 src0_sel:BYTE_0 src1_sel:DWORD
	v_bfrev_b32_e32 v2, 1
	s_and_saveexec_b64 s[40:41], vcc
	s_cbranch_execz .LBB4_1430
; %bb.1427:                             ;   in Loop: Header=BB4_354 Depth=4
	v_and_b32_e32 v0, 0x7f, v14
	v_cmp_ne_u32_e32 vcc, s81, v0
	v_mov_b32_e32 v2, 0x7f800001
	s_and_saveexec_b64 s[48:49], vcc
	s_cbranch_execz .LBB4_1429
; %bb.1428:                             ;   in Loop: Header=BB4_354 Depth=4
	v_and_b32_e32 v2, 7, v14
	v_lshrrev_b32_e32 v5, 3, v0
	v_cmp_gt_u32_e32 vcc, 8, v0
	v_ffbh_u32_e32 v0, v2
	v_min_u32_e32 v0, 32, v0
	v_subrev_u32_e32 v2, 28, v0
	v_cndmask_b32_e32 v2, 0, v2, vcc
	v_lshlrev_b64 v[8:9], v2, v[14:15]
	v_sub_u32_e32 v0, 29, v0
	v_cndmask_b32_e32 v0, v5, v0, vcc
	v_lshlrev_b32_e32 v2, 20, v8
	v_lshlrev_b32_e32 v5, 24, v14
	v_and_b32_e32 v2, 0x700000, v2
	v_and_b32_e32 v5, 0x80000000, v5
	v_lshl_add_u32 v0, v0, 23, v54
	v_or3_b32 v2, v5, v0, v2
.LBB4_1429:                             ;   in Loop: Header=BB4_354 Depth=4
	s_or_b64 exec, exec, s[48:49]
.LBB4_1430:                             ;   in Loop: Header=BB4_354 Depth=4
	s_or_b64 exec, exec, s[40:41]
.LBB4_1431:                             ;   in Loop: Header=BB4_354 Depth=4
	s_or_b64 exec, exec, s[38:39]
	v_cmp_ne_u16_sdwa vcc, v10, v3 src0_sel:BYTE_0 src1_sel:DWORD
	s_and_saveexec_b64 s[40:41], vcc
	s_cbranch_execz .LBB4_1437
; %bb.1432:                             ;   in Loop: Header=BB4_354 Depth=4
	v_cmp_ne_u16_sdwa vcc, v10, s80 src0_sel:BYTE_0 src1_sel:DWORD
	v_bfrev_b32_e32 v4, 1
	s_and_saveexec_b64 s[38:39], vcc
	s_cbranch_execz .LBB4_1436
; %bb.1433:                             ;   in Loop: Header=BB4_354 Depth=4
	v_and_b32_e32 v0, 0x7f, v10
	v_cmp_ne_u32_e32 vcc, s81, v0
	v_mov_b32_e32 v4, 0x7f800001
	s_and_saveexec_b64 s[48:49], vcc
	s_cbranch_execz .LBB4_1435
; %bb.1434:                             ;   in Loop: Header=BB4_354 Depth=4
	v_and_b32_e32 v4, 7, v10
	v_lshrrev_b32_e32 v5, 3, v0
	v_cmp_gt_u32_e32 vcc, 8, v0
	v_ffbh_u32_e32 v0, v4
	v_min_u32_e32 v0, 32, v0
	v_subrev_u32_e32 v4, 28, v0
	v_sub_u32_e32 v0, 29, v0
	v_cndmask_b32_e32 v4, 0, v4, vcc
	v_cndmask_b32_e32 v0, v5, v0, vcc
	v_lshlrev_b64 v[4:5], v4, v[10:11]
	v_lshlrev_b32_e32 v5, 24, v10
	v_lshlrev_b32_e32 v4, 20, v4
	v_and_b32_e32 v4, 0x700000, v4
	v_and_b32_e32 v5, 0x80000000, v5
	v_lshl_add_u32 v0, v0, 23, v54
	v_or3_b32 v4, v5, v0, v4
.LBB4_1435:                             ;   in Loop: Header=BB4_354 Depth=4
	s_or_b64 exec, exec, s[48:49]
.LBB4_1436:                             ;   in Loop: Header=BB4_354 Depth=4
	s_or_b64 exec, exec, s[38:39]
.LBB4_1437:                             ;   in Loop: Header=BB4_354 Depth=4
	s_or_b64 exec, exec, s[40:41]
	v_max_f32_e32 v0, v4, v4
	v_max_f32_e32 v2, v2, v2
	v_min_f32_e32 v4, v2, v0
.LBB4_1438:                             ;   in Loop: Header=BB4_354 Depth=4
	v_and_b32_e32 v2, 0x7f800000, v4
	v_cmp_ne_u64_e32 vcc, s[76:77], v[2:3]
                                        ; implicit-def: $vgpr43
	s_and_saveexec_b64 s[40:41], vcc
	s_xor_b64 s[38:39], exec, s[40:41]
	s_cbranch_execz .LBB4_1452
; %bb.1439:                             ;   in Loop: Header=BB4_354 Depth=4
	v_and_b32_e32 v2, 0x7fffffff, v4
	v_cmp_gt_u64_e32 vcc, s[78:79], v[2:3]
	v_and_b32_sdwa v12, v4, s80 dst_sel:DWORD dst_unused:UNUSED_PAD src0_sel:BYTE_3 src1_sel:DWORD
                                        ; implicit-def: $vgpr43
	s_and_saveexec_b64 s[40:41], vcc
	s_xor_b64 s[48:49], exec, s[40:41]
	s_cbranch_execz .LBB4_1449
; %bb.1440:                             ;   in Loop: Header=BB4_354 Depth=4
	v_mov_b32_e32 v43, 0
	v_cmp_ne_u32_e32 vcc, 0, v4
	s_and_saveexec_b64 s[50:51], vcc
	s_cbranch_execz .LBB4_1448
; %bb.1441:                             ;   in Loop: Header=BB4_354 Depth=4
	v_bfe_u32 v13, v4, 23, 8
	v_cmp_gt_u32_e64 s[40:41], s83, v13
	v_sub_u32_e32 v2, 0x79, v13
	v_and_b32_e32 v0, 0x7fffff, v4
	v_cmp_eq_u32_e32 vcc, 0, v13
	v_cndmask_b32_e64 v2, 0, v2, s[40:41]
	v_mov_b32_e32 v5, 0x78
	v_or_b32_e32 v4, 0x800000, v0
	v_cndmask_b32_e32 v50, v2, v5, vcc
	v_cndmask_b32_e32 v2, v4, v0, vcc
	v_add_u32_e32 v0, 20, v50
	v_lshlrev_b64 v[4:5], v0, -1
	v_add_u32_e32 v0, 19, v50
	v_lshlrev_b64 v[8:9], v0, 1
	v_bfi_b32 v5, v5, 0, 0
	v_bfi_b32 v4, v4, 0, v2
	v_cmp_eq_u64_e64 s[40:41], v[4:5], v[8:9]
	v_lshrrev_b64 v[8:9], v50, v[2:3]
	v_mov_b32_e32 v4, v8
	v_mov_b32_e32 v5, v9
	s_and_saveexec_b64 s[52:53], s[40:41]
; %bb.1442:                             ;   in Loop: Header=BB4_354 Depth=4
	v_bfe_u32 v0, v8, 20, 1
	v_add_co_u32_e64 v0, s[40:41], v8, v0
	v_add_co_u32_e64 v4, s[40:41], -1, v0
; %bb.1443:                             ;   in Loop: Header=BB4_354 Depth=4
	s_or_b64 exec, exec, s[52:53]
	v_add_u32_e32 v0, 0xffffff81, v13
	v_mov_b32_e32 v2, 0xffffff82
	v_cndmask_b32_e32 v0, v0, v2, vcc
	v_lshrrev_b32_e32 v2, 23, v8
	v_add3_u32 v13, v50, v0, v2
	v_add_u32_e32 v5, 6, v13
	v_and_b32_e32 v0, 0xfffff, v4
	v_add_u32_e32 v2, v0, v8
	v_cmp_ne_u32_e32 vcc, 0, v5
                                        ; implicit-def: $vgpr8_vgpr9
                                        ; implicit-def: $vgpr0
	s_and_saveexec_b64 s[40:41], vcc
	s_xor_b64 s[40:41], exec, s[40:41]
; %bb.1444:                             ;   in Loop: Header=BB4_354 Depth=4
	v_cmp_lt_u64_e32 vcc, s[88:89], v[2:3]
	v_add_u32_e32 v0, 7, v13
	v_cndmask_b32_e64 v4, 0, 1, vcc
	v_lshrrev_b64 v[8:9], v4, v[2:3]
	v_cndmask_b32_e32 v0, v5, v0, vcc
; %bb.1445:                             ;   in Loop: Header=BB4_354 Depth=4
	s_andn2_saveexec_b64 s[40:41], s[40:41]
; %bb.1446:                             ;   in Loop: Header=BB4_354 Depth=4
	v_mov_b32_e32 v9, v3
	v_bfe_u32 v0, v2, 23, 1
	v_mov_b32_e32 v8, v2
; %bb.1447:                             ;   in Loop: Header=BB4_354 Depth=4
	s_or_b64 exec, exec, s[40:41]
	v_lshrrev_b64 v[4:5], 20, v[8:9]
	v_cmp_gt_i32_e32 vcc, 16, v0
	v_cndmask_b32_e32 v5, 0, v5, vcc
	v_cndmask_b32_e32 v4, 7, v4, vcc
	v_cmp_eq_u32_e32 vcc, 0, v0
	v_min_i32_e32 v0, 15, v0
	v_cmp_eq_u64_e64 s[40:41], 0, v[4:5]
	v_lshlrev_b32_e32 v0, 3, v0
	v_and_b32_e32 v0, 0xf8, v0
	v_and_or_b32 v0, v4, 7, v0
	s_and_b64 s[40:41], vcc, s[40:41]
	v_cndmask_b32_e64 v0, v0, 0, s[40:41]
	v_or_b32_e32 v43, v0, v12
.LBB4_1448:                             ;   in Loop: Header=BB4_354 Depth=4
	s_or_b64 exec, exec, s[50:51]
                                        ; implicit-def: $vgpr12
.LBB4_1449:                             ;   in Loop: Header=BB4_354 Depth=4
	s_andn2_saveexec_b64 s[40:41], s[48:49]
; %bb.1450:                             ;   in Loop: Header=BB4_354 Depth=4
	v_or_b32_e32 v43, 0x7e, v12
; %bb.1451:                             ;   in Loop: Header=BB4_354 Depth=4
	s_or_b64 exec, exec, s[40:41]
                                        ; implicit-def: $vgpr4
.LBB4_1452:                             ;   in Loop: Header=BB4_354 Depth=4
	s_andn2_saveexec_b64 s[40:41], s[38:39]
; %bb.1453:                             ;   in Loop: Header=BB4_354 Depth=4
	v_or_b32_sdwa v43, v4, s81 dst_sel:DWORD dst_unused:UNUSED_PAD src0_sel:BYTE_3 src1_sel:DWORD
; %bb.1454:                             ;   in Loop: Header=BB4_354 Depth=4
	s_or_b64 exec, exec, s[40:41]
	v_lshrrev_b16_e32 v8, 8, v14
	v_lshrrev_b16_e32 v2, 8, v10
	v_cmp_ne_u16_e64 s[40:41], 0, v8
	s_and_b64 vcc, exec, s[28:29]
	s_mov_b64 s[38:39], -1
                                        ; implicit-def: $vgpr4
	s_cbranch_vccnz .LBB4_1468
; %bb.1455:                             ;   in Loop: Header=BB4_354 Depth=4
	v_mov_b32_e32 v5, 0
	v_mov_b32_e32 v4, 0
	s_and_saveexec_b64 s[38:39], s[40:41]
	s_cbranch_execz .LBB4_1461
; %bb.1456:                             ;   in Loop: Header=BB4_354 Depth=4
	v_cmp_ne_u16_e32 vcc, s80, v8
	v_bfrev_b32_e32 v4, 1
	s_and_saveexec_b64 s[48:49], vcc
	s_cbranch_execz .LBB4_1460
; %bb.1457:                             ;   in Loop: Header=BB4_354 Depth=4
	v_and_b32_e32 v0, 0x7f, v8
	v_cmp_ne_u32_e32 vcc, s81, v0
	v_mov_b32_e32 v4, 0x7f800001
	s_and_saveexec_b64 s[50:51], vcc
	s_cbranch_execz .LBB4_1459
; %bb.1458:                             ;   in Loop: Header=BB4_354 Depth=4
	v_and_b32_e32 v4, 7, v8
	v_lshrrev_b32_e32 v9, 3, v0
	v_cmp_gt_u32_e32 vcc, 8, v0
	v_ffbh_u32_e32 v0, v4
	v_min_u32_e32 v0, 32, v0
	v_subrev_u32_e32 v12, 28, v0
	v_lshlrev_b64 v[12:13], v12, v[8:9]
	v_sub_u32_e32 v0, 29, v0
	v_and_b32_e32 v12, 7, v12
	v_cndmask_b32_e32 v0, v9, v0, vcc
	v_cndmask_b32_e32 v4, v4, v12, vcc
	v_lshlrev_b32_e32 v9, 16, v14
	v_lshlrev_b32_e32 v4, 20, v4
	v_and_b32_e32 v9, 0x80000000, v9
	v_lshl_add_u32 v0, v0, 23, v54
	v_or3_b32 v4, v9, v0, v4
.LBB4_1459:                             ;   in Loop: Header=BB4_354 Depth=4
	s_or_b64 exec, exec, s[50:51]
.LBB4_1460:                             ;   in Loop: Header=BB4_354 Depth=4
	s_or_b64 exec, exec, s[48:49]
.LBB4_1461:                             ;   in Loop: Header=BB4_354 Depth=4
	s_or_b64 exec, exec, s[38:39]
	v_cmp_ne_u16_e32 vcc, 0, v2
	s_and_saveexec_b64 s[38:39], vcc
	s_cbranch_execz .LBB4_1467
; %bb.1462:                             ;   in Loop: Header=BB4_354 Depth=4
	v_cmp_ne_u16_e32 vcc, s80, v2
	v_bfrev_b32_e32 v5, 1
	s_and_saveexec_b64 s[48:49], vcc
	s_cbranch_execz .LBB4_1466
; %bb.1463:                             ;   in Loop: Header=BB4_354 Depth=4
	v_and_b32_e32 v0, 0x7f, v2
	v_cmp_ne_u32_e32 vcc, s81, v0
	v_mov_b32_e32 v5, 0x7f800001
	s_and_saveexec_b64 s[50:51], vcc
	s_cbranch_execz .LBB4_1465
; %bb.1464:                             ;   in Loop: Header=BB4_354 Depth=4
	v_and_b32_e32 v5, 7, v2
	v_lshrrev_b32_e32 v9, 3, v0
	v_cmp_gt_u32_e32 vcc, 8, v0
	v_ffbh_u32_e32 v0, v5
	v_min_u32_e32 v0, 32, v0
	v_subrev_u32_e32 v12, 28, v0
	v_lshlrev_b64 v[12:13], v12, v[2:3]
	v_sub_u32_e32 v0, 29, v0
	v_and_b32_e32 v12, 7, v12
	v_cndmask_b32_e32 v0, v9, v0, vcc
	v_cndmask_b32_e32 v5, v5, v12, vcc
	v_lshlrev_b32_e32 v9, 16, v10
	v_lshlrev_b32_e32 v5, 20, v5
	v_and_b32_e32 v9, 0x80000000, v9
	v_lshl_add_u32 v0, v0, 23, v54
	v_or3_b32 v5, v9, v0, v5
.LBB4_1465:                             ;   in Loop: Header=BB4_354 Depth=4
	s_or_b64 exec, exec, s[50:51]
.LBB4_1466:                             ;   in Loop: Header=BB4_354 Depth=4
	s_or_b64 exec, exec, s[48:49]
.LBB4_1467:                             ;   in Loop: Header=BB4_354 Depth=4
	s_or_b64 exec, exec, s[38:39]
	v_max_f32_e32 v0, v5, v5
	v_max_f32_e32 v4, v4, v4
	;; [unrolled: 1-line block ×3, first 2 shown]
	s_mov_b64 s[38:39], 0
.LBB4_1468:                             ;   in Loop: Header=BB4_354 Depth=4
	s_and_b64 vcc, exec, s[38:39]
	s_cbranch_vccz .LBB4_1482
; %bb.1469:                             ;   in Loop: Header=BB4_354 Depth=4
	v_mov_b32_e32 v5, 0
	v_mov_b32_e32 v4, 0
	s_and_saveexec_b64 s[38:39], s[40:41]
	s_cbranch_execz .LBB4_1475
; %bb.1470:                             ;   in Loop: Header=BB4_354 Depth=4
	v_cmp_ne_u16_e32 vcc, s80, v8
	v_bfrev_b32_e32 v4, 1
	s_and_saveexec_b64 s[40:41], vcc
	s_cbranch_execz .LBB4_1474
; %bb.1471:                             ;   in Loop: Header=BB4_354 Depth=4
	v_and_b32_e32 v0, 0x7f, v8
	v_cmp_ne_u32_e32 vcc, s81, v0
	v_mov_b32_e32 v4, 0x7f800001
	s_and_saveexec_b64 s[48:49], vcc
	s_cbranch_execz .LBB4_1473
; %bb.1472:                             ;   in Loop: Header=BB4_354 Depth=4
	v_and_b32_e32 v4, 7, v8
	v_lshrrev_b32_e32 v12, 3, v0
	v_cmp_gt_u32_e32 vcc, 8, v0
	v_ffbh_u32_e32 v0, v4
	v_min_u32_e32 v0, 32, v0
	v_subrev_u32_e32 v9, 28, v0
	v_lshlrev_b64 v[8:9], v9, v[8:9]
	v_sub_u32_e32 v0, 29, v0
	v_and_b32_e32 v8, 7, v8
	v_cndmask_b32_e32 v0, v12, v0, vcc
	v_cndmask_b32_e32 v4, v4, v8, vcc
	v_lshlrev_b32_e32 v8, 16, v14
	v_lshlrev_b32_e32 v4, 20, v4
	v_and_b32_e32 v8, 0x80000000, v8
	v_lshl_add_u32 v0, v0, 23, v54
	v_or3_b32 v4, v8, v0, v4
.LBB4_1473:                             ;   in Loop: Header=BB4_354 Depth=4
	s_or_b64 exec, exec, s[48:49]
.LBB4_1474:                             ;   in Loop: Header=BB4_354 Depth=4
	s_or_b64 exec, exec, s[40:41]
.LBB4_1475:                             ;   in Loop: Header=BB4_354 Depth=4
	s_or_b64 exec, exec, s[38:39]
	v_cmp_ne_u16_e32 vcc, 0, v2
	s_and_saveexec_b64 s[40:41], vcc
	s_cbranch_execz .LBB4_1481
; %bb.1476:                             ;   in Loop: Header=BB4_354 Depth=4
	v_cmp_ne_u16_e32 vcc, s80, v2
	v_bfrev_b32_e32 v5, 1
	s_and_saveexec_b64 s[38:39], vcc
	s_cbranch_execz .LBB4_1480
; %bb.1477:                             ;   in Loop: Header=BB4_354 Depth=4
	v_and_b32_e32 v0, 0x7f, v2
	v_cmp_ne_u32_e32 vcc, s81, v0
	v_mov_b32_e32 v5, 0x7f800001
	s_and_saveexec_b64 s[48:49], vcc
	s_cbranch_execz .LBB4_1479
; %bb.1478:                             ;   in Loop: Header=BB4_354 Depth=4
	v_and_b32_e32 v5, 7, v2
	v_lshrrev_b32_e32 v12, 3, v0
	v_cmp_gt_u32_e32 vcc, 8, v0
	v_ffbh_u32_e32 v0, v5
	v_min_u32_e32 v0, 32, v0
	v_subrev_u32_e32 v8, 28, v0
	v_lshlrev_b64 v[8:9], v8, v[2:3]
	v_sub_u32_e32 v0, 29, v0
	v_and_b32_e32 v2, 7, v8
	v_cndmask_b32_e32 v0, v12, v0, vcc
	v_cndmask_b32_e32 v2, v5, v2, vcc
	v_lshlrev_b32_e32 v5, 16, v10
	v_lshlrev_b32_e32 v2, 20, v2
	v_and_b32_e32 v5, 0x80000000, v5
	v_lshl_add_u32 v0, v0, 23, v54
	v_or3_b32 v5, v5, v0, v2
.LBB4_1479:                             ;   in Loop: Header=BB4_354 Depth=4
	s_or_b64 exec, exec, s[48:49]
.LBB4_1480:                             ;   in Loop: Header=BB4_354 Depth=4
	s_or_b64 exec, exec, s[38:39]
.LBB4_1481:                             ;   in Loop: Header=BB4_354 Depth=4
	s_or_b64 exec, exec, s[40:41]
	v_max_f32_e32 v0, v5, v5
	v_max_f32_e32 v2, v4, v4
	v_min_f32_e32 v4, v2, v0
.LBB4_1482:                             ;   in Loop: Header=BB4_354 Depth=4
	v_and_b32_e32 v2, 0x7f800000, v4
	v_cmp_ne_u64_e32 vcc, s[76:77], v[2:3]
                                        ; implicit-def: $vgpr55
	s_and_saveexec_b64 s[40:41], vcc
	s_xor_b64 s[38:39], exec, s[40:41]
	s_cbranch_execz .LBB4_1496
; %bb.1483:                             ;   in Loop: Header=BB4_354 Depth=4
	v_and_b32_e32 v2, 0x7fffffff, v4
	v_cmp_gt_u64_e32 vcc, s[78:79], v[2:3]
	v_and_b32_sdwa v12, v4, s80 dst_sel:DWORD dst_unused:UNUSED_PAD src0_sel:BYTE_3 src1_sel:DWORD
                                        ; implicit-def: $vgpr55
	s_and_saveexec_b64 s[40:41], vcc
	s_xor_b64 s[48:49], exec, s[40:41]
	s_cbranch_execz .LBB4_1493
; %bb.1484:                             ;   in Loop: Header=BB4_354 Depth=4
	v_mov_b32_e32 v55, 0
	v_cmp_ne_u32_e32 vcc, 0, v4
	s_and_saveexec_b64 s[50:51], vcc
	s_cbranch_execz .LBB4_1492
; %bb.1485:                             ;   in Loop: Header=BB4_354 Depth=4
	v_bfe_u32 v13, v4, 23, 8
	v_cmp_gt_u32_e64 s[40:41], s83, v13
	v_sub_u32_e32 v2, 0x79, v13
	v_and_b32_e32 v0, 0x7fffff, v4
	v_cmp_eq_u32_e32 vcc, 0, v13
	v_cndmask_b32_e64 v2, 0, v2, s[40:41]
	v_mov_b32_e32 v5, 0x78
	v_or_b32_e32 v4, 0x800000, v0
	v_cndmask_b32_e32 v50, v2, v5, vcc
	v_cndmask_b32_e32 v2, v4, v0, vcc
	v_add_u32_e32 v0, 20, v50
	v_lshlrev_b64 v[4:5], v0, -1
	v_add_u32_e32 v0, 19, v50
	v_lshlrev_b64 v[8:9], v0, 1
	v_bfi_b32 v5, v5, 0, 0
	v_bfi_b32 v4, v4, 0, v2
	v_cmp_eq_u64_e64 s[40:41], v[4:5], v[8:9]
	v_lshrrev_b64 v[8:9], v50, v[2:3]
	v_mov_b32_e32 v4, v8
	v_mov_b32_e32 v5, v9
	s_and_saveexec_b64 s[52:53], s[40:41]
; %bb.1486:                             ;   in Loop: Header=BB4_354 Depth=4
	v_bfe_u32 v0, v8, 20, 1
	v_add_co_u32_e64 v0, s[40:41], v8, v0
	v_add_co_u32_e64 v4, s[40:41], -1, v0
; %bb.1487:                             ;   in Loop: Header=BB4_354 Depth=4
	s_or_b64 exec, exec, s[52:53]
	v_add_u32_e32 v0, 0xffffff81, v13
	v_mov_b32_e32 v2, 0xffffff82
	v_cndmask_b32_e32 v0, v0, v2, vcc
	v_lshrrev_b32_e32 v2, 23, v8
	v_add3_u32 v13, v50, v0, v2
	v_add_u32_e32 v5, 6, v13
	v_and_b32_e32 v0, 0xfffff, v4
	v_add_u32_e32 v2, v0, v8
	v_cmp_ne_u32_e32 vcc, 0, v5
                                        ; implicit-def: $vgpr8_vgpr9
                                        ; implicit-def: $vgpr0
	s_and_saveexec_b64 s[40:41], vcc
	s_xor_b64 s[40:41], exec, s[40:41]
; %bb.1488:                             ;   in Loop: Header=BB4_354 Depth=4
	v_cmp_lt_u64_e32 vcc, s[88:89], v[2:3]
	v_add_u32_e32 v0, 7, v13
	v_cndmask_b32_e64 v4, 0, 1, vcc
	v_lshrrev_b64 v[8:9], v4, v[2:3]
	v_cndmask_b32_e32 v0, v5, v0, vcc
; %bb.1489:                             ;   in Loop: Header=BB4_354 Depth=4
	s_andn2_saveexec_b64 s[40:41], s[40:41]
; %bb.1490:                             ;   in Loop: Header=BB4_354 Depth=4
	v_mov_b32_e32 v9, v3
	v_bfe_u32 v0, v2, 23, 1
	v_mov_b32_e32 v8, v2
; %bb.1491:                             ;   in Loop: Header=BB4_354 Depth=4
	s_or_b64 exec, exec, s[40:41]
	v_lshrrev_b64 v[4:5], 20, v[8:9]
	v_cmp_gt_i32_e32 vcc, 16, v0
	v_cndmask_b32_e32 v5, 0, v5, vcc
	v_cndmask_b32_e32 v4, 7, v4, vcc
	v_cmp_eq_u32_e32 vcc, 0, v0
	v_min_i32_e32 v0, 15, v0
	v_cmp_eq_u64_e64 s[40:41], 0, v[4:5]
	v_lshlrev_b32_e32 v0, 3, v0
	v_and_b32_e32 v0, 0xf8, v0
	v_and_or_b32 v0, v4, 7, v0
	s_and_b64 s[40:41], vcc, s[40:41]
	v_cndmask_b32_e64 v0, v0, 0, s[40:41]
	v_or_b32_e32 v55, v0, v12
.LBB4_1492:                             ;   in Loop: Header=BB4_354 Depth=4
	s_or_b64 exec, exec, s[50:51]
                                        ; implicit-def: $vgpr12
.LBB4_1493:                             ;   in Loop: Header=BB4_354 Depth=4
	s_andn2_saveexec_b64 s[40:41], s[48:49]
; %bb.1494:                             ;   in Loop: Header=BB4_354 Depth=4
	v_or_b32_e32 v55, 0x7e, v12
; %bb.1495:                             ;   in Loop: Header=BB4_354 Depth=4
	s_or_b64 exec, exec, s[40:41]
                                        ; implicit-def: $vgpr4
.LBB4_1496:                             ;   in Loop: Header=BB4_354 Depth=4
	s_andn2_saveexec_b64 s[40:41], s[38:39]
; %bb.1497:                             ;   in Loop: Header=BB4_354 Depth=4
	v_or_b32_sdwa v55, v4, s81 dst_sel:DWORD dst_unused:UNUSED_PAD src0_sel:BYTE_3 src1_sel:DWORD
; %bb.1498:                             ;   in Loop: Header=BB4_354 Depth=4
	s_or_b64 exec, exec, s[40:41]
	v_lshrrev_b32_e32 v8, 16, v14
	v_lshrrev_b32_e32 v2, 16, v10
	v_cmp_ne_u16_sdwa s[40:41], v8, v3 src0_sel:BYTE_0 src1_sel:DWORD
	s_and_b64 vcc, exec, s[28:29]
	s_mov_b64 s[38:39], -1
                                        ; implicit-def: $vgpr4
	s_cbranch_vccnz .LBB4_1512
; %bb.1499:                             ;   in Loop: Header=BB4_354 Depth=4
	v_mov_b32_e32 v5, 0
	v_mov_b32_e32 v4, 0
	s_and_saveexec_b64 s[38:39], s[40:41]
	s_cbranch_execz .LBB4_1505
; %bb.1500:                             ;   in Loop: Header=BB4_354 Depth=4
	v_cmp_ne_u16_sdwa vcc, v8, s80 src0_sel:BYTE_0 src1_sel:DWORD
	v_bfrev_b32_e32 v4, 1
	s_and_saveexec_b64 s[48:49], vcc
	s_cbranch_execz .LBB4_1504
; %bb.1501:                             ;   in Loop: Header=BB4_354 Depth=4
	v_bfe_u32 v0, v14, 16, 7
	v_cmp_ne_u32_e32 vcc, s81, v0
	v_mov_b32_e32 v4, 0x7f800001
	s_and_saveexec_b64 s[50:51], vcc
	s_cbranch_execz .LBB4_1503
; %bb.1502:                             ;   in Loop: Header=BB4_354 Depth=4
	v_and_b32_e32 v4, 7, v8
	v_lshrrev_b32_e32 v9, 3, v0
	v_cmp_gt_u32_e32 vcc, 8, v0
	v_ffbh_u32_e32 v0, v4
	v_min_u32_e32 v0, 32, v0
	v_subrev_u32_e32 v12, 28, v0
	v_lshlrev_b64 v[12:13], v12, v[8:9]
	v_sub_u32_e32 v0, 29, v0
	v_and_b32_e32 v12, 7, v12
	v_cndmask_b32_e32 v0, v9, v0, vcc
	v_cndmask_b32_e32 v4, v4, v12, vcc
	v_lshlrev_b32_e32 v9, 24, v8
	v_lshlrev_b32_e32 v4, 20, v4
	v_and_b32_e32 v9, 0x80000000, v9
	v_lshl_add_u32 v0, v0, 23, v54
	v_or3_b32 v4, v9, v0, v4
.LBB4_1503:                             ;   in Loop: Header=BB4_354 Depth=4
	s_or_b64 exec, exec, s[50:51]
.LBB4_1504:                             ;   in Loop: Header=BB4_354 Depth=4
	s_or_b64 exec, exec, s[48:49]
.LBB4_1505:                             ;   in Loop: Header=BB4_354 Depth=4
	s_or_b64 exec, exec, s[38:39]
	v_cmp_ne_u16_sdwa vcc, v2, v3 src0_sel:BYTE_0 src1_sel:DWORD
	s_and_saveexec_b64 s[38:39], vcc
	s_cbranch_execz .LBB4_1511
; %bb.1506:                             ;   in Loop: Header=BB4_354 Depth=4
	v_cmp_ne_u16_sdwa vcc, v2, s80 src0_sel:BYTE_0 src1_sel:DWORD
	v_bfrev_b32_e32 v5, 1
	s_and_saveexec_b64 s[48:49], vcc
	s_cbranch_execz .LBB4_1510
; %bb.1507:                             ;   in Loop: Header=BB4_354 Depth=4
	v_bfe_u32 v0, v10, 16, 7
	v_cmp_ne_u32_e32 vcc, s81, v0
	v_mov_b32_e32 v5, 0x7f800001
	s_and_saveexec_b64 s[50:51], vcc
	s_cbranch_execz .LBB4_1509
; %bb.1508:                             ;   in Loop: Header=BB4_354 Depth=4
	v_and_b32_e32 v5, 7, v2
	v_lshrrev_b32_e32 v9, 3, v0
	v_cmp_gt_u32_e32 vcc, 8, v0
	v_ffbh_u32_e32 v0, v5
	v_min_u32_e32 v0, 32, v0
	v_subrev_u32_e32 v12, 28, v0
	v_lshlrev_b64 v[12:13], v12, v[2:3]
	v_sub_u32_e32 v0, 29, v0
	v_and_b32_e32 v12, 7, v12
	v_cndmask_b32_e32 v0, v9, v0, vcc
	v_cndmask_b32_e32 v5, v5, v12, vcc
	v_lshlrev_b32_e32 v9, 24, v2
	v_lshlrev_b32_e32 v5, 20, v5
	v_and_b32_e32 v9, 0x80000000, v9
	v_lshl_add_u32 v0, v0, 23, v54
	v_or3_b32 v5, v9, v0, v5
.LBB4_1509:                             ;   in Loop: Header=BB4_354 Depth=4
	s_or_b64 exec, exec, s[50:51]
.LBB4_1510:                             ;   in Loop: Header=BB4_354 Depth=4
	s_or_b64 exec, exec, s[48:49]
.LBB4_1511:                             ;   in Loop: Header=BB4_354 Depth=4
	s_or_b64 exec, exec, s[38:39]
	v_max_f32_e32 v0, v5, v5
	v_max_f32_e32 v4, v4, v4
	;; [unrolled: 1-line block ×3, first 2 shown]
	s_mov_b64 s[38:39], 0
.LBB4_1512:                             ;   in Loop: Header=BB4_354 Depth=4
	s_and_b64 vcc, exec, s[38:39]
	s_cbranch_vccz .LBB4_1526
; %bb.1513:                             ;   in Loop: Header=BB4_354 Depth=4
	v_mov_b32_e32 v5, 0
	v_mov_b32_e32 v4, 0
	s_and_saveexec_b64 s[38:39], s[40:41]
	s_cbranch_execz .LBB4_1519
; %bb.1514:                             ;   in Loop: Header=BB4_354 Depth=4
	v_cmp_ne_u16_sdwa vcc, v8, s80 src0_sel:BYTE_0 src1_sel:DWORD
	v_bfrev_b32_e32 v4, 1
	s_and_saveexec_b64 s[40:41], vcc
	s_cbranch_execz .LBB4_1518
; %bb.1515:                             ;   in Loop: Header=BB4_354 Depth=4
	v_bfe_u32 v0, v14, 16, 7
	v_cmp_ne_u32_e32 vcc, s81, v0
	v_mov_b32_e32 v4, 0x7f800001
	s_and_saveexec_b64 s[48:49], vcc
	s_cbranch_execz .LBB4_1517
; %bb.1516:                             ;   in Loop: Header=BB4_354 Depth=4
	v_and_b32_e32 v4, 7, v8
	v_lshrrev_b32_e32 v9, 3, v0
	v_cmp_gt_u32_e32 vcc, 8, v0
	v_ffbh_u32_e32 v0, v4
	v_min_u32_e32 v0, 32, v0
	v_subrev_u32_e32 v12, 28, v0
	v_lshlrev_b64 v[12:13], v12, v[8:9]
	v_sub_u32_e32 v0, 29, v0
	v_and_b32_e32 v12, 7, v12
	v_cndmask_b32_e32 v0, v9, v0, vcc
	v_cndmask_b32_e32 v4, v4, v12, vcc
	v_lshlrev_b32_e32 v8, 24, v8
	v_lshlrev_b32_e32 v4, 20, v4
	v_and_b32_e32 v8, 0x80000000, v8
	v_lshl_add_u32 v0, v0, 23, v54
	v_or3_b32 v4, v8, v0, v4
.LBB4_1517:                             ;   in Loop: Header=BB4_354 Depth=4
	s_or_b64 exec, exec, s[48:49]
.LBB4_1518:                             ;   in Loop: Header=BB4_354 Depth=4
	s_or_b64 exec, exec, s[40:41]
.LBB4_1519:                             ;   in Loop: Header=BB4_354 Depth=4
	s_or_b64 exec, exec, s[38:39]
	v_cmp_ne_u16_sdwa vcc, v2, v3 src0_sel:BYTE_0 src1_sel:DWORD
	s_and_saveexec_b64 s[40:41], vcc
	s_cbranch_execz .LBB4_1525
; %bb.1520:                             ;   in Loop: Header=BB4_354 Depth=4
	v_cmp_ne_u16_sdwa vcc, v2, s80 src0_sel:BYTE_0 src1_sel:DWORD
	v_bfrev_b32_e32 v5, 1
	s_and_saveexec_b64 s[38:39], vcc
	s_cbranch_execz .LBB4_1524
; %bb.1521:                             ;   in Loop: Header=BB4_354 Depth=4
	v_bfe_u32 v0, v10, 16, 7
	v_cmp_ne_u32_e32 vcc, s81, v0
	v_mov_b32_e32 v5, 0x7f800001
	s_and_saveexec_b64 s[48:49], vcc
	s_cbranch_execz .LBB4_1523
; %bb.1522:                             ;   in Loop: Header=BB4_354 Depth=4
	v_and_b32_e32 v5, 7, v2
	v_lshrrev_b32_e32 v12, 3, v0
	v_cmp_gt_u32_e32 vcc, 8, v0
	v_ffbh_u32_e32 v0, v5
	v_min_u32_e32 v0, 32, v0
	v_subrev_u32_e32 v8, 28, v0
	v_lshlrev_b64 v[8:9], v8, v[2:3]
	v_sub_u32_e32 v0, 29, v0
	v_and_b32_e32 v8, 7, v8
	v_cndmask_b32_e32 v0, v12, v0, vcc
	v_cndmask_b32_e32 v5, v5, v8, vcc
	v_lshlrev_b32_e32 v2, 24, v2
	v_lshlrev_b32_e32 v5, 20, v5
	v_and_b32_e32 v2, 0x80000000, v2
	v_lshl_add_u32 v0, v0, 23, v54
	v_or3_b32 v5, v2, v0, v5
.LBB4_1523:                             ;   in Loop: Header=BB4_354 Depth=4
	s_or_b64 exec, exec, s[48:49]
.LBB4_1524:                             ;   in Loop: Header=BB4_354 Depth=4
	s_or_b64 exec, exec, s[38:39]
.LBB4_1525:                             ;   in Loop: Header=BB4_354 Depth=4
	s_or_b64 exec, exec, s[40:41]
	v_max_f32_e32 v0, v5, v5
	v_max_f32_e32 v2, v4, v4
	v_min_f32_e32 v4, v2, v0
.LBB4_1526:                             ;   in Loop: Header=BB4_354 Depth=4
	v_and_b32_e32 v2, 0x7f800000, v4
	v_cmp_ne_u64_e32 vcc, s[76:77], v[2:3]
                                        ; implicit-def: $vgpr42
	s_and_saveexec_b64 s[40:41], vcc
	s_xor_b64 s[38:39], exec, s[40:41]
	s_cbranch_execz .LBB4_1540
; %bb.1527:                             ;   in Loop: Header=BB4_354 Depth=4
	v_and_b32_e32 v2, 0x7fffffff, v4
	v_cmp_gt_u64_e32 vcc, s[78:79], v[2:3]
	v_and_b32_sdwa v12, v4, s80 dst_sel:DWORD dst_unused:UNUSED_PAD src0_sel:BYTE_3 src1_sel:DWORD
                                        ; implicit-def: $vgpr42
	s_and_saveexec_b64 s[40:41], vcc
	s_xor_b64 s[48:49], exec, s[40:41]
	s_cbranch_execz .LBB4_1537
; %bb.1528:                             ;   in Loop: Header=BB4_354 Depth=4
	v_mov_b32_e32 v42, 0
	v_cmp_ne_u32_e32 vcc, 0, v4
	s_and_saveexec_b64 s[50:51], vcc
	s_cbranch_execz .LBB4_1536
; %bb.1529:                             ;   in Loop: Header=BB4_354 Depth=4
	v_bfe_u32 v13, v4, 23, 8
	v_cmp_gt_u32_e64 s[40:41], s83, v13
	v_sub_u32_e32 v2, 0x79, v13
	v_and_b32_e32 v0, 0x7fffff, v4
	v_cmp_eq_u32_e32 vcc, 0, v13
	v_cndmask_b32_e64 v2, 0, v2, s[40:41]
	v_mov_b32_e32 v5, 0x78
	v_or_b32_e32 v4, 0x800000, v0
	v_cndmask_b32_e32 v50, v2, v5, vcc
	v_cndmask_b32_e32 v2, v4, v0, vcc
	v_add_u32_e32 v0, 20, v50
	v_lshlrev_b64 v[4:5], v0, -1
	v_add_u32_e32 v0, 19, v50
	v_lshlrev_b64 v[8:9], v0, 1
	v_bfi_b32 v5, v5, 0, 0
	v_bfi_b32 v4, v4, 0, v2
	v_cmp_eq_u64_e64 s[40:41], v[4:5], v[8:9]
	v_lshrrev_b64 v[8:9], v50, v[2:3]
	v_mov_b32_e32 v4, v8
	v_mov_b32_e32 v5, v9
	s_and_saveexec_b64 s[52:53], s[40:41]
; %bb.1530:                             ;   in Loop: Header=BB4_354 Depth=4
	v_bfe_u32 v0, v8, 20, 1
	v_add_co_u32_e64 v0, s[40:41], v8, v0
	v_add_co_u32_e64 v4, s[40:41], -1, v0
; %bb.1531:                             ;   in Loop: Header=BB4_354 Depth=4
	s_or_b64 exec, exec, s[52:53]
	v_add_u32_e32 v0, 0xffffff81, v13
	v_mov_b32_e32 v2, 0xffffff82
	v_cndmask_b32_e32 v0, v0, v2, vcc
	v_lshrrev_b32_e32 v2, 23, v8
	v_add3_u32 v13, v50, v0, v2
	v_add_u32_e32 v5, 6, v13
	v_and_b32_e32 v0, 0xfffff, v4
	v_add_u32_e32 v2, v0, v8
	v_cmp_ne_u32_e32 vcc, 0, v5
                                        ; implicit-def: $vgpr8_vgpr9
                                        ; implicit-def: $vgpr0
	s_and_saveexec_b64 s[40:41], vcc
	s_xor_b64 s[40:41], exec, s[40:41]
; %bb.1532:                             ;   in Loop: Header=BB4_354 Depth=4
	v_cmp_lt_u64_e32 vcc, s[88:89], v[2:3]
	v_add_u32_e32 v0, 7, v13
	v_cndmask_b32_e64 v4, 0, 1, vcc
	v_lshrrev_b64 v[8:9], v4, v[2:3]
	v_cndmask_b32_e32 v0, v5, v0, vcc
; %bb.1533:                             ;   in Loop: Header=BB4_354 Depth=4
	s_andn2_saveexec_b64 s[40:41], s[40:41]
; %bb.1534:                             ;   in Loop: Header=BB4_354 Depth=4
	v_mov_b32_e32 v9, v3
	v_bfe_u32 v0, v2, 23, 1
	v_mov_b32_e32 v8, v2
; %bb.1535:                             ;   in Loop: Header=BB4_354 Depth=4
	s_or_b64 exec, exec, s[40:41]
	v_lshrrev_b64 v[4:5], 20, v[8:9]
	v_cmp_gt_i32_e32 vcc, 16, v0
	v_cndmask_b32_e32 v5, 0, v5, vcc
	v_cndmask_b32_e32 v4, 7, v4, vcc
	v_cmp_eq_u32_e32 vcc, 0, v0
	v_min_i32_e32 v0, 15, v0
	v_cmp_eq_u64_e64 s[40:41], 0, v[4:5]
	v_lshlrev_b32_e32 v0, 3, v0
	v_and_b32_e32 v0, 0xf8, v0
	v_and_or_b32 v0, v4, 7, v0
	s_and_b64 s[40:41], vcc, s[40:41]
	v_cndmask_b32_e64 v0, v0, 0, s[40:41]
	v_or_b32_e32 v42, v0, v12
.LBB4_1536:                             ;   in Loop: Header=BB4_354 Depth=4
	s_or_b64 exec, exec, s[50:51]
                                        ; implicit-def: $vgpr12
.LBB4_1537:                             ;   in Loop: Header=BB4_354 Depth=4
	s_andn2_saveexec_b64 s[40:41], s[48:49]
; %bb.1538:                             ;   in Loop: Header=BB4_354 Depth=4
	v_or_b32_e32 v42, 0x7e, v12
; %bb.1539:                             ;   in Loop: Header=BB4_354 Depth=4
	s_or_b64 exec, exec, s[40:41]
                                        ; implicit-def: $vgpr4
.LBB4_1540:                             ;   in Loop: Header=BB4_354 Depth=4
	s_andn2_saveexec_b64 s[40:41], s[38:39]
; %bb.1541:                             ;   in Loop: Header=BB4_354 Depth=4
	v_or_b32_sdwa v42, v4, s81 dst_sel:DWORD dst_unused:UNUSED_PAD src0_sel:BYTE_3 src1_sel:DWORD
; %bb.1542:                             ;   in Loop: Header=BB4_354 Depth=4
	s_or_b64 exec, exec, s[40:41]
	v_lshrrev_b32_e32 v8, 24, v14
	v_lshrrev_b32_e32 v2, 24, v10
	v_cmp_lt_u32_e64 s[40:41], s63, v14
	s_and_b64 vcc, exec, s[28:29]
	s_mov_b64 s[38:39], -1
                                        ; implicit-def: $vgpr4
	s_cbranch_vccnz .LBB4_1556
; %bb.1543:                             ;   in Loop: Header=BB4_354 Depth=4
	v_mov_b32_e32 v5, 0
	v_mov_b32_e32 v4, 0
	s_and_saveexec_b64 s[38:39], s[40:41]
	s_cbranch_execz .LBB4_1549
; %bb.1544:                             ;   in Loop: Header=BB4_354 Depth=4
	v_cmp_ne_u32_e32 vcc, s80, v8
	v_bfrev_b32_e32 v4, 1
	s_and_saveexec_b64 s[48:49], vcc
	s_cbranch_execz .LBB4_1548
; %bb.1545:                             ;   in Loop: Header=BB4_354 Depth=4
	v_bfe_u32 v0, v14, 24, 7
	v_cmp_ne_u32_e32 vcc, s81, v0
	v_mov_b32_e32 v4, 0x7f800001
	s_and_saveexec_b64 s[50:51], vcc
	s_cbranch_execz .LBB4_1547
; %bb.1546:                             ;   in Loop: Header=BB4_354 Depth=4
	v_and_b32_e32 v4, 7, v8
	v_lshrrev_b32_e32 v9, 3, v0
	v_cmp_gt_u32_e32 vcc, 8, v0
	v_ffbh_u32_e32 v0, v4
	v_min_u32_e32 v0, 32, v0
	v_subrev_u32_e32 v12, 28, v0
	v_lshlrev_b64 v[12:13], v12, v[8:9]
	v_sub_u32_e32 v0, 29, v0
	v_and_b32_e32 v12, 7, v12
	v_cndmask_b32_e32 v0, v9, v0, vcc
	v_cndmask_b32_e32 v4, v4, v12, vcc
	v_lshlrev_b32_e32 v9, 24, v8
	v_lshlrev_b32_e32 v4, 20, v4
	v_and_b32_e32 v9, 0x80000000, v9
	v_lshl_add_u32 v0, v0, 23, v54
	v_or3_b32 v4, v9, v0, v4
.LBB4_1547:                             ;   in Loop: Header=BB4_354 Depth=4
	s_or_b64 exec, exec, s[50:51]
.LBB4_1548:                             ;   in Loop: Header=BB4_354 Depth=4
	s_or_b64 exec, exec, s[48:49]
.LBB4_1549:                             ;   in Loop: Header=BB4_354 Depth=4
	s_or_b64 exec, exec, s[38:39]
	v_cmp_lt_u32_e32 vcc, s63, v10
	s_and_saveexec_b64 s[38:39], vcc
	s_cbranch_execz .LBB4_1555
; %bb.1550:                             ;   in Loop: Header=BB4_354 Depth=4
	v_cmp_ne_u32_e32 vcc, s80, v2
	v_bfrev_b32_e32 v5, 1
	s_and_saveexec_b64 s[48:49], vcc
	s_cbranch_execz .LBB4_1554
; %bb.1551:                             ;   in Loop: Header=BB4_354 Depth=4
	v_bfe_u32 v0, v10, 24, 7
	v_cmp_ne_u32_e32 vcc, s81, v0
	v_mov_b32_e32 v5, 0x7f800001
	s_and_saveexec_b64 s[50:51], vcc
	s_cbranch_execz .LBB4_1553
; %bb.1552:                             ;   in Loop: Header=BB4_354 Depth=4
	v_and_b32_e32 v5, 7, v2
	v_lshrrev_b32_e32 v9, 3, v0
	v_cmp_gt_u32_e32 vcc, 8, v0
	v_ffbh_u32_e32 v0, v5
	v_min_u32_e32 v0, 32, v0
	v_subrev_u32_e32 v12, 28, v0
	v_lshlrev_b64 v[12:13], v12, v[2:3]
	v_sub_u32_e32 v0, 29, v0
	v_and_b32_e32 v12, 7, v12
	v_cndmask_b32_e32 v0, v9, v0, vcc
	v_cndmask_b32_e32 v5, v5, v12, vcc
	v_lshlrev_b32_e32 v9, 24, v2
	v_lshlrev_b32_e32 v5, 20, v5
	v_and_b32_e32 v9, 0x80000000, v9
	v_lshl_add_u32 v0, v0, 23, v54
	v_or3_b32 v5, v9, v0, v5
.LBB4_1553:                             ;   in Loop: Header=BB4_354 Depth=4
	s_or_b64 exec, exec, s[50:51]
.LBB4_1554:                             ;   in Loop: Header=BB4_354 Depth=4
	s_or_b64 exec, exec, s[48:49]
.LBB4_1555:                             ;   in Loop: Header=BB4_354 Depth=4
	s_or_b64 exec, exec, s[38:39]
	v_max_f32_e32 v0, v5, v5
	v_max_f32_e32 v4, v4, v4
	v_max_f32_e32 v4, v4, v0
	s_mov_b64 s[38:39], 0
.LBB4_1556:                             ;   in Loop: Header=BB4_354 Depth=4
	s_and_b64 vcc, exec, s[38:39]
	s_cbranch_vccz .LBB4_1570
; %bb.1557:                             ;   in Loop: Header=BB4_354 Depth=4
	v_mov_b32_e32 v5, 0
	v_mov_b32_e32 v4, 0
	s_and_saveexec_b64 s[38:39], s[40:41]
	s_cbranch_execz .LBB4_1563
; %bb.1558:                             ;   in Loop: Header=BB4_354 Depth=4
	v_cmp_ne_u32_e32 vcc, s80, v8
	v_bfrev_b32_e32 v4, 1
	s_and_saveexec_b64 s[40:41], vcc
	s_cbranch_execz .LBB4_1562
; %bb.1559:                             ;   in Loop: Header=BB4_354 Depth=4
	v_bfe_u32 v0, v14, 24, 7
	v_cmp_ne_u32_e32 vcc, s81, v0
	v_mov_b32_e32 v4, 0x7f800001
	s_and_saveexec_b64 s[48:49], vcc
	s_cbranch_execz .LBB4_1561
; %bb.1560:                             ;   in Loop: Header=BB4_354 Depth=4
	v_and_b32_e32 v4, 7, v8
	v_lshrrev_b32_e32 v9, 3, v0
	v_cmp_gt_u32_e32 vcc, 8, v0
	v_ffbh_u32_e32 v0, v4
	v_min_u32_e32 v0, 32, v0
	v_subrev_u32_e32 v12, 28, v0
	v_lshlrev_b64 v[12:13], v12, v[8:9]
	v_sub_u32_e32 v0, 29, v0
	v_and_b32_e32 v12, 7, v12
	v_cndmask_b32_e32 v0, v9, v0, vcc
	v_cndmask_b32_e32 v4, v4, v12, vcc
	v_lshlrev_b32_e32 v8, 24, v8
	v_lshlrev_b32_e32 v4, 20, v4
	v_and_b32_e32 v8, 0x80000000, v8
	v_lshl_add_u32 v0, v0, 23, v54
	v_or3_b32 v4, v8, v0, v4
.LBB4_1561:                             ;   in Loop: Header=BB4_354 Depth=4
	s_or_b64 exec, exec, s[48:49]
.LBB4_1562:                             ;   in Loop: Header=BB4_354 Depth=4
	s_or_b64 exec, exec, s[40:41]
.LBB4_1563:                             ;   in Loop: Header=BB4_354 Depth=4
	s_or_b64 exec, exec, s[38:39]
	v_cmp_lt_u32_e32 vcc, s63, v10
	s_and_saveexec_b64 s[40:41], vcc
	s_cbranch_execz .LBB4_1569
; %bb.1564:                             ;   in Loop: Header=BB4_354 Depth=4
	v_cmp_ne_u32_e32 vcc, s80, v2
	v_bfrev_b32_e32 v5, 1
	s_and_saveexec_b64 s[38:39], vcc
	s_cbranch_execz .LBB4_1568
; %bb.1565:                             ;   in Loop: Header=BB4_354 Depth=4
	v_bfe_u32 v0, v10, 24, 7
	v_cmp_ne_u32_e32 vcc, s81, v0
	v_mov_b32_e32 v5, 0x7f800001
	s_and_saveexec_b64 s[48:49], vcc
	s_cbranch_execz .LBB4_1567
; %bb.1566:                             ;   in Loop: Header=BB4_354 Depth=4
	v_and_b32_e32 v5, 7, v2
	v_lshrrev_b32_e32 v12, 3, v0
	v_cmp_gt_u32_e32 vcc, 8, v0
	v_ffbh_u32_e32 v0, v5
	v_min_u32_e32 v0, 32, v0
	v_subrev_u32_e32 v8, 28, v0
	v_lshlrev_b64 v[8:9], v8, v[2:3]
	v_sub_u32_e32 v0, 29, v0
	v_and_b32_e32 v8, 7, v8
	v_cndmask_b32_e32 v0, v12, v0, vcc
	v_cndmask_b32_e32 v5, v5, v8, vcc
	v_lshlrev_b32_e32 v2, 24, v2
	v_lshlrev_b32_e32 v5, 20, v5
	v_and_b32_e32 v2, 0x80000000, v2
	v_lshl_add_u32 v0, v0, 23, v54
	v_or3_b32 v5, v2, v0, v5
.LBB4_1567:                             ;   in Loop: Header=BB4_354 Depth=4
	s_or_b64 exec, exec, s[48:49]
.LBB4_1568:                             ;   in Loop: Header=BB4_354 Depth=4
	s_or_b64 exec, exec, s[38:39]
.LBB4_1569:                             ;   in Loop: Header=BB4_354 Depth=4
	s_or_b64 exec, exec, s[40:41]
	v_max_f32_e32 v0, v5, v5
	v_max_f32_e32 v2, v4, v4
	v_min_f32_e32 v4, v2, v0
.LBB4_1570:                             ;   in Loop: Header=BB4_354 Depth=4
	v_and_b32_e32 v2, 0x7f800000, v4
	v_cmp_ne_u64_e32 vcc, s[76:77], v[2:3]
                                        ; implicit-def: $vgpr50
	s_and_saveexec_b64 s[40:41], vcc
	s_xor_b64 s[38:39], exec, s[40:41]
	s_cbranch_execz .LBB4_1584
; %bb.1571:                             ;   in Loop: Header=BB4_354 Depth=4
	v_and_b32_e32 v2, 0x7fffffff, v4
	v_cmp_gt_u64_e32 vcc, s[78:79], v[2:3]
	v_and_b32_sdwa v12, v4, s80 dst_sel:DWORD dst_unused:UNUSED_PAD src0_sel:BYTE_3 src1_sel:DWORD
                                        ; implicit-def: $vgpr50
	s_and_saveexec_b64 s[40:41], vcc
	s_xor_b64 s[48:49], exec, s[40:41]
	s_cbranch_execz .LBB4_1581
; %bb.1572:                             ;   in Loop: Header=BB4_354 Depth=4
	v_mov_b32_e32 v50, 0
	v_cmp_ne_u32_e32 vcc, 0, v4
	s_and_saveexec_b64 s[50:51], vcc
	s_cbranch_execz .LBB4_1580
; %bb.1573:                             ;   in Loop: Header=BB4_354 Depth=4
	v_bfe_u32 v13, v4, 23, 8
	v_cmp_gt_u32_e64 s[40:41], s83, v13
	v_sub_u32_e32 v2, 0x79, v13
	v_and_b32_e32 v0, 0x7fffff, v4
	v_cmp_eq_u32_e32 vcc, 0, v13
	v_cndmask_b32_e64 v2, 0, v2, s[40:41]
	v_mov_b32_e32 v5, 0x78
	v_or_b32_e32 v4, 0x800000, v0
	v_cndmask_b32_e32 v50, v2, v5, vcc
	v_cndmask_b32_e32 v2, v4, v0, vcc
	v_add_u32_e32 v0, 20, v50
	v_lshlrev_b64 v[4:5], v0, -1
	v_add_u32_e32 v0, 19, v50
	v_lshlrev_b64 v[8:9], v0, 1
	v_bfi_b32 v5, v5, 0, 0
	v_bfi_b32 v4, v4, 0, v2
	v_cmp_eq_u64_e64 s[40:41], v[4:5], v[8:9]
	v_lshrrev_b64 v[8:9], v50, v[2:3]
	v_mov_b32_e32 v4, v8
	v_mov_b32_e32 v5, v9
	s_and_saveexec_b64 s[52:53], s[40:41]
; %bb.1574:                             ;   in Loop: Header=BB4_354 Depth=4
	v_bfe_u32 v0, v8, 20, 1
	v_add_co_u32_e64 v0, s[40:41], v8, v0
	v_add_co_u32_e64 v4, s[40:41], -1, v0
; %bb.1575:                             ;   in Loop: Header=BB4_354 Depth=4
	s_or_b64 exec, exec, s[52:53]
	v_add_u32_e32 v0, 0xffffff81, v13
	v_mov_b32_e32 v2, 0xffffff82
	v_cndmask_b32_e32 v0, v0, v2, vcc
	v_lshrrev_b32_e32 v2, 23, v8
	v_add3_u32 v13, v50, v0, v2
	v_add_u32_e32 v5, 6, v13
	v_and_b32_e32 v0, 0xfffff, v4
	v_add_u32_e32 v2, v0, v8
	v_cmp_ne_u32_e32 vcc, 0, v5
                                        ; implicit-def: $vgpr8_vgpr9
                                        ; implicit-def: $vgpr0
	s_and_saveexec_b64 s[40:41], vcc
	s_xor_b64 s[40:41], exec, s[40:41]
; %bb.1576:                             ;   in Loop: Header=BB4_354 Depth=4
	v_cmp_lt_u64_e32 vcc, s[88:89], v[2:3]
	v_add_u32_e32 v0, 7, v13
	v_cndmask_b32_e64 v4, 0, 1, vcc
	v_lshrrev_b64 v[8:9], v4, v[2:3]
	v_cndmask_b32_e32 v0, v5, v0, vcc
; %bb.1577:                             ;   in Loop: Header=BB4_354 Depth=4
	s_andn2_saveexec_b64 s[40:41], s[40:41]
; %bb.1578:                             ;   in Loop: Header=BB4_354 Depth=4
	v_mov_b32_e32 v9, v3
	v_bfe_u32 v0, v2, 23, 1
	v_mov_b32_e32 v8, v2
; %bb.1579:                             ;   in Loop: Header=BB4_354 Depth=4
	s_or_b64 exec, exec, s[40:41]
	v_lshrrev_b64 v[4:5], 20, v[8:9]
	v_cmp_gt_i32_e32 vcc, 16, v0
	v_cndmask_b32_e32 v5, 0, v5, vcc
	v_cndmask_b32_e32 v4, 7, v4, vcc
	v_cmp_eq_u32_e32 vcc, 0, v0
	v_min_i32_e32 v0, 15, v0
	v_cmp_eq_u64_e64 s[40:41], 0, v[4:5]
	v_lshlrev_b32_e32 v0, 3, v0
	v_and_b32_e32 v0, 0xf8, v0
	v_and_or_b32 v0, v4, 7, v0
	s_and_b64 s[40:41], vcc, s[40:41]
	v_cndmask_b32_e64 v0, v0, 0, s[40:41]
	v_or_b32_e32 v50, v0, v12
.LBB4_1580:                             ;   in Loop: Header=BB4_354 Depth=4
	s_or_b64 exec, exec, s[50:51]
                                        ; implicit-def: $vgpr12
.LBB4_1581:                             ;   in Loop: Header=BB4_354 Depth=4
	s_andn2_saveexec_b64 s[40:41], s[48:49]
; %bb.1582:                             ;   in Loop: Header=BB4_354 Depth=4
	v_or_b32_e32 v50, 0x7e, v12
; %bb.1583:                             ;   in Loop: Header=BB4_354 Depth=4
	s_or_b64 exec, exec, s[40:41]
                                        ; implicit-def: $vgpr4
.LBB4_1584:                             ;   in Loop: Header=BB4_354 Depth=4
	s_andn2_saveexec_b64 s[40:41], s[38:39]
; %bb.1585:                             ;   in Loop: Header=BB4_354 Depth=4
	v_or_b32_sdwa v50, v4, s81 dst_sel:DWORD dst_unused:UNUSED_PAD src0_sel:BYTE_3 src1_sel:DWORD
; %bb.1586:                             ;   in Loop: Header=BB4_354 Depth=4
	s_or_b64 exec, exec, s[40:41]
	v_mov_b32_e32 v2, v15
	v_mov_b32_e32 v8, v11
	;; [unrolled: 1-line block ×3, first 2 shown]
	v_cmp_ne_u16_sdwa s[40:41], v15, v3 src0_sel:BYTE_0 src1_sel:DWORD
	s_and_b64 vcc, exec, s[28:29]
	s_mov_b64 s[38:39], -1
                                        ; implicit-def: $vgpr4
	s_cbranch_vccnz .LBB4_1600
; %bb.1587:                             ;   in Loop: Header=BB4_354 Depth=4
	v_mov_b32_e32 v5, 0
	v_mov_b32_e32 v4, 0
	s_and_saveexec_b64 s[38:39], s[40:41]
	s_cbranch_execz .LBB4_1593
; %bb.1588:                             ;   in Loop: Header=BB4_354 Depth=4
	v_cmp_ne_u16_sdwa vcc, v15, s80 src0_sel:BYTE_0 src1_sel:DWORD
	v_bfrev_b32_e32 v4, 1
	s_and_saveexec_b64 s[48:49], vcc
	s_cbranch_execz .LBB4_1592
; %bb.1589:                             ;   in Loop: Header=BB4_354 Depth=4
	v_and_b32_e32 v0, 0x7f, v15
	v_cmp_ne_u32_e32 vcc, s81, v0
	v_mov_b32_e32 v4, 0x7f800001
	s_and_saveexec_b64 s[50:51], vcc
	s_cbranch_execz .LBB4_1591
; %bb.1590:                             ;   in Loop: Header=BB4_354 Depth=4
	v_and_b32_e32 v4, 7, v15
	v_lshrrev_b32_e32 v12, 3, v0
	v_cmp_gt_u32_e32 vcc, 8, v0
	v_ffbh_u32_e32 v0, v4
	v_min_u32_e32 v0, 32, v0
	v_subrev_u32_e32 v4, 28, v0
	v_sub_u32_e32 v0, 29, v0
	v_cndmask_b32_e32 v4, 0, v4, vcc
	v_cndmask_b32_e32 v0, v12, v0, vcc
	v_lshlrev_b64 v[12:13], v4, v[2:3]
	v_lshl_add_u32 v0, v0, 23, v54
	v_lshlrev_b32_e32 v4, 20, v12
	v_lshlrev_b32_e32 v12, 24, v2
	v_and_b32_e32 v4, 0x700000, v4
	v_and_b32_e32 v12, 0x80000000, v12
	v_or3_b32 v4, v12, v0, v4
.LBB4_1591:                             ;   in Loop: Header=BB4_354 Depth=4
	s_or_b64 exec, exec, s[50:51]
.LBB4_1592:                             ;   in Loop: Header=BB4_354 Depth=4
	s_or_b64 exec, exec, s[48:49]
.LBB4_1593:                             ;   in Loop: Header=BB4_354 Depth=4
	s_or_b64 exec, exec, s[38:39]
	v_cmp_ne_u16_sdwa vcc, v11, v3 src0_sel:BYTE_0 src1_sel:DWORD
	s_and_saveexec_b64 s[38:39], vcc
	s_cbranch_execz .LBB4_1599
; %bb.1594:                             ;   in Loop: Header=BB4_354 Depth=4
	v_cmp_ne_u16_sdwa vcc, v11, s80 src0_sel:BYTE_0 src1_sel:DWORD
	v_bfrev_b32_e32 v5, 1
	s_and_saveexec_b64 s[48:49], vcc
	s_cbranch_execz .LBB4_1598
; %bb.1595:                             ;   in Loop: Header=BB4_354 Depth=4
	v_and_b32_e32 v0, 0x7f, v11
	v_cmp_ne_u32_e32 vcc, s81, v0
	v_mov_b32_e32 v5, 0x7f800001
	s_and_saveexec_b64 s[50:51], vcc
	s_cbranch_execz .LBB4_1597
; %bb.1596:                             ;   in Loop: Header=BB4_354 Depth=4
	v_and_b32_e32 v5, 7, v11
	v_lshrrev_b32_e32 v12, 3, v0
	v_cmp_gt_u32_e32 vcc, 8, v0
	v_ffbh_u32_e32 v0, v5
	v_min_u32_e32 v0, 32, v0
	v_subrev_u32_e32 v5, 28, v0
	v_sub_u32_e32 v0, 29, v0
	v_cndmask_b32_e32 v5, 0, v5, vcc
	v_cndmask_b32_e32 v0, v12, v0, vcc
	v_lshlrev_b64 v[12:13], v5, v[8:9]
	v_lshl_add_u32 v0, v0, 23, v54
	v_lshlrev_b32_e32 v5, 20, v12
	v_lshlrev_b32_e32 v12, 24, v8
	v_and_b32_e32 v5, 0x700000, v5
	v_and_b32_e32 v12, 0x80000000, v12
	v_or3_b32 v5, v12, v0, v5
.LBB4_1597:                             ;   in Loop: Header=BB4_354 Depth=4
	s_or_b64 exec, exec, s[50:51]
.LBB4_1598:                             ;   in Loop: Header=BB4_354 Depth=4
	s_or_b64 exec, exec, s[48:49]
.LBB4_1599:                             ;   in Loop: Header=BB4_354 Depth=4
	s_or_b64 exec, exec, s[38:39]
	v_max_f32_e32 v0, v5, v5
	v_max_f32_e32 v4, v4, v4
	;; [unrolled: 1-line block ×3, first 2 shown]
	s_mov_b64 s[38:39], 0
.LBB4_1600:                             ;   in Loop: Header=BB4_354 Depth=4
	s_and_b64 vcc, exec, s[38:39]
	s_cbranch_vccz .LBB4_1614
; %bb.1601:                             ;   in Loop: Header=BB4_354 Depth=4
	v_mov_b32_e32 v5, 0
	v_mov_b32_e32 v4, 0
	s_and_saveexec_b64 s[38:39], s[40:41]
	s_cbranch_execz .LBB4_1607
; %bb.1602:                             ;   in Loop: Header=BB4_354 Depth=4
	v_cmp_ne_u16_sdwa vcc, v15, s80 src0_sel:BYTE_0 src1_sel:DWORD
	v_bfrev_b32_e32 v4, 1
	s_and_saveexec_b64 s[40:41], vcc
	s_cbranch_execz .LBB4_1606
; %bb.1603:                             ;   in Loop: Header=BB4_354 Depth=4
	v_and_b32_e32 v0, 0x7f, v15
	v_cmp_ne_u32_e32 vcc, s81, v0
	v_mov_b32_e32 v4, 0x7f800001
	s_and_saveexec_b64 s[48:49], vcc
	s_cbranch_execz .LBB4_1605
; %bb.1604:                             ;   in Loop: Header=BB4_354 Depth=4
	v_and_b32_e32 v4, 7, v15
	v_lshrrev_b32_e32 v12, 3, v0
	v_cmp_gt_u32_e32 vcc, 8, v0
	v_ffbh_u32_e32 v0, v4
	v_min_u32_e32 v0, 32, v0
	v_subrev_u32_e32 v4, 28, v0
	v_sub_u32_e32 v0, 29, v0
	v_cndmask_b32_e32 v4, 0, v4, vcc
	v_cndmask_b32_e32 v0, v12, v0, vcc
	v_lshlrev_b64 v[12:13], v4, v[2:3]
	v_lshl_add_u32 v0, v0, 23, v54
	v_lshlrev_b32_e32 v4, 20, v12
	v_lshlrev_b32_e32 v12, 24, v2
	v_and_b32_e32 v4, 0x700000, v4
	v_and_b32_e32 v12, 0x80000000, v12
	v_or3_b32 v4, v12, v0, v4
.LBB4_1605:                             ;   in Loop: Header=BB4_354 Depth=4
	s_or_b64 exec, exec, s[48:49]
.LBB4_1606:                             ;   in Loop: Header=BB4_354 Depth=4
	s_or_b64 exec, exec, s[40:41]
.LBB4_1607:                             ;   in Loop: Header=BB4_354 Depth=4
	s_or_b64 exec, exec, s[38:39]
	v_cmp_ne_u16_sdwa vcc, v11, v3 src0_sel:BYTE_0 src1_sel:DWORD
	s_and_saveexec_b64 s[40:41], vcc
	s_cbranch_execz .LBB4_1613
; %bb.1608:                             ;   in Loop: Header=BB4_354 Depth=4
	v_cmp_ne_u16_sdwa vcc, v11, s80 src0_sel:BYTE_0 src1_sel:DWORD
	v_bfrev_b32_e32 v5, 1
	s_and_saveexec_b64 s[38:39], vcc
	s_cbranch_execz .LBB4_1612
; %bb.1609:                             ;   in Loop: Header=BB4_354 Depth=4
	v_and_b32_e32 v0, 0x7f, v11
	v_cmp_ne_u32_e32 vcc, s81, v0
	v_mov_b32_e32 v5, 0x7f800001
	s_and_saveexec_b64 s[48:49], vcc
	s_cbranch_execz .LBB4_1611
; %bb.1610:                             ;   in Loop: Header=BB4_354 Depth=4
	v_and_b32_e32 v5, 7, v11
	v_lshrrev_b32_e32 v12, 3, v0
	v_cmp_gt_u32_e32 vcc, 8, v0
	v_ffbh_u32_e32 v0, v5
	v_min_u32_e32 v0, 32, v0
	v_subrev_u32_e32 v5, 28, v0
	v_sub_u32_e32 v0, 29, v0
	v_cndmask_b32_e32 v5, 0, v5, vcc
	v_cndmask_b32_e32 v0, v12, v0, vcc
	v_lshlrev_b64 v[12:13], v5, v[8:9]
	v_lshlrev_b32_e32 v9, 24, v8
	v_lshlrev_b32_e32 v5, 20, v12
	v_and_b32_e32 v5, 0x700000, v5
	v_and_b32_e32 v9, 0x80000000, v9
	v_lshl_add_u32 v0, v0, 23, v54
	v_or3_b32 v5, v9, v0, v5
.LBB4_1611:                             ;   in Loop: Header=BB4_354 Depth=4
	s_or_b64 exec, exec, s[48:49]
.LBB4_1612:                             ;   in Loop: Header=BB4_354 Depth=4
	s_or_b64 exec, exec, s[38:39]
.LBB4_1613:                             ;   in Loop: Header=BB4_354 Depth=4
	s_or_b64 exec, exec, s[40:41]
	v_max_f32_e32 v0, v5, v5
	v_max_f32_e32 v4, v4, v4
	v_min_f32_e32 v4, v4, v0
.LBB4_1614:                             ;   in Loop: Header=BB4_354 Depth=4
	v_and_b32_e32 v12, 0x7f800000, v4
	v_mov_b32_e32 v13, v3
	v_cmp_ne_u64_e32 vcc, s[76:77], v[12:13]
                                        ; implicit-def: $vgpr13
	s_and_saveexec_b64 s[40:41], vcc
	s_xor_b64 s[38:39], exec, s[40:41]
	s_cbranch_execz .LBB4_1628
; %bb.1615:                             ;   in Loop: Header=BB4_354 Depth=4
	v_and_b32_e32 v12, 0x7fffffff, v4
	v_mov_b32_e32 v13, v3
	v_cmp_gt_u64_e32 vcc, s[78:79], v[12:13]
	v_and_b32_sdwa v9, v4, s80 dst_sel:DWORD dst_unused:UNUSED_PAD src0_sel:BYTE_3 src1_sel:DWORD
                                        ; implicit-def: $vgpr13
	s_and_saveexec_b64 s[40:41], vcc
	s_xor_b64 s[48:49], exec, s[40:41]
	s_cbranch_execz .LBB4_1625
; %bb.1616:                             ;   in Loop: Header=BB4_354 Depth=4
	v_mov_b32_e32 v13, 0
	v_cmp_ne_u32_e32 vcc, 0, v4
	s_and_saveexec_b64 s[50:51], vcc
	s_cbranch_execz .LBB4_1624
; %bb.1617:                             ;   in Loop: Header=BB4_354 Depth=4
	v_bfe_u32 v58, v4, 23, 8
	v_and_b32_e32 v0, 0x7fffff, v4
	v_cmp_gt_u32_e64 s[40:41], s83, v58
	v_sub_u32_e32 v4, 0x79, v58
	v_cmp_eq_u32_e32 vcc, 0, v58
	v_cndmask_b32_e64 v4, 0, v4, s[40:41]
	v_mov_b32_e32 v12, 0x78
	v_or_b32_e32 v5, 0x800000, v0
	v_cndmask_b32_e32 v59, v4, v12, vcc
	v_cndmask_b32_e32 v4, v5, v0, vcc
	v_add_u32_e32 v0, 20, v59
	v_lshlrev_b64 v[12:13], v0, -1
	v_add_u32_e32 v0, 19, v59
	v_lshlrev_b64 v[40:41], v0, 1
	v_mov_b32_e32 v5, v3
	v_bfi_b32 v13, v13, 0, 0
	v_bfi_b32 v12, v12, 0, v4
	v_cmp_eq_u64_e64 s[40:41], v[12:13], v[40:41]
	v_lshrrev_b64 v[12:13], v59, v[4:5]
	v_mov_b32_e32 v4, v12
	v_mov_b32_e32 v5, v13
	s_and_saveexec_b64 s[52:53], s[40:41]
; %bb.1618:                             ;   in Loop: Header=BB4_354 Depth=4
	v_bfe_u32 v0, v12, 20, 1
	v_add_co_u32_e64 v0, s[40:41], v12, v0
	v_add_co_u32_e64 v4, s[40:41], -1, v0
; %bb.1619:                             ;   in Loop: Header=BB4_354 Depth=4
	s_or_b64 exec, exec, s[52:53]
	v_add_u32_e32 v0, 0xffffff81, v58
	v_mov_b32_e32 v5, 0xffffff82
	v_cndmask_b32_e32 v0, v0, v5, vcc
	v_lshrrev_b32_e32 v5, 23, v12
	v_add3_u32 v58, v59, v0, v5
	v_add_u32_e32 v5, 6, v58
	v_and_b32_e32 v0, 0xfffff, v4
	v_add_u32_e32 v12, v0, v12
	v_mov_b32_e32 v13, v3
	v_cmp_ne_u32_e32 vcc, 0, v5
                                        ; implicit-def: $vgpr0
	s_and_saveexec_b64 s[40:41], vcc
	s_xor_b64 s[40:41], exec, s[40:41]
; %bb.1620:                             ;   in Loop: Header=BB4_354 Depth=4
	v_cmp_lt_u64_e32 vcc, s[88:89], v[12:13]
	v_add_u32_e32 v0, 7, v58
	v_cndmask_b32_e64 v4, 0, 1, vcc
	v_lshrrev_b64 v[12:13], v4, v[12:13]
	v_cndmask_b32_e32 v0, v5, v0, vcc
; %bb.1621:                             ;   in Loop: Header=BB4_354 Depth=4
	s_andn2_saveexec_b64 s[40:41], s[40:41]
; %bb.1622:                             ;   in Loop: Header=BB4_354 Depth=4
	v_bfe_u32 v0, v12, 23, 1
; %bb.1623:                             ;   in Loop: Header=BB4_354 Depth=4
	s_or_b64 exec, exec, s[40:41]
	v_lshrrev_b64 v[4:5], 20, v[12:13]
	v_cmp_gt_i32_e32 vcc, 16, v0
	v_cndmask_b32_e32 v5, 0, v5, vcc
	v_cndmask_b32_e32 v4, 7, v4, vcc
	v_cmp_eq_u32_e32 vcc, 0, v0
	v_min_i32_e32 v0, 15, v0
	v_cmp_eq_u64_e64 s[40:41], 0, v[4:5]
	v_lshlrev_b32_e32 v0, 3, v0
	v_and_b32_e32 v0, 0xf8, v0
	v_and_or_b32 v0, v4, 7, v0
	s_and_b64 s[40:41], vcc, s[40:41]
	v_cndmask_b32_e64 v0, v0, 0, s[40:41]
	v_or_b32_e32 v13, v0, v9
.LBB4_1624:                             ;   in Loop: Header=BB4_354 Depth=4
	s_or_b64 exec, exec, s[50:51]
                                        ; implicit-def: $vgpr9
.LBB4_1625:                             ;   in Loop: Header=BB4_354 Depth=4
	s_andn2_saveexec_b64 s[40:41], s[48:49]
; %bb.1626:                             ;   in Loop: Header=BB4_354 Depth=4
	v_or_b32_e32 v13, 0x7e, v9
; %bb.1627:                             ;   in Loop: Header=BB4_354 Depth=4
	s_or_b64 exec, exec, s[40:41]
                                        ; implicit-def: $vgpr4
.LBB4_1628:                             ;   in Loop: Header=BB4_354 Depth=4
	s_andn2_saveexec_b64 s[40:41], s[38:39]
; %bb.1629:                             ;   in Loop: Header=BB4_354 Depth=4
	v_or_b32_sdwa v13, v4, s81 dst_sel:DWORD dst_unused:UNUSED_PAD src0_sel:BYTE_3 src1_sel:DWORD
; %bb.1630:                             ;   in Loop: Header=BB4_354 Depth=4
	s_or_b64 exec, exec, s[40:41]
	v_lshrrev_b16_e32 v12, 8, v2
	v_lshrrev_b16_e32 v9, 8, v8
	v_cmp_ne_u16_e64 s[40:41], 0, v12
	s_and_b64 vcc, exec, s[28:29]
	s_mov_b64 s[38:39], -1
                                        ; implicit-def: $vgpr4
	s_cbranch_vccnz .LBB4_1644
; %bb.1631:                             ;   in Loop: Header=BB4_354 Depth=4
	v_mov_b32_e32 v5, 0
	v_mov_b32_e32 v4, 0
	s_and_saveexec_b64 s[38:39], s[40:41]
	s_cbranch_execz .LBB4_1637
; %bb.1632:                             ;   in Loop: Header=BB4_354 Depth=4
	v_cmp_ne_u16_e32 vcc, s80, v12
	v_bfrev_b32_e32 v4, 1
	s_and_saveexec_b64 s[48:49], vcc
	s_cbranch_execz .LBB4_1636
; %bb.1633:                             ;   in Loop: Header=BB4_354 Depth=4
	v_and_b32_e32 v0, 0x7f, v12
	v_cmp_ne_u32_e32 vcc, s81, v0
	v_mov_b32_e32 v4, 0x7f800001
	s_and_saveexec_b64 s[50:51], vcc
	s_cbranch_execz .LBB4_1635
; %bb.1634:                             ;   in Loop: Header=BB4_354 Depth=4
	v_and_b32_e32 v4, 7, v12
	v_lshrrev_b32_e32 v58, 3, v0
	v_cmp_gt_u32_e32 vcc, 8, v0
	v_ffbh_u32_e32 v0, v4
	v_min_u32_e32 v0, 32, v0
	v_subrev_u32_e32 v40, 28, v0
	v_lshlrev_b64 v[40:41], v40, v[12:13]
	v_sub_u32_e32 v0, 29, v0
	v_and_b32_e32 v40, 7, v40
	v_cndmask_b32_e32 v0, v58, v0, vcc
	v_cndmask_b32_e32 v4, v4, v40, vcc
	v_lshlrev_b32_e32 v40, 16, v2
	v_lshlrev_b32_e32 v4, 20, v4
	v_and_b32_e32 v40, 0x80000000, v40
	v_lshl_add_u32 v0, v0, 23, v54
	v_or3_b32 v4, v40, v0, v4
.LBB4_1635:                             ;   in Loop: Header=BB4_354 Depth=4
	s_or_b64 exec, exec, s[50:51]
.LBB4_1636:                             ;   in Loop: Header=BB4_354 Depth=4
	s_or_b64 exec, exec, s[48:49]
.LBB4_1637:                             ;   in Loop: Header=BB4_354 Depth=4
	s_or_b64 exec, exec, s[38:39]
	v_cmp_ne_u16_e32 vcc, 0, v9
	s_and_saveexec_b64 s[38:39], vcc
	s_cbranch_execz .LBB4_1643
; %bb.1638:                             ;   in Loop: Header=BB4_354 Depth=4
	v_cmp_ne_u16_e32 vcc, s80, v9
	v_bfrev_b32_e32 v5, 1
	s_and_saveexec_b64 s[48:49], vcc
	s_cbranch_execz .LBB4_1642
; %bb.1639:                             ;   in Loop: Header=BB4_354 Depth=4
	v_and_b32_e32 v0, 0x7f, v9
	v_cmp_ne_u32_e32 vcc, s81, v0
	v_mov_b32_e32 v5, 0x7f800001
	s_and_saveexec_b64 s[50:51], vcc
	s_cbranch_execz .LBB4_1641
; %bb.1640:                             ;   in Loop: Header=BB4_354 Depth=4
	v_and_b32_e32 v5, 7, v9
	v_lshrrev_b32_e32 v58, 3, v0
	v_cmp_gt_u32_e32 vcc, 8, v0
	v_ffbh_u32_e32 v0, v5
	v_min_u32_e32 v0, 32, v0
	v_subrev_u32_e32 v40, 28, v0
	v_lshlrev_b64 v[40:41], v40, v[9:10]
	v_sub_u32_e32 v0, 29, v0
	v_and_b32_e32 v40, 7, v40
	v_cndmask_b32_e32 v0, v58, v0, vcc
	v_cndmask_b32_e32 v5, v5, v40, vcc
	v_lshlrev_b32_e32 v40, 16, v8
	v_lshlrev_b32_e32 v5, 20, v5
	v_and_b32_e32 v40, 0x80000000, v40
	v_lshl_add_u32 v0, v0, 23, v54
	v_or3_b32 v5, v40, v0, v5
.LBB4_1641:                             ;   in Loop: Header=BB4_354 Depth=4
	s_or_b64 exec, exec, s[50:51]
.LBB4_1642:                             ;   in Loop: Header=BB4_354 Depth=4
	s_or_b64 exec, exec, s[48:49]
.LBB4_1643:                             ;   in Loop: Header=BB4_354 Depth=4
	s_or_b64 exec, exec, s[38:39]
	v_max_f32_e32 v0, v5, v5
	v_max_f32_e32 v4, v4, v4
	v_max_f32_e32 v4, v4, v0
	s_mov_b64 s[38:39], 0
.LBB4_1644:                             ;   in Loop: Header=BB4_354 Depth=4
	s_and_b64 vcc, exec, s[38:39]
	s_cbranch_vccz .LBB4_1658
; %bb.1645:                             ;   in Loop: Header=BB4_354 Depth=4
	v_mov_b32_e32 v5, 0
	v_mov_b32_e32 v4, 0
	s_and_saveexec_b64 s[38:39], s[40:41]
	s_cbranch_execz .LBB4_1651
; %bb.1646:                             ;   in Loop: Header=BB4_354 Depth=4
	v_cmp_ne_u16_e32 vcc, s80, v12
	v_bfrev_b32_e32 v4, 1
	s_and_saveexec_b64 s[40:41], vcc
	s_cbranch_execz .LBB4_1650
; %bb.1647:                             ;   in Loop: Header=BB4_354 Depth=4
	v_and_b32_e32 v0, 0x7f, v12
	v_cmp_ne_u32_e32 vcc, s81, v0
	v_mov_b32_e32 v4, 0x7f800001
	s_and_saveexec_b64 s[48:49], vcc
	s_cbranch_execz .LBB4_1649
; %bb.1648:                             ;   in Loop: Header=BB4_354 Depth=4
	v_and_b32_e32 v4, 7, v12
	v_lshrrev_b32_e32 v58, 3, v0
	v_cmp_gt_u32_e32 vcc, 8, v0
	v_ffbh_u32_e32 v0, v4
	v_min_u32_e32 v0, 32, v0
	v_subrev_u32_e32 v40, 28, v0
	v_lshlrev_b64 v[40:41], v40, v[12:13]
	v_sub_u32_e32 v0, 29, v0
	v_and_b32_e32 v12, 7, v40
	v_cndmask_b32_e32 v0, v58, v0, vcc
	v_cndmask_b32_e32 v4, v4, v12, vcc
	v_lshlrev_b32_e32 v2, 16, v2
	v_lshlrev_b32_e32 v4, 20, v4
	v_and_b32_e32 v2, 0x80000000, v2
	v_lshl_add_u32 v0, v0, 23, v54
	v_or3_b32 v4, v2, v0, v4
.LBB4_1649:                             ;   in Loop: Header=BB4_354 Depth=4
	s_or_b64 exec, exec, s[48:49]
.LBB4_1650:                             ;   in Loop: Header=BB4_354 Depth=4
	s_or_b64 exec, exec, s[40:41]
.LBB4_1651:                             ;   in Loop: Header=BB4_354 Depth=4
	s_or_b64 exec, exec, s[38:39]
	v_cmp_ne_u16_e32 vcc, 0, v9
	s_and_saveexec_b64 s[40:41], vcc
	s_cbranch_execz .LBB4_1657
; %bb.1652:                             ;   in Loop: Header=BB4_354 Depth=4
	v_cmp_ne_u16_e32 vcc, s80, v9
	v_bfrev_b32_e32 v5, 1
	s_and_saveexec_b64 s[38:39], vcc
	s_cbranch_execz .LBB4_1656
; %bb.1653:                             ;   in Loop: Header=BB4_354 Depth=4
	v_and_b32_e32 v0, 0x7f, v9
	v_cmp_ne_u32_e32 vcc, s81, v0
	v_mov_b32_e32 v5, 0x7f800001
	s_and_saveexec_b64 s[48:49], vcc
	s_cbranch_execz .LBB4_1655
; %bb.1654:                             ;   in Loop: Header=BB4_354 Depth=4
	v_and_b32_e32 v2, 7, v9
	v_lshrrev_b32_e32 v5, 3, v0
	v_cmp_gt_u32_e32 vcc, 8, v0
	v_ffbh_u32_e32 v0, v2
	v_min_u32_e32 v0, 32, v0
	v_subrev_u32_e32 v12, 28, v0
	v_lshlrev_b64 v[40:41], v12, v[9:10]
	v_sub_u32_e32 v0, 29, v0
	v_and_b32_e32 v9, 7, v40
	v_cndmask_b32_e32 v0, v5, v0, vcc
	v_cndmask_b32_e32 v2, v2, v9, vcc
	v_lshlrev_b32_e32 v5, 16, v8
	v_lshlrev_b32_e32 v2, 20, v2
	v_and_b32_e32 v5, 0x80000000, v5
	v_lshl_add_u32 v0, v0, 23, v54
	v_or3_b32 v5, v5, v0, v2
.LBB4_1655:                             ;   in Loop: Header=BB4_354 Depth=4
	s_or_b64 exec, exec, s[48:49]
.LBB4_1656:                             ;   in Loop: Header=BB4_354 Depth=4
	s_or_b64 exec, exec, s[38:39]
.LBB4_1657:                             ;   in Loop: Header=BB4_354 Depth=4
	s_or_b64 exec, exec, s[40:41]
	v_max_f32_e32 v0, v5, v5
	v_max_f32_e32 v2, v4, v4
	v_min_f32_e32 v4, v2, v0
.LBB4_1658:                             ;   in Loop: Header=BB4_354 Depth=4
	v_and_b32_e32 v2, 0x7f800000, v4
	v_cmp_ne_u64_e32 vcc, s[76:77], v[2:3]
                                        ; implicit-def: $vgpr12
	s_and_saveexec_b64 s[40:41], vcc
	s_xor_b64 s[38:39], exec, s[40:41]
	s_cbranch_execz .LBB4_1672
; %bb.1659:                             ;   in Loop: Header=BB4_354 Depth=4
	v_and_b32_e32 v2, 0x7fffffff, v4
	v_cmp_gt_u64_e32 vcc, s[78:79], v[2:3]
	v_and_b32_sdwa v58, v4, s80 dst_sel:DWORD dst_unused:UNUSED_PAD src0_sel:BYTE_3 src1_sel:DWORD
                                        ; implicit-def: $vgpr12
	s_and_saveexec_b64 s[40:41], vcc
	s_xor_b64 s[48:49], exec, s[40:41]
	s_cbranch_execz .LBB4_1669
; %bb.1660:                             ;   in Loop: Header=BB4_354 Depth=4
	v_mov_b32_e32 v12, 0
	v_cmp_ne_u32_e32 vcc, 0, v4
	s_and_saveexec_b64 s[50:51], vcc
	s_cbranch_execz .LBB4_1668
; %bb.1661:                             ;   in Loop: Header=BB4_354 Depth=4
	v_bfe_u32 v12, v4, 23, 8
	v_cmp_gt_u32_e64 s[40:41], s83, v12
	v_sub_u32_e32 v2, 0x79, v12
	v_and_b32_e32 v0, 0x7fffff, v4
	v_cmp_eq_u32_e32 vcc, 0, v12
	v_cndmask_b32_e64 v2, 0, v2, s[40:41]
	v_mov_b32_e32 v5, 0x78
	v_or_b32_e32 v4, 0x800000, v0
	v_cndmask_b32_e32 v59, v2, v5, vcc
	v_cndmask_b32_e32 v2, v4, v0, vcc
	v_add_u32_e32 v0, 20, v59
	v_lshlrev_b64 v[4:5], v0, -1
	v_add_u32_e32 v0, 19, v59
	v_lshlrev_b64 v[8:9], v0, 1
	v_bfi_b32 v5, v5, 0, 0
	v_bfi_b32 v4, v4, 0, v2
	v_cmp_eq_u64_e64 s[40:41], v[4:5], v[8:9]
	v_lshrrev_b64 v[8:9], v59, v[2:3]
	v_mov_b32_e32 v4, v8
	v_mov_b32_e32 v5, v9
	s_and_saveexec_b64 s[52:53], s[40:41]
; %bb.1662:                             ;   in Loop: Header=BB4_354 Depth=4
	v_bfe_u32 v0, v8, 20, 1
	v_add_co_u32_e64 v0, s[40:41], v8, v0
	v_add_co_u32_e64 v4, s[40:41], -1, v0
; %bb.1663:                             ;   in Loop: Header=BB4_354 Depth=4
	s_or_b64 exec, exec, s[52:53]
	v_add_u32_e32 v0, 0xffffff81, v12
	v_mov_b32_e32 v2, 0xffffff82
	v_cndmask_b32_e32 v0, v0, v2, vcc
	v_lshrrev_b32_e32 v2, 23, v8
	v_add3_u32 v12, v59, v0, v2
	v_add_u32_e32 v5, 6, v12
	v_and_b32_e32 v0, 0xfffff, v4
	v_add_u32_e32 v2, v0, v8
	v_cmp_ne_u32_e32 vcc, 0, v5
                                        ; implicit-def: $vgpr8_vgpr9
                                        ; implicit-def: $vgpr0
	s_and_saveexec_b64 s[40:41], vcc
	s_xor_b64 s[40:41], exec, s[40:41]
; %bb.1664:                             ;   in Loop: Header=BB4_354 Depth=4
	v_cmp_lt_u64_e32 vcc, s[88:89], v[2:3]
	v_add_u32_e32 v0, 7, v12
	v_cndmask_b32_e64 v4, 0, 1, vcc
	v_lshrrev_b64 v[8:9], v4, v[2:3]
	v_cndmask_b32_e32 v0, v5, v0, vcc
; %bb.1665:                             ;   in Loop: Header=BB4_354 Depth=4
	s_andn2_saveexec_b64 s[40:41], s[40:41]
; %bb.1666:                             ;   in Loop: Header=BB4_354 Depth=4
	v_mov_b32_e32 v9, v3
	v_bfe_u32 v0, v2, 23, 1
	v_mov_b32_e32 v8, v2
; %bb.1667:                             ;   in Loop: Header=BB4_354 Depth=4
	s_or_b64 exec, exec, s[40:41]
	v_lshrrev_b64 v[4:5], 20, v[8:9]
	v_cmp_gt_i32_e32 vcc, 16, v0
	v_cndmask_b32_e32 v5, 0, v5, vcc
	v_cndmask_b32_e32 v4, 7, v4, vcc
	v_cmp_eq_u32_e32 vcc, 0, v0
	v_min_i32_e32 v0, 15, v0
	v_cmp_eq_u64_e64 s[40:41], 0, v[4:5]
	v_lshlrev_b32_e32 v0, 3, v0
	v_and_b32_e32 v0, 0xf8, v0
	v_and_or_b32 v0, v4, 7, v0
	s_and_b64 s[40:41], vcc, s[40:41]
	v_cndmask_b32_e64 v0, v0, 0, s[40:41]
	v_or_b32_e32 v12, v0, v58
.LBB4_1668:                             ;   in Loop: Header=BB4_354 Depth=4
	s_or_b64 exec, exec, s[50:51]
                                        ; implicit-def: $vgpr58
.LBB4_1669:                             ;   in Loop: Header=BB4_354 Depth=4
	s_andn2_saveexec_b64 s[40:41], s[48:49]
; %bb.1670:                             ;   in Loop: Header=BB4_354 Depth=4
	v_or_b32_e32 v12, 0x7e, v58
; %bb.1671:                             ;   in Loop: Header=BB4_354 Depth=4
	s_or_b64 exec, exec, s[40:41]
                                        ; implicit-def: $vgpr4
.LBB4_1672:                             ;   in Loop: Header=BB4_354 Depth=4
	s_andn2_saveexec_b64 s[40:41], s[38:39]
; %bb.1673:                             ;   in Loop: Header=BB4_354 Depth=4
	v_or_b32_sdwa v12, v4, s81 dst_sel:DWORD dst_unused:UNUSED_PAD src0_sel:BYTE_3 src1_sel:DWORD
; %bb.1674:                             ;   in Loop: Header=BB4_354 Depth=4
	s_or_b64 exec, exec, s[40:41]
	v_lshrrev_b32_e32 v8, 16, v15
	v_lshrrev_b32_e32 v2, 16, v11
	v_cmp_ne_u16_sdwa s[40:41], v8, v3 src0_sel:BYTE_0 src1_sel:DWORD
	s_and_b64 vcc, exec, s[28:29]
	s_mov_b64 s[38:39], -1
                                        ; implicit-def: $vgpr4
	s_cbranch_vccnz .LBB4_1688
; %bb.1675:                             ;   in Loop: Header=BB4_354 Depth=4
	v_mov_b32_e32 v5, 0
	v_mov_b32_e32 v4, 0
	s_and_saveexec_b64 s[38:39], s[40:41]
	s_cbranch_execz .LBB4_1681
; %bb.1676:                             ;   in Loop: Header=BB4_354 Depth=4
	v_cmp_ne_u16_sdwa vcc, v8, s80 src0_sel:BYTE_0 src1_sel:DWORD
	v_bfrev_b32_e32 v4, 1
	s_and_saveexec_b64 s[48:49], vcc
	s_cbranch_execz .LBB4_1680
; %bb.1677:                             ;   in Loop: Header=BB4_354 Depth=4
	v_bfe_u32 v0, v15, 16, 7
	v_cmp_ne_u32_e32 vcc, s81, v0
	v_mov_b32_e32 v4, 0x7f800001
	s_and_saveexec_b64 s[50:51], vcc
	s_cbranch_execz .LBB4_1679
; %bb.1678:                             ;   in Loop: Header=BB4_354 Depth=4
	v_and_b32_e32 v4, 7, v8
	v_lshrrev_b32_e32 v9, 3, v0
	v_cmp_gt_u32_e32 vcc, 8, v0
	v_ffbh_u32_e32 v0, v4
	v_min_u32_e32 v0, 32, v0
	v_subrev_u32_e32 v40, 28, v0
	v_lshlrev_b64 v[40:41], v40, v[8:9]
	v_sub_u32_e32 v0, 29, v0
	v_and_b32_e32 v40, 7, v40
	v_cndmask_b32_e32 v0, v9, v0, vcc
	v_cndmask_b32_e32 v4, v4, v40, vcc
	v_lshlrev_b32_e32 v9, 24, v8
	v_lshlrev_b32_e32 v4, 20, v4
	v_and_b32_e32 v9, 0x80000000, v9
	v_lshl_add_u32 v0, v0, 23, v54
	v_or3_b32 v4, v9, v0, v4
.LBB4_1679:                             ;   in Loop: Header=BB4_354 Depth=4
	s_or_b64 exec, exec, s[50:51]
.LBB4_1680:                             ;   in Loop: Header=BB4_354 Depth=4
	s_or_b64 exec, exec, s[48:49]
.LBB4_1681:                             ;   in Loop: Header=BB4_354 Depth=4
	s_or_b64 exec, exec, s[38:39]
	v_cmp_ne_u16_sdwa vcc, v2, v3 src0_sel:BYTE_0 src1_sel:DWORD
	s_and_saveexec_b64 s[38:39], vcc
	s_cbranch_execz .LBB4_1687
; %bb.1682:                             ;   in Loop: Header=BB4_354 Depth=4
	v_cmp_ne_u16_sdwa vcc, v2, s80 src0_sel:BYTE_0 src1_sel:DWORD
	v_bfrev_b32_e32 v5, 1
	s_and_saveexec_b64 s[48:49], vcc
	s_cbranch_execz .LBB4_1686
; %bb.1683:                             ;   in Loop: Header=BB4_354 Depth=4
	v_bfe_u32 v0, v11, 16, 7
	v_cmp_ne_u32_e32 vcc, s81, v0
	v_mov_b32_e32 v5, 0x7f800001
	s_and_saveexec_b64 s[50:51], vcc
	s_cbranch_execz .LBB4_1685
; %bb.1684:                             ;   in Loop: Header=BB4_354 Depth=4
	v_and_b32_e32 v5, 7, v2
	v_lshrrev_b32_e32 v9, 3, v0
	v_cmp_gt_u32_e32 vcc, 8, v0
	v_ffbh_u32_e32 v0, v5
	v_min_u32_e32 v0, 32, v0
	v_subrev_u32_e32 v40, 28, v0
	v_lshlrev_b64 v[40:41], v40, v[2:3]
	v_sub_u32_e32 v0, 29, v0
	v_and_b32_e32 v40, 7, v40
	v_cndmask_b32_e32 v0, v9, v0, vcc
	v_cndmask_b32_e32 v5, v5, v40, vcc
	v_lshlrev_b32_e32 v9, 24, v2
	v_lshlrev_b32_e32 v5, 20, v5
	v_and_b32_e32 v9, 0x80000000, v9
	v_lshl_add_u32 v0, v0, 23, v54
	v_or3_b32 v5, v9, v0, v5
.LBB4_1685:                             ;   in Loop: Header=BB4_354 Depth=4
	s_or_b64 exec, exec, s[50:51]
.LBB4_1686:                             ;   in Loop: Header=BB4_354 Depth=4
	s_or_b64 exec, exec, s[48:49]
.LBB4_1687:                             ;   in Loop: Header=BB4_354 Depth=4
	s_or_b64 exec, exec, s[38:39]
	v_max_f32_e32 v0, v5, v5
	v_max_f32_e32 v4, v4, v4
	;; [unrolled: 1-line block ×3, first 2 shown]
	s_mov_b64 s[38:39], 0
.LBB4_1688:                             ;   in Loop: Header=BB4_354 Depth=4
	s_and_b64 vcc, exec, s[38:39]
	s_cbranch_vccz .LBB4_1702
; %bb.1689:                             ;   in Loop: Header=BB4_354 Depth=4
	v_mov_b32_e32 v5, 0
	v_mov_b32_e32 v4, 0
	s_and_saveexec_b64 s[38:39], s[40:41]
	s_cbranch_execz .LBB4_1695
; %bb.1690:                             ;   in Loop: Header=BB4_354 Depth=4
	v_cmp_ne_u16_sdwa vcc, v8, s80 src0_sel:BYTE_0 src1_sel:DWORD
	v_bfrev_b32_e32 v4, 1
	s_and_saveexec_b64 s[40:41], vcc
	s_cbranch_execz .LBB4_1694
; %bb.1691:                             ;   in Loop: Header=BB4_354 Depth=4
	v_bfe_u32 v0, v15, 16, 7
	v_cmp_ne_u32_e32 vcc, s81, v0
	v_mov_b32_e32 v4, 0x7f800001
	s_and_saveexec_b64 s[48:49], vcc
	s_cbranch_execz .LBB4_1693
; %bb.1692:                             ;   in Loop: Header=BB4_354 Depth=4
	v_and_b32_e32 v4, 7, v8
	v_lshrrev_b32_e32 v9, 3, v0
	v_cmp_gt_u32_e32 vcc, 8, v0
	v_ffbh_u32_e32 v0, v4
	v_min_u32_e32 v0, 32, v0
	v_subrev_u32_e32 v40, 28, v0
	v_lshlrev_b64 v[40:41], v40, v[8:9]
	v_sub_u32_e32 v0, 29, v0
	v_and_b32_e32 v40, 7, v40
	v_cndmask_b32_e32 v0, v9, v0, vcc
	v_cndmask_b32_e32 v4, v4, v40, vcc
	v_lshlrev_b32_e32 v8, 24, v8
	v_lshlrev_b32_e32 v4, 20, v4
	v_and_b32_e32 v8, 0x80000000, v8
	v_lshl_add_u32 v0, v0, 23, v54
	v_or3_b32 v4, v8, v0, v4
.LBB4_1693:                             ;   in Loop: Header=BB4_354 Depth=4
	s_or_b64 exec, exec, s[48:49]
.LBB4_1694:                             ;   in Loop: Header=BB4_354 Depth=4
	s_or_b64 exec, exec, s[40:41]
.LBB4_1695:                             ;   in Loop: Header=BB4_354 Depth=4
	s_or_b64 exec, exec, s[38:39]
	v_cmp_ne_u16_sdwa vcc, v2, v3 src0_sel:BYTE_0 src1_sel:DWORD
	s_and_saveexec_b64 s[40:41], vcc
	s_cbranch_execz .LBB4_1701
; %bb.1696:                             ;   in Loop: Header=BB4_354 Depth=4
	v_cmp_ne_u16_sdwa vcc, v2, s80 src0_sel:BYTE_0 src1_sel:DWORD
	v_bfrev_b32_e32 v5, 1
	s_and_saveexec_b64 s[38:39], vcc
	s_cbranch_execz .LBB4_1700
; %bb.1697:                             ;   in Loop: Header=BB4_354 Depth=4
	v_bfe_u32 v0, v11, 16, 7
	v_cmp_ne_u32_e32 vcc, s81, v0
	v_mov_b32_e32 v5, 0x7f800001
	s_and_saveexec_b64 s[48:49], vcc
	s_cbranch_execz .LBB4_1699
; %bb.1698:                             ;   in Loop: Header=BB4_354 Depth=4
	v_and_b32_e32 v5, 7, v2
	v_lshrrev_b32_e32 v40, 3, v0
	v_cmp_gt_u32_e32 vcc, 8, v0
	v_ffbh_u32_e32 v0, v5
	v_min_u32_e32 v0, 32, v0
	v_subrev_u32_e32 v8, 28, v0
	v_lshlrev_b64 v[8:9], v8, v[2:3]
	v_sub_u32_e32 v0, 29, v0
	v_and_b32_e32 v8, 7, v8
	v_cndmask_b32_e32 v0, v40, v0, vcc
	v_cndmask_b32_e32 v5, v5, v8, vcc
	v_lshlrev_b32_e32 v2, 24, v2
	v_lshlrev_b32_e32 v5, 20, v5
	v_and_b32_e32 v2, 0x80000000, v2
	v_lshl_add_u32 v0, v0, 23, v54
	v_or3_b32 v5, v2, v0, v5
.LBB4_1699:                             ;   in Loop: Header=BB4_354 Depth=4
	s_or_b64 exec, exec, s[48:49]
.LBB4_1700:                             ;   in Loop: Header=BB4_354 Depth=4
	s_or_b64 exec, exec, s[38:39]
.LBB4_1701:                             ;   in Loop: Header=BB4_354 Depth=4
	s_or_b64 exec, exec, s[40:41]
	v_max_f32_e32 v0, v5, v5
	v_max_f32_e32 v2, v4, v4
	v_min_f32_e32 v4, v2, v0
.LBB4_1702:                             ;   in Loop: Header=BB4_354 Depth=4
	v_and_b32_e32 v2, 0x7f800000, v4
	v_cmp_ne_u64_e32 vcc, s[76:77], v[2:3]
                                        ; implicit-def: $vgpr58
	s_and_saveexec_b64 s[40:41], vcc
	s_xor_b64 s[38:39], exec, s[40:41]
	s_cbranch_execz .LBB4_1716
; %bb.1703:                             ;   in Loop: Header=BB4_354 Depth=4
	v_and_b32_e32 v2, 0x7fffffff, v4
	v_cmp_gt_u64_e32 vcc, s[78:79], v[2:3]
	v_and_b32_sdwa v59, v4, s80 dst_sel:DWORD dst_unused:UNUSED_PAD src0_sel:BYTE_3 src1_sel:DWORD
                                        ; implicit-def: $vgpr58
	s_and_saveexec_b64 s[40:41], vcc
	s_xor_b64 s[48:49], exec, s[40:41]
	s_cbranch_execz .LBB4_1713
; %bb.1704:                             ;   in Loop: Header=BB4_354 Depth=4
	v_mov_b32_e32 v58, 0
	v_cmp_ne_u32_e32 vcc, 0, v4
	s_and_saveexec_b64 s[50:51], vcc
	s_cbranch_execz .LBB4_1712
; %bb.1705:                             ;   in Loop: Header=BB4_354 Depth=4
	v_bfe_u32 v58, v4, 23, 8
	v_cmp_gt_u32_e64 s[40:41], s83, v58
	v_sub_u32_e32 v0, 0x79, v58
	v_and_b32_e32 v2, 0x7fffff, v4
	v_cmp_eq_u32_e32 vcc, 0, v58
	v_cndmask_b32_e64 v0, 0, v0, s[40:41]
	v_mov_b32_e32 v5, 0x78
	v_or_b32_e32 v4, 0x800000, v2
	v_cndmask_b32_e32 v0, v0, v5, vcc
	v_cndmask_b32_e32 v2, v4, v2, vcc
	v_add_u32_e32 v4, 20, v0
	v_lshlrev_b64 v[4:5], v4, -1
	v_add_u32_e32 v8, 19, v0
	v_lshlrev_b64 v[8:9], v8, 1
	v_bfi_b32 v5, v5, 0, 0
	v_bfi_b32 v4, v4, 0, v2
	v_cmp_eq_u64_e64 s[40:41], v[4:5], v[8:9]
	v_lshrrev_b64 v[8:9], v0, v[2:3]
	v_mov_b32_e32 v4, v8
	v_mov_b32_e32 v5, v9
	s_and_saveexec_b64 s[52:53], s[40:41]
; %bb.1706:                             ;   in Loop: Header=BB4_354 Depth=4
	v_bfe_u32 v2, v8, 20, 1
	v_add_co_u32_e64 v2, s[40:41], v8, v2
	v_add_co_u32_e64 v4, s[40:41], -1, v2
; %bb.1707:                             ;   in Loop: Header=BB4_354 Depth=4
	s_or_b64 exec, exec, s[52:53]
	v_add_u32_e32 v2, 0xffffff81, v58
	v_mov_b32_e32 v5, 0xffffff82
	v_cndmask_b32_e32 v2, v2, v5, vcc
	v_lshrrev_b32_e32 v5, 23, v8
	v_add3_u32 v58, v0, v2, v5
	v_add_u32_e32 v5, 6, v58
	v_and_b32_e32 v0, 0xfffff, v4
	v_add_u32_e32 v2, v0, v8
	v_cmp_ne_u32_e32 vcc, 0, v5
                                        ; implicit-def: $vgpr8_vgpr9
                                        ; implicit-def: $vgpr0
	s_and_saveexec_b64 s[40:41], vcc
	s_xor_b64 s[40:41], exec, s[40:41]
; %bb.1708:                             ;   in Loop: Header=BB4_354 Depth=4
	v_cmp_lt_u64_e32 vcc, s[88:89], v[2:3]
	v_add_u32_e32 v0, 7, v58
	v_cndmask_b32_e64 v4, 0, 1, vcc
	v_lshrrev_b64 v[8:9], v4, v[2:3]
	v_cndmask_b32_e32 v0, v5, v0, vcc
; %bb.1709:                             ;   in Loop: Header=BB4_354 Depth=4
	s_andn2_saveexec_b64 s[40:41], s[40:41]
; %bb.1710:                             ;   in Loop: Header=BB4_354 Depth=4
	v_mov_b32_e32 v9, v3
	v_bfe_u32 v0, v2, 23, 1
	v_mov_b32_e32 v8, v2
; %bb.1711:                             ;   in Loop: Header=BB4_354 Depth=4
	s_or_b64 exec, exec, s[40:41]
	v_lshrrev_b64 v[4:5], 20, v[8:9]
	v_cmp_gt_i32_e32 vcc, 16, v0
	v_cndmask_b32_e32 v5, 0, v5, vcc
	v_cndmask_b32_e32 v4, 7, v4, vcc
	v_cmp_eq_u32_e32 vcc, 0, v0
	v_min_i32_e32 v0, 15, v0
	v_cmp_eq_u64_e64 s[40:41], 0, v[4:5]
	v_lshlrev_b32_e32 v0, 3, v0
	v_and_b32_e32 v0, 0xf8, v0
	v_and_or_b32 v0, v4, 7, v0
	s_and_b64 s[40:41], vcc, s[40:41]
	v_cndmask_b32_e64 v0, v0, 0, s[40:41]
	v_or_b32_e32 v58, v0, v59
.LBB4_1712:                             ;   in Loop: Header=BB4_354 Depth=4
	s_or_b64 exec, exec, s[50:51]
                                        ; implicit-def: $vgpr59
.LBB4_1713:                             ;   in Loop: Header=BB4_354 Depth=4
	s_andn2_saveexec_b64 s[40:41], s[48:49]
; %bb.1714:                             ;   in Loop: Header=BB4_354 Depth=4
	v_or_b32_e32 v58, 0x7e, v59
; %bb.1715:                             ;   in Loop: Header=BB4_354 Depth=4
	s_or_b64 exec, exec, s[40:41]
                                        ; implicit-def: $vgpr4
.LBB4_1716:                             ;   in Loop: Header=BB4_354 Depth=4
	s_andn2_saveexec_b64 s[40:41], s[38:39]
; %bb.1717:                             ;   in Loop: Header=BB4_354 Depth=4
	v_or_b32_sdwa v58, v4, s81 dst_sel:DWORD dst_unused:UNUSED_PAD src0_sel:BYTE_3 src1_sel:DWORD
; %bb.1718:                             ;   in Loop: Header=BB4_354 Depth=4
	s_or_b64 exec, exec, s[40:41]
	v_cmp_lt_u64_e64 s[40:41], s[62:63], v[14:15]
	v_lshrrev_b32_e32 v8, 24, v15
	v_lshrrev_b32_e32 v2, 24, v11
	s_and_b64 vcc, exec, s[28:29]
	s_mov_b64 s[28:29], -1
                                        ; implicit-def: $vgpr4
	s_cbranch_vccnz .LBB4_1732
; %bb.1719:                             ;   in Loop: Header=BB4_354 Depth=4
	v_mov_b32_e32 v5, 0
	v_mov_b32_e32 v4, 0
	s_and_saveexec_b64 s[28:29], s[40:41]
	s_cbranch_execz .LBB4_1725
; %bb.1720:                             ;   in Loop: Header=BB4_354 Depth=4
	v_cmp_ne_u32_e32 vcc, s80, v8
	v_bfrev_b32_e32 v4, 1
	s_and_saveexec_b64 s[38:39], vcc
	s_cbranch_execz .LBB4_1724
; %bb.1721:                             ;   in Loop: Header=BB4_354 Depth=4
	v_bfe_u32 v0, v15, 24, 7
	v_cmp_ne_u32_e32 vcc, s81, v0
	v_mov_b32_e32 v4, 0x7f800001
	s_and_saveexec_b64 s[48:49], vcc
	s_cbranch_execz .LBB4_1723
; %bb.1722:                             ;   in Loop: Header=BB4_354 Depth=4
	v_and_b32_e32 v4, 7, v8
	v_lshrrev_b32_e32 v9, 3, v0
	v_cmp_gt_u32_e32 vcc, 8, v0
	v_ffbh_u32_e32 v0, v4
	v_min_u32_e32 v0, 32, v0
	v_subrev_u32_e32 v14, 28, v0
	v_lshlrev_b64 v[40:41], v14, v[8:9]
	v_sub_u32_e32 v0, 29, v0
	v_and_b32_e32 v14, 7, v40
	v_cndmask_b32_e32 v0, v9, v0, vcc
	v_cndmask_b32_e32 v4, v4, v14, vcc
	v_lshlrev_b32_e32 v9, 24, v8
	v_lshlrev_b32_e32 v4, 20, v4
	v_and_b32_e32 v9, 0x80000000, v9
	v_lshl_add_u32 v0, v0, 23, v54
	v_or3_b32 v4, v9, v0, v4
.LBB4_1723:                             ;   in Loop: Header=BB4_354 Depth=4
	s_or_b64 exec, exec, s[48:49]
.LBB4_1724:                             ;   in Loop: Header=BB4_354 Depth=4
	s_or_b64 exec, exec, s[38:39]
.LBB4_1725:                             ;   in Loop: Header=BB4_354 Depth=4
	s_or_b64 exec, exec, s[28:29]
	v_cmp_lt_u64_e32 vcc, s[62:63], v[10:11]
	s_and_saveexec_b64 s[28:29], vcc
	s_cbranch_execz .LBB4_1731
; %bb.1726:                             ;   in Loop: Header=BB4_354 Depth=4
	v_cmp_ne_u32_e32 vcc, s80, v2
	v_bfrev_b32_e32 v5, 1
	s_and_saveexec_b64 s[38:39], vcc
	s_cbranch_execz .LBB4_1730
; %bb.1727:                             ;   in Loop: Header=BB4_354 Depth=4
	v_bfe_u32 v0, v11, 24, 7
	v_cmp_ne_u32_e32 vcc, s81, v0
	v_mov_b32_e32 v5, 0x7f800001
	s_and_saveexec_b64 s[48:49], vcc
	s_cbranch_execz .LBB4_1729
; %bb.1728:                             ;   in Loop: Header=BB4_354 Depth=4
	v_and_b32_e32 v5, 7, v2
	v_lshrrev_b32_e32 v9, 3, v0
	v_cmp_gt_u32_e32 vcc, 8, v0
	v_ffbh_u32_e32 v0, v5
	v_min_u32_e32 v0, 32, v0
	v_subrev_u32_e32 v14, 28, v0
	v_lshlrev_b64 v[40:41], v14, v[2:3]
	v_sub_u32_e32 v0, 29, v0
	v_and_b32_e32 v14, 7, v40
	v_cndmask_b32_e32 v0, v9, v0, vcc
	v_cndmask_b32_e32 v5, v5, v14, vcc
	v_lshlrev_b32_e32 v9, 24, v2
	v_lshlrev_b32_e32 v5, 20, v5
	v_and_b32_e32 v9, 0x80000000, v9
	v_lshl_add_u32 v0, v0, 23, v54
	v_or3_b32 v5, v9, v0, v5
.LBB4_1729:                             ;   in Loop: Header=BB4_354 Depth=4
	s_or_b64 exec, exec, s[48:49]
.LBB4_1730:                             ;   in Loop: Header=BB4_354 Depth=4
	s_or_b64 exec, exec, s[38:39]
.LBB4_1731:                             ;   in Loop: Header=BB4_354 Depth=4
	s_or_b64 exec, exec, s[28:29]
	v_max_f32_e32 v0, v5, v5
	v_max_f32_e32 v4, v4, v4
	;; [unrolled: 1-line block ×3, first 2 shown]
	s_mov_b64 s[28:29], 0
.LBB4_1732:                             ;   in Loop: Header=BB4_354 Depth=4
	s_and_b64 vcc, exec, s[28:29]
	s_cbranch_vccz .LBB4_1746
; %bb.1733:                             ;   in Loop: Header=BB4_354 Depth=4
	v_mov_b32_e32 v5, 0
	v_mov_b32_e32 v4, 0
	s_and_saveexec_b64 s[28:29], s[40:41]
	s_cbranch_execz .LBB4_1739
; %bb.1734:                             ;   in Loop: Header=BB4_354 Depth=4
	v_cmp_ne_u32_e32 vcc, s80, v8
	v_bfrev_b32_e32 v4, 1
	s_and_saveexec_b64 s[40:41], vcc
	s_cbranch_execz .LBB4_1738
; %bb.1735:                             ;   in Loop: Header=BB4_354 Depth=4
	v_bfe_u32 v0, v15, 24, 7
	v_cmp_ne_u32_e32 vcc, s81, v0
	v_mov_b32_e32 v4, 0x7f800001
	s_and_saveexec_b64 s[38:39], vcc
	s_cbranch_execz .LBB4_1737
; %bb.1736:                             ;   in Loop: Header=BB4_354 Depth=4
	v_and_b32_e32 v4, 7, v8
	v_lshrrev_b32_e32 v9, 3, v0
	v_cmp_gt_u32_e32 vcc, 8, v0
	v_ffbh_u32_e32 v0, v4
	v_min_u32_e32 v0, 32, v0
	v_subrev_u32_e32 v14, 28, v0
	v_lshlrev_b64 v[14:15], v14, v[8:9]
	v_sub_u32_e32 v0, 29, v0
	v_and_b32_e32 v14, 7, v14
	v_cndmask_b32_e32 v0, v9, v0, vcc
	v_cndmask_b32_e32 v4, v4, v14, vcc
	v_lshlrev_b32_e32 v8, 24, v8
	v_lshlrev_b32_e32 v4, 20, v4
	v_and_b32_e32 v8, 0x80000000, v8
	v_lshl_add_u32 v0, v0, 23, v54
	v_or3_b32 v4, v8, v0, v4
.LBB4_1737:                             ;   in Loop: Header=BB4_354 Depth=4
	s_or_b64 exec, exec, s[38:39]
.LBB4_1738:                             ;   in Loop: Header=BB4_354 Depth=4
	s_or_b64 exec, exec, s[40:41]
.LBB4_1739:                             ;   in Loop: Header=BB4_354 Depth=4
	s_or_b64 exec, exec, s[28:29]
	v_cmp_lt_u64_e32 vcc, s[62:63], v[10:11]
	s_and_saveexec_b64 s[28:29], vcc
	s_cbranch_execz .LBB4_1745
; %bb.1740:                             ;   in Loop: Header=BB4_354 Depth=4
	v_cmp_ne_u32_e32 vcc, s80, v2
	v_bfrev_b32_e32 v5, 1
	s_and_saveexec_b64 s[40:41], vcc
	s_cbranch_execz .LBB4_1744
; %bb.1741:                             ;   in Loop: Header=BB4_354 Depth=4
	v_bfe_u32 v0, v11, 24, 7
	v_cmp_ne_u32_e32 vcc, s81, v0
	v_mov_b32_e32 v5, 0x7f800001
	s_and_saveexec_b64 s[38:39], vcc
	s_cbranch_execz .LBB4_1743
; %bb.1742:                             ;   in Loop: Header=BB4_354 Depth=4
	v_and_b32_e32 v5, 7, v2
	v_lshrrev_b32_e32 v10, 3, v0
	v_cmp_gt_u32_e32 vcc, 8, v0
	v_ffbh_u32_e32 v0, v5
	v_min_u32_e32 v0, 32, v0
	v_subrev_u32_e32 v8, 28, v0
	v_lshlrev_b64 v[8:9], v8, v[2:3]
	v_sub_u32_e32 v0, 29, v0
	v_and_b32_e32 v8, 7, v8
	v_cndmask_b32_e32 v0, v10, v0, vcc
	v_cndmask_b32_e32 v5, v5, v8, vcc
	v_lshlrev_b32_e32 v2, 24, v2
	v_lshlrev_b32_e32 v5, 20, v5
	v_and_b32_e32 v2, 0x80000000, v2
	v_lshl_add_u32 v0, v0, 23, v54
	v_or3_b32 v5, v2, v0, v5
.LBB4_1743:                             ;   in Loop: Header=BB4_354 Depth=4
	s_or_b64 exec, exec, s[38:39]
.LBB4_1744:                             ;   in Loop: Header=BB4_354 Depth=4
	s_or_b64 exec, exec, s[40:41]
.LBB4_1745:                             ;   in Loop: Header=BB4_354 Depth=4
	s_or_b64 exec, exec, s[28:29]
	v_max_f32_e32 v0, v5, v5
	v_max_f32_e32 v2, v4, v4
	v_min_f32_e32 v4, v2, v0
.LBB4_1746:                             ;   in Loop: Header=BB4_354 Depth=4
	v_and_b32_e32 v2, 0x7f800000, v4
	v_cmp_ne_u64_e32 vcc, s[76:77], v[2:3]
                                        ; implicit-def: $vgpr2
	s_and_saveexec_b64 s[28:29], vcc
	s_xor_b64 s[40:41], exec, s[28:29]
	s_cbranch_execz .LBB4_1760
; %bb.1747:                             ;   in Loop: Header=BB4_354 Depth=4
	v_and_b32_e32 v2, 0x7fffffff, v4
	v_cmp_gt_u64_e32 vcc, s[78:79], v[2:3]
	v_and_b32_sdwa v10, v4, s80 dst_sel:DWORD dst_unused:UNUSED_PAD src0_sel:BYTE_3 src1_sel:DWORD
                                        ; implicit-def: $vgpr2
	s_and_saveexec_b64 s[28:29], vcc
	s_xor_b64 s[38:39], exec, s[28:29]
	s_cbranch_execz .LBB4_1757
; %bb.1748:                             ;   in Loop: Header=BB4_354 Depth=4
	v_mov_b32_e32 v2, 0
	v_cmp_ne_u32_e32 vcc, 0, v4
	s_and_saveexec_b64 s[48:49], vcc
	s_cbranch_execz .LBB4_1756
; %bb.1749:                             ;   in Loop: Header=BB4_354 Depth=4
	v_bfe_u32 v11, v4, 23, 8
	v_cmp_gt_u32_e64 s[28:29], s83, v11
	v_sub_u32_e32 v0, 0x79, v11
	v_and_b32_e32 v2, 0x7fffff, v4
	v_cmp_eq_u32_e32 vcc, 0, v11
	v_cndmask_b32_e64 v0, 0, v0, s[28:29]
	v_mov_b32_e32 v5, 0x78
	v_or_b32_e32 v4, 0x800000, v2
	v_cndmask_b32_e32 v0, v0, v5, vcc
	v_cndmask_b32_e32 v2, v4, v2, vcc
	v_add_u32_e32 v4, 20, v0
	v_lshlrev_b64 v[4:5], v4, -1
	v_add_u32_e32 v8, 19, v0
	v_lshlrev_b64 v[8:9], v8, 1
	v_bfi_b32 v5, v5, 0, 0
	v_bfi_b32 v4, v4, 0, v2
	v_cmp_eq_u64_e64 s[28:29], v[4:5], v[8:9]
	v_lshrrev_b64 v[8:9], v0, v[2:3]
	v_mov_b32_e32 v4, v8
	v_mov_b32_e32 v5, v9
	s_and_saveexec_b64 s[50:51], s[28:29]
; %bb.1750:                             ;   in Loop: Header=BB4_354 Depth=4
	v_bfe_u32 v2, v8, 20, 1
	v_add_co_u32_e64 v2, s[28:29], v8, v2
	v_add_co_u32_e64 v4, s[28:29], -1, v2
; %bb.1751:                             ;   in Loop: Header=BB4_354 Depth=4
	s_or_b64 exec, exec, s[50:51]
	v_add_u32_e32 v2, 0xffffff81, v11
	v_mov_b32_e32 v5, 0xffffff82
	v_cndmask_b32_e32 v2, v2, v5, vcc
	v_lshrrev_b32_e32 v5, 23, v8
	v_add3_u32 v11, v0, v2, v5
	v_add_u32_e32 v5, 6, v11
	v_and_b32_e32 v0, 0xfffff, v4
	v_add_u32_e32 v2, v0, v8
	v_cmp_ne_u32_e32 vcc, 0, v5
                                        ; implicit-def: $vgpr8_vgpr9
                                        ; implicit-def: $vgpr0
	s_and_saveexec_b64 s[28:29], vcc
	s_xor_b64 s[28:29], exec, s[28:29]
; %bb.1752:                             ;   in Loop: Header=BB4_354 Depth=4
	v_cmp_lt_u64_e32 vcc, s[88:89], v[2:3]
	v_add_u32_e32 v0, 7, v11
	v_cndmask_b32_e64 v4, 0, 1, vcc
	v_lshrrev_b64 v[8:9], v4, v[2:3]
	v_cndmask_b32_e32 v0, v5, v0, vcc
; %bb.1753:                             ;   in Loop: Header=BB4_354 Depth=4
	s_andn2_saveexec_b64 s[28:29], s[28:29]
; %bb.1754:                             ;   in Loop: Header=BB4_354 Depth=4
	v_mov_b32_e32 v9, v3
	v_bfe_u32 v0, v2, 23, 1
	v_mov_b32_e32 v8, v2
; %bb.1755:                             ;   in Loop: Header=BB4_354 Depth=4
	s_or_b64 exec, exec, s[28:29]
	v_lshrrev_b64 v[4:5], 20, v[8:9]
	v_cmp_gt_i32_e32 vcc, 16, v0
	v_cndmask_b32_e32 v5, 0, v5, vcc
	v_cndmask_b32_e32 v4, 7, v4, vcc
	v_cmp_eq_u32_e32 vcc, 0, v0
	v_min_i32_e32 v0, 15, v0
	v_cmp_eq_u64_e64 s[28:29], 0, v[4:5]
	v_lshlrev_b32_e32 v0, 3, v0
	v_and_b32_e32 v0, 0xf8, v0
	v_and_or_b32 v0, v4, 7, v0
	s_and_b64 s[28:29], vcc, s[28:29]
	v_cndmask_b32_e64 v0, v0, 0, s[28:29]
	v_or_b32_e32 v2, v0, v10
.LBB4_1756:                             ;   in Loop: Header=BB4_354 Depth=4
	s_or_b64 exec, exec, s[48:49]
                                        ; implicit-def: $vgpr10
.LBB4_1757:                             ;   in Loop: Header=BB4_354 Depth=4
	s_andn2_saveexec_b64 s[28:29], s[38:39]
; %bb.1758:                             ;   in Loop: Header=BB4_354 Depth=4
	v_or_b32_e32 v2, 0x7e, v10
; %bb.1759:                             ;   in Loop: Header=BB4_354 Depth=4
	s_or_b64 exec, exec, s[28:29]
                                        ; implicit-def: $vgpr4
.LBB4_1760:                             ;   in Loop: Header=BB4_354 Depth=4
	s_andn2_saveexec_b64 s[28:29], s[40:41]
	s_cbranch_execz .LBB4_353
; %bb.1761:                             ;   in Loop: Header=BB4_354 Depth=4
	v_or_b32_sdwa v2, v4, s81 dst_sel:DWORD dst_unused:UNUSED_PAD src0_sel:BYTE_3 src1_sel:DWORD
	s_branch .LBB4_353
.LBB4_1762:                             ;   in Loop: Header=BB4_272 Depth=3
	s_or_b64 exec, exec, s[44:45]
	buffer_load_dword v30, off, s[0:3], s33 offset:64 ; 4-byte Folded Reload
	buffer_load_dword v20, off, s[0:3], s33 offset:188 ; 4-byte Folded Reload
	;; [unrolled: 1-line block ×6, first 2 shown]
.LBB4_1763:                             ;   in Loop: Header=BB4_272 Depth=3
	s_or_b64 exec, exec, s[42:43]
	s_waitcnt vmcnt(0)
	v_lshlrev_b32_e32 v25, 11, v1
	v_cmp_ne_u32_e32 vcc, v21, v25
	s_mov_b64 s[28:29], 0
	v_mov_b32_e32 v1, 0
                                        ; implicit-def: $vgpr7
                                        ; implicit-def: $vgpr16
	s_and_saveexec_b64 s[38:39], vcc
	s_cbranch_execz .LBB4_2473
; %bb.1764:                             ;   in Loop: Header=BB4_272 Depth=3
	buffer_load_dword v1, off, s[0:3], s33 offset:196 ; 4-byte Folded Reload
	v_lshlrev_b32_e32 v0, 6, v53
	v_sub_u32_e32 v2, v21, v25
	v_mov_b32_e32 v42, v21
	s_waitcnt vmcnt(0)
	v_sub_u32_e32 v0, v1, v0
	v_ashrrev_i32_e32 v1, 31, v0
	v_lshrrev_b32_e32 v1, 26, v1
	v_add_u32_e32 v1, v0, v1
	v_ashrrev_i32_e32 v4, 6, v1
	v_and_b32_e32 v1, 0xffffffc0, v1
	v_sub_u32_e32 v26, v0, v1
	v_ashrrev_i32_e32 v1, 31, v2
	v_lshrrev_b32_e32 v1, 22, v1
	v_add_u32_e32 v1, v2, v1
	v_ashrrev_i32_e32 v5, 10, v1
	v_and_b32_e32 v1, 0xfffffc00, v1
	v_lshlrev_b32_e32 v0, 4, v26
	v_sub_u32_e32 v7, v2, v1
	v_lshl_add_u32 v0, v4, 10, v0
	v_cmp_lt_i32_e64 s[28:29], 15, v7
	v_sub_u32_e32 v28, v2, v0
	v_addc_co_u32_e64 v2, vcc, 0, v5, s[28:29]
	v_sub_u32_e32 v27, v2, v4
	v_cmp_lt_i32_e32 vcc, 15, v28
	s_and_saveexec_b64 s[48:49], vcc
	s_cbranch_execz .LBB4_2472
; %bb.1765:                             ;   in Loop: Header=BB4_272 Depth=3
	v_add_u32_e32 v0, v0, v25
	s_trap 2
	ds_read_b64 v[4:5], v0
	v_mov_b32_e32 v8, v58
	v_ashrrev_i32_e32 v2, 31, v0
	v_mov_b32_e32 v9, v59
	v_add_co_u32_e32 v16, vcc, v0, v8
	v_addc_co_u32_e32 v17, vcc, v2, v9, vcc
	s_waitcnt lgkmcnt(0)
	v_add_co_u32_e32 v18, vcc, v4, v0
	v_addc_co_u32_e32 v19, vcc, v5, v2, vcc
	buffer_load_dword v4, off, s[0:3], s33 offset:172 ; 4-byte Folded Reload
	buffer_load_dword v5, off, s[0:3], s33 offset:176 ; 4-byte Folded Reload
	s_bitcmp1_b32 s84, 0
	s_mov_b64 s[50:51], 0
	s_cselect_b64 s[52:53], -1, 0
	s_waitcnt vmcnt(1)
	v_add_co_u32_e32 v20, vcc, v0, v4
	s_waitcnt vmcnt(0)
	v_addc_co_u32_e32 v21, vcc, v2, v5, vcc
	s_branch .LBB4_1767
.LBB4_1766:                             ;   in Loop: Header=BB4_1767 Depth=4
	s_or_b64 exec, exec, s[40:41]
	v_lshl_or_b32 v0, v34, 8, v24
	v_lshlrev_b32_e32 v4, 16, v22
	v_lshlrev_b32_e32 v5, 24, v23
	v_or3_b32 v9, v0, v4, v5
	v_lshl_or_b32 v0, v30, 8, v29
	buffer_load_dword v30, off, s[0:3], s33 offset:64 ; 4-byte Folded Reload
	v_lshlrev_b32_e32 v4, 16, v31
	v_lshlrev_b32_e32 v5, 24, v6
	v_or3_b32 v8, v0, v4, v5
	v_lshl_or_b32 v0, v36, 8, v35
	v_lshlrev_b32_e32 v4, 16, v37
	v_lshlrev_b32_e32 v5, 24, v53
	v_or3_b32 v10, v0, v4, v5
	v_lshlrev_b32_e32 v0, 24, v2
	v_lshlrev_b32_e32 v2, 16, v50
	v_lshl_or_b32 v4, v12, 8, v13
	v_or3_b32 v11, v4, v2, v0
	global_store_dwordx4 v[20:21], v[8:11], off glc slc
	v_sub_u32_e32 v27, v27, v57
	s_waitcnt vmcnt(1)
	v_add_co_u32_e32 v16, vcc, v16, v30
	v_addc_co_u32_e32 v17, vcc, 0, v17, vcc
	v_add_co_u32_e32 v18, vcc, v18, v30
	v_addc_co_u32_e32 v19, vcc, 0, v19, vcc
	v_add_co_u32_e32 v20, vcc, v20, v30
	v_addc_co_u32_e32 v21, vcc, 0, v21, vcc
	v_sub_u32_e32 v28, v28, v30
	v_cmp_gt_i32_e32 vcc, 16, v28
	s_or_b64 s[50:51], vcc, s[50:51]
	s_andn2_b64 exec, exec, s[50:51]
	s_cbranch_execz .LBB4_2471
.LBB4_1767:                             ;   Parent Loop BB4_47 Depth=1
                                        ;     Parent Loop BB4_269 Depth=2
                                        ;       Parent Loop BB4_272 Depth=3
                                        ; =>      This Inner Loop Header: Depth=4
	global_load_dwordx4 v[8:11], v[16:17], off glc slc
	global_load_dwordx4 v[12:15], v[18:19], off glc slc
	s_mov_b64 s[44:45], -1
	s_waitcnt vmcnt(1)
	v_cmp_ne_u16_sdwa s[42:43], v8, v3 src0_sel:BYTE_0 src1_sel:DWORD
	s_waitcnt vmcnt(0)
	v_and_b32_e32 v0, 7, v12
	v_ffbh_u32_e32 v0, v0
	v_and_b32_e32 v2, 0x7f, v12
	v_min_u32_e32 v0, 32, v0
	v_cmp_eq_u32_e64 s[40:41], s81, v2
	v_cmp_gt_u32_e32 vcc, 8, v2
	v_subrev_u32_e32 v2, 28, v0
	v_bfe_u32 v4, v12, 3, 4
	v_sub_u32_e32 v0, 29, v0
	v_cndmask_b32_e32 v2, 0, v2, vcc
	v_cndmask_b32_e32 v0, v4, v0, vcc
	v_lshlrev_b64 v[4:5], v2, v[12:13]
	v_lshl_add_u32 v0, v0, 23, v54
	v_lshlrev_b32_e32 v2, 20, v4
	v_lshlrev_b32_e32 v4, 24, v12
	v_and_b32_e32 v2, 0x700000, v2
	v_and_b32_e32 v4, 0x80000000, v4
	v_or3_b32 v2, v4, v0, v2
	s_and_b64 vcc, exec, s[52:53]
                                        ; implicit-def: $vgpr4
	s_cbranch_vccz .LBB4_1781
; %bb.1768:                             ;   in Loop: Header=BB4_1767 Depth=4
	v_mov_b32_e32 v4, 0
	s_and_saveexec_b64 s[44:45], s[42:43]
	s_cbranch_execz .LBB4_1774
; %bb.1769:                             ;   in Loop: Header=BB4_1767 Depth=4
	v_cmp_ne_u16_sdwa vcc, v8, s80 src0_sel:BYTE_0 src1_sel:DWORD
	v_bfrev_b32_e32 v4, 1
	s_and_saveexec_b64 s[46:47], vcc
	s_cbranch_execz .LBB4_1773
; %bb.1770:                             ;   in Loop: Header=BB4_1767 Depth=4
	v_and_b32_e32 v0, 0x7f, v8
	v_cmp_ne_u32_e32 vcc, s81, v0
	v_mov_b32_e32 v4, 0x7f800001
	s_and_saveexec_b64 s[54:55], vcc
	s_cbranch_execz .LBB4_1772
; %bb.1771:                             ;   in Loop: Header=BB4_1767 Depth=4
	v_and_b32_e32 v4, 7, v8
	v_lshrrev_b32_e32 v5, 3, v0
	v_cmp_gt_u32_e32 vcc, 8, v0
	v_ffbh_u32_e32 v0, v4
	v_min_u32_e32 v0, 32, v0
	v_subrev_u32_e32 v4, 28, v0
	v_sub_u32_e32 v0, 29, v0
	v_cndmask_b32_e32 v4, 0, v4, vcc
	v_cndmask_b32_e32 v0, v5, v0, vcc
	v_lshlrev_b64 v[4:5], v4, v[8:9]
	v_lshlrev_b32_e32 v5, 24, v8
	v_lshlrev_b32_e32 v4, 20, v4
	v_and_b32_e32 v4, 0x700000, v4
	v_and_b32_e32 v5, 0x80000000, v5
	v_lshl_add_u32 v0, v0, 23, v54
	v_or3_b32 v4, v5, v0, v4
.LBB4_1772:                             ;   in Loop: Header=BB4_1767 Depth=4
	s_or_b64 exec, exec, s[54:55]
.LBB4_1773:                             ;   in Loop: Header=BB4_1767 Depth=4
	s_or_b64 exec, exec, s[46:47]
.LBB4_1774:                             ;   in Loop: Header=BB4_1767 Depth=4
	s_or_b64 exec, exec, s[44:45]
	v_cmp_gt_i16_sdwa s[46:47], v12, s81 src0_sel:BYTE_0 src1_sel:DWORD
	s_mov_b64 s[44:45], 0
	s_and_saveexec_b64 vcc, s[46:47]
	s_xor_b64 s[46:47], exec, vcc
	s_cbranch_execz .LBB4_2423
; %bb.1775:                             ;   in Loop: Header=BB4_1767 Depth=4
	v_cmp_eq_u16_sdwa s[54:55], v12, s80 src0_sel:BYTE_0 src1_sel:DWORD
	s_mov_b64 s[44:45], -1
	s_and_saveexec_b64 vcc, s[54:55]
; %bb.1776:                             ;   in Loop: Header=BB4_1767 Depth=4
	s_xor_b64 s[44:45], exec, -1
; %bb.1777:                             ;   in Loop: Header=BB4_1767 Depth=4
	s_or_b64 exec, exec, vcc
	s_and_b64 s[44:45], s[44:45], exec
	s_or_saveexec_b64 s[46:47], s[46:47]
	v_bfrev_b32_e32 v0, 1
	s_xor_b64 exec, exec, s[46:47]
	s_cbranch_execnz .LBB4_2424
.LBB4_1778:                             ;   in Loop: Header=BB4_1767 Depth=4
	s_or_b64 exec, exec, s[46:47]
	s_and_saveexec_b64 s[46:47], s[44:45]
.LBB4_1779:                             ;   in Loop: Header=BB4_1767 Depth=4
	v_mov_b32_e32 v0, 0x7f800001
	v_cndmask_b32_e64 v0, v2, v0, s[40:41]
.LBB4_1780:                             ;   in Loop: Header=BB4_1767 Depth=4
	s_or_b64 exec, exec, s[46:47]
	v_max_f32_e32 v0, v0, v0
	v_max_f32_e32 v4, v4, v4
	;; [unrolled: 1-line block ×3, first 2 shown]
	s_mov_b64 s[44:45], 0
.LBB4_1781:                             ;   in Loop: Header=BB4_1767 Depth=4
	s_and_b64 vcc, exec, s[44:45]
	s_cbranch_vccz .LBB4_1795
; %bb.1782:                             ;   in Loop: Header=BB4_1767 Depth=4
	v_mov_b32_e32 v4, 0
	s_and_saveexec_b64 s[44:45], s[42:43]
	s_cbranch_execz .LBB4_1788
; %bb.1783:                             ;   in Loop: Header=BB4_1767 Depth=4
	v_cmp_ne_u16_sdwa s[46:47], v8, s80 src0_sel:BYTE_0 src1_sel:DWORD
	v_bfrev_b32_e32 v4, 1
	s_and_saveexec_b64 s[42:43], s[46:47]
	s_cbranch_execz .LBB4_1787
; %bb.1784:                             ;   in Loop: Header=BB4_1767 Depth=4
	v_and_b32_e32 v0, 0x7f, v8
	v_cmp_ne_u32_e32 vcc, s81, v0
	v_mov_b32_e32 v4, 0x7f800001
	s_and_saveexec_b64 s[46:47], vcc
	s_cbranch_execz .LBB4_1786
; %bb.1785:                             ;   in Loop: Header=BB4_1767 Depth=4
	v_and_b32_e32 v4, 7, v8
	v_lshrrev_b32_e32 v5, 3, v0
	v_cmp_gt_u32_e32 vcc, 8, v0
	v_ffbh_u32_e32 v0, v4
	v_min_u32_e32 v0, 32, v0
	v_subrev_u32_e32 v4, 28, v0
	v_sub_u32_e32 v0, 29, v0
	v_cndmask_b32_e32 v4, 0, v4, vcc
	v_cndmask_b32_e32 v0, v5, v0, vcc
	v_lshlrev_b64 v[4:5], v4, v[8:9]
	v_lshlrev_b32_e32 v5, 24, v8
	v_lshlrev_b32_e32 v4, 20, v4
	v_and_b32_e32 v4, 0x700000, v4
	v_and_b32_e32 v5, 0x80000000, v5
	v_lshl_add_u32 v0, v0, 23, v54
	v_or3_b32 v4, v5, v0, v4
.LBB4_1786:                             ;   in Loop: Header=BB4_1767 Depth=4
	s_or_b64 exec, exec, s[46:47]
.LBB4_1787:                             ;   in Loop: Header=BB4_1767 Depth=4
	s_or_b64 exec, exec, s[42:43]
.LBB4_1788:                             ;   in Loop: Header=BB4_1767 Depth=4
	s_or_b64 exec, exec, s[44:45]
	v_cmp_gt_i16_sdwa s[44:45], v12, s81 src0_sel:BYTE_0 src1_sel:DWORD
	s_mov_b64 s[42:43], 0
	s_and_saveexec_b64 s[46:47], s[44:45]
	s_xor_b64 s[44:45], exec, s[46:47]
	s_cbranch_execz .LBB4_2425
; %bb.1789:                             ;   in Loop: Header=BB4_1767 Depth=4
	v_cmp_eq_u16_sdwa vcc, v12, s80 src0_sel:BYTE_0 src1_sel:DWORD
	s_mov_b64 s[42:43], -1
	s_and_saveexec_b64 s[46:47], vcc
; %bb.1790:                             ;   in Loop: Header=BB4_1767 Depth=4
	s_xor_b64 s[42:43], exec, -1
; %bb.1791:                             ;   in Loop: Header=BB4_1767 Depth=4
	s_or_b64 exec, exec, s[46:47]
	s_and_b64 s[42:43], s[42:43], exec
	s_or_saveexec_b64 s[44:45], s[44:45]
	v_bfrev_b32_e32 v0, 1
	s_xor_b64 exec, exec, s[44:45]
	s_cbranch_execnz .LBB4_2426
.LBB4_1792:                             ;   in Loop: Header=BB4_1767 Depth=4
	s_or_b64 exec, exec, s[44:45]
	s_and_saveexec_b64 s[44:45], s[42:43]
.LBB4_1793:                             ;   in Loop: Header=BB4_1767 Depth=4
	v_mov_b32_e32 v0, 0x7f800001
	v_cndmask_b32_e64 v0, v2, v0, s[40:41]
.LBB4_1794:                             ;   in Loop: Header=BB4_1767 Depth=4
	s_or_b64 exec, exec, s[44:45]
	v_max_f32_e32 v0, v0, v0
	v_max_f32_e32 v2, v4, v4
	v_min_f32_e32 v4, v2, v0
.LBB4_1795:                             ;   in Loop: Header=BB4_1767 Depth=4
	v_and_b32_e32 v2, 0x7f800000, v4
	v_cmp_ne_u64_e32 vcc, s[76:77], v[2:3]
                                        ; implicit-def: $vgpr29
	s_and_saveexec_b64 s[40:41], vcc
	s_xor_b64 s[42:43], exec, s[40:41]
	s_cbranch_execz .LBB4_1809
; %bb.1796:                             ;   in Loop: Header=BB4_1767 Depth=4
	v_and_b32_e32 v2, 0x7fffffff, v4
	v_cmp_gt_u64_e32 vcc, s[78:79], v[2:3]
	v_and_b32_sdwa v6, v4, s80 dst_sel:DWORD dst_unused:UNUSED_PAD src0_sel:BYTE_3 src1_sel:DWORD
                                        ; implicit-def: $vgpr29
	s_and_saveexec_b64 s[40:41], vcc
	s_xor_b64 s[44:45], exec, s[40:41]
	s_cbranch_execz .LBB4_1806
; %bb.1797:                             ;   in Loop: Header=BB4_1767 Depth=4
	v_mov_b32_e32 v29, 0
	v_cmp_ne_u32_e32 vcc, 0, v4
	s_and_saveexec_b64 s[46:47], vcc
	s_cbranch_execz .LBB4_1805
; %bb.1798:                             ;   in Loop: Header=BB4_1767 Depth=4
	v_bfe_u32 v24, v4, 23, 8
	v_cmp_gt_u32_e64 s[40:41], s83, v24
	v_sub_u32_e32 v0, 0x79, v24
	v_and_b32_e32 v2, 0x7fffff, v4
	v_cmp_eq_u32_e32 vcc, 0, v24
	v_cndmask_b32_e64 v0, 0, v0, s[40:41]
	v_mov_b32_e32 v5, 0x78
	v_or_b32_e32 v4, 0x800000, v2
	v_cndmask_b32_e32 v0, v0, v5, vcc
	v_cndmask_b32_e32 v2, v4, v2, vcc
	v_add_u32_e32 v4, 20, v0
	v_lshlrev_b64 v[4:5], v4, -1
	v_add_u32_e32 v22, 19, v0
	v_lshlrev_b64 v[22:23], v22, 1
	v_bfi_b32 v5, v5, 0, 0
	v_bfi_b32 v4, v4, 0, v2
	v_cmp_eq_u64_e64 s[40:41], v[4:5], v[22:23]
	v_lshrrev_b64 v[22:23], v0, v[2:3]
	v_mov_b32_e32 v4, v22
	v_mov_b32_e32 v5, v23
	s_and_saveexec_b64 s[54:55], s[40:41]
; %bb.1799:                             ;   in Loop: Header=BB4_1767 Depth=4
	v_bfe_u32 v2, v22, 20, 1
	v_add_co_u32_e64 v2, s[40:41], v22, v2
	v_add_co_u32_e64 v4, s[40:41], -1, v2
; %bb.1800:                             ;   in Loop: Header=BB4_1767 Depth=4
	s_or_b64 exec, exec, s[54:55]
	v_add_u32_e32 v2, 0xffffff81, v24
	v_mov_b32_e32 v5, 0xffffff82
	v_cndmask_b32_e32 v2, v2, v5, vcc
	v_lshrrev_b32_e32 v5, 23, v22
	v_add3_u32 v5, v0, v2, v5
	v_add_u32_e32 v0, 6, v5
	v_and_b32_e32 v2, 0xfffff, v4
	v_add_u32_e32 v2, v2, v22
	v_cmp_ne_u32_e32 vcc, 0, v0
                                        ; implicit-def: $vgpr22_vgpr23
                                        ; implicit-def: $vgpr4
	s_and_saveexec_b64 s[40:41], vcc
	s_xor_b64 s[40:41], exec, s[40:41]
; %bb.1801:                             ;   in Loop: Header=BB4_1767 Depth=4
	v_cmp_lt_u64_e32 vcc, s[88:89], v[2:3]
	v_add_u32_e32 v4, 7, v5
	v_cndmask_b32_e32 v4, v0, v4, vcc
	v_cndmask_b32_e64 v0, 0, 1, vcc
	v_lshrrev_b64 v[22:23], v0, v[2:3]
; %bb.1802:                             ;   in Loop: Header=BB4_1767 Depth=4
	s_andn2_saveexec_b64 s[40:41], s[40:41]
; %bb.1803:                             ;   in Loop: Header=BB4_1767 Depth=4
	v_mov_b32_e32 v23, v3
	v_bfe_u32 v4, v2, 23, 1
	v_mov_b32_e32 v22, v2
; %bb.1804:                             ;   in Loop: Header=BB4_1767 Depth=4
	s_or_b64 exec, exec, s[40:41]
	v_lshrrev_b64 v[22:23], 20, v[22:23]
	v_cmp_gt_i32_e32 vcc, 16, v4
	v_cndmask_b32_e32 v23, 0, v23, vcc
	v_cndmask_b32_e32 v22, 7, v22, vcc
	v_min_i32_e32 v0, 15, v4
	v_cmp_eq_u64_e64 s[40:41], 0, v[22:23]
	v_lshlrev_b32_e32 v0, 3, v0
	v_cmp_eq_u32_e32 vcc, 0, v4
	v_and_b32_e32 v0, 0xf8, v0
	v_and_or_b32 v0, v22, 7, v0
	s_and_b64 s[40:41], vcc, s[40:41]
	v_cndmask_b32_e64 v0, v0, 0, s[40:41]
	v_or_b32_e32 v29, v0, v6
.LBB4_1805:                             ;   in Loop: Header=BB4_1767 Depth=4
	s_or_b64 exec, exec, s[46:47]
                                        ; implicit-def: $vgpr6
.LBB4_1806:                             ;   in Loop: Header=BB4_1767 Depth=4
	s_andn2_saveexec_b64 s[40:41], s[44:45]
; %bb.1807:                             ;   in Loop: Header=BB4_1767 Depth=4
	v_or_b32_e32 v29, 0x7e, v6
; %bb.1808:                             ;   in Loop: Header=BB4_1767 Depth=4
	s_or_b64 exec, exec, s[40:41]
                                        ; implicit-def: $vgpr4
.LBB4_1809:                             ;   in Loop: Header=BB4_1767 Depth=4
	s_andn2_saveexec_b64 s[40:41], s[42:43]
; %bb.1810:                             ;   in Loop: Header=BB4_1767 Depth=4
	v_or_b32_sdwa v29, v4, s81 dst_sel:DWORD dst_unused:UNUSED_PAD src0_sel:BYTE_3 src1_sel:DWORD
; %bb.1811:                             ;   in Loop: Header=BB4_1767 Depth=4
	s_or_b64 exec, exec, s[40:41]
	v_lshrrev_b16_e32 v2, 8, v12
	v_and_b32_e32 v0, 7, v2
	v_and_b32_e32 v4, 0x7f, v2
	v_cmp_eq_u32_e64 s[40:41], s81, v4
	v_cmp_gt_u32_e32 vcc, 8, v4
	v_ffbh_u32_e32 v4, v0
	v_min_u32_e32 v22, 32, v4
	v_subrev_u32_e32 v4, 28, v22
	v_lshlrev_b64 v[4:5], v4, v[2:3]
	v_bfe_u32 v6, v2, 3, 4
	v_sub_u32_e32 v5, 29, v22
	v_and_b32_e32 v4, 7, v4
	v_cndmask_b32_e32 v5, v6, v5, vcc
	v_cndmask_b32_e32 v0, v0, v4, vcc
	v_lshlrev_b32_e32 v4, 24, v2
	v_lshlrev_b32_e32 v0, 20, v0
	v_and_b32_e32 v4, 0x80000000, v4
	v_lshl_add_u32 v5, v5, 23, v54
	v_lshrrev_b16_e32 v22, 8, v8
	v_or3_b32 v4, v4, v5, v0
	v_cmp_ne_u16_e64 s[42:43], 0, v22
	s_mov_b64 s[44:45], -1
	s_and_b64 vcc, exec, s[52:53]
                                        ; implicit-def: $vgpr5
	s_cbranch_vccz .LBB4_1825
; %bb.1812:                             ;   in Loop: Header=BB4_1767 Depth=4
	v_mov_b32_e32 v5, 0
	s_and_saveexec_b64 s[44:45], s[42:43]
	s_cbranch_execz .LBB4_1818
; %bb.1813:                             ;   in Loop: Header=BB4_1767 Depth=4
	v_cmp_ne_u16_e32 vcc, s80, v22
	v_bfrev_b32_e32 v5, 1
	s_and_saveexec_b64 s[46:47], vcc
	s_cbranch_execz .LBB4_1817
; %bb.1814:                             ;   in Loop: Header=BB4_1767 Depth=4
	v_and_b32_e32 v0, 0x7f, v22
	v_cmp_ne_u32_e32 vcc, s81, v0
	v_mov_b32_e32 v5, 0x7f800001
	s_and_saveexec_b64 s[54:55], vcc
	s_cbranch_execz .LBB4_1816
; %bb.1815:                             ;   in Loop: Header=BB4_1767 Depth=4
	v_and_b32_e32 v23, 7, v22
	v_lshrrev_b32_e32 v24, 3, v0
	v_cmp_gt_u32_e32 vcc, 8, v0
	v_ffbh_u32_e32 v0, v23
	v_min_u32_e32 v0, 32, v0
	v_subrev_u32_e32 v5, 28, v0
	v_lshlrev_b64 v[5:6], v5, v[22:23]
	v_sub_u32_e32 v0, 29, v0
	v_and_b32_e32 v5, 7, v5
	v_cndmask_b32_e32 v0, v24, v0, vcc
	v_cndmask_b32_e32 v5, v23, v5, vcc
	v_lshlrev_b32_e32 v6, 16, v8
	v_lshlrev_b32_e32 v5, 20, v5
	v_and_b32_e32 v6, 0x80000000, v6
	v_lshl_add_u32 v0, v0, 23, v54
	v_or3_b32 v5, v6, v0, v5
.LBB4_1816:                             ;   in Loop: Header=BB4_1767 Depth=4
	s_or_b64 exec, exec, s[54:55]
.LBB4_1817:                             ;   in Loop: Header=BB4_1767 Depth=4
	s_or_b64 exec, exec, s[46:47]
.LBB4_1818:                             ;   in Loop: Header=BB4_1767 Depth=4
	s_or_b64 exec, exec, s[44:45]
	v_cmp_lt_i16_e32 vcc, s81, v2
	s_mov_b64 s[44:45], 0
	s_and_saveexec_b64 s[46:47], vcc
	s_xor_b64 s[46:47], exec, s[46:47]
	s_cbranch_execz .LBB4_2427
; %bb.1819:                             ;   in Loop: Header=BB4_1767 Depth=4
	v_cmp_eq_u16_e32 vcc, s80, v2
	s_mov_b64 s[44:45], -1
	s_and_saveexec_b64 s[54:55], vcc
; %bb.1820:                             ;   in Loop: Header=BB4_1767 Depth=4
	s_xor_b64 s[44:45], exec, -1
; %bb.1821:                             ;   in Loop: Header=BB4_1767 Depth=4
	s_or_b64 exec, exec, s[54:55]
	s_and_b64 s[44:45], s[44:45], exec
	s_or_saveexec_b64 s[46:47], s[46:47]
	v_bfrev_b32_e32 v0, 1
	s_xor_b64 exec, exec, s[46:47]
	s_cbranch_execnz .LBB4_2428
.LBB4_1822:                             ;   in Loop: Header=BB4_1767 Depth=4
	s_or_b64 exec, exec, s[46:47]
	s_and_saveexec_b64 s[46:47], s[44:45]
.LBB4_1823:                             ;   in Loop: Header=BB4_1767 Depth=4
	v_mov_b32_e32 v0, 0x7f800001
	v_cndmask_b32_e64 v0, v4, v0, s[40:41]
.LBB4_1824:                             ;   in Loop: Header=BB4_1767 Depth=4
	s_or_b64 exec, exec, s[46:47]
	v_max_f32_e32 v0, v0, v0
	v_max_f32_e32 v5, v5, v5
	;; [unrolled: 1-line block ×3, first 2 shown]
	s_mov_b64 s[44:45], 0
.LBB4_1825:                             ;   in Loop: Header=BB4_1767 Depth=4
	s_and_b64 vcc, exec, s[44:45]
	s_cbranch_vccz .LBB4_1839
; %bb.1826:                             ;   in Loop: Header=BB4_1767 Depth=4
	v_mov_b32_e32 v5, 0
	s_and_saveexec_b64 s[44:45], s[42:43]
	s_cbranch_execz .LBB4_1832
; %bb.1827:                             ;   in Loop: Header=BB4_1767 Depth=4
	v_cmp_ne_u16_e32 vcc, s80, v22
	v_bfrev_b32_e32 v5, 1
	s_and_saveexec_b64 s[42:43], vcc
	s_cbranch_execz .LBB4_1831
; %bb.1828:                             ;   in Loop: Header=BB4_1767 Depth=4
	v_and_b32_e32 v0, 0x7f, v22
	v_cmp_ne_u32_e32 vcc, s81, v0
	v_mov_b32_e32 v5, 0x7f800001
	s_and_saveexec_b64 s[46:47], vcc
	s_cbranch_execz .LBB4_1830
; %bb.1829:                             ;   in Loop: Header=BB4_1767 Depth=4
	v_and_b32_e32 v23, 7, v22
	v_lshrrev_b32_e32 v24, 3, v0
	v_cmp_gt_u32_e32 vcc, 8, v0
	v_ffbh_u32_e32 v0, v23
	v_min_u32_e32 v0, 32, v0
	v_subrev_u32_e32 v5, 28, v0
	v_lshlrev_b64 v[5:6], v5, v[22:23]
	v_sub_u32_e32 v0, 29, v0
	v_and_b32_e32 v5, 7, v5
	v_cndmask_b32_e32 v0, v24, v0, vcc
	v_cndmask_b32_e32 v5, v23, v5, vcc
	v_lshlrev_b32_e32 v6, 16, v8
	v_lshlrev_b32_e32 v5, 20, v5
	v_and_b32_e32 v6, 0x80000000, v6
	v_lshl_add_u32 v0, v0, 23, v54
	v_or3_b32 v5, v6, v0, v5
.LBB4_1830:                             ;   in Loop: Header=BB4_1767 Depth=4
	s_or_b64 exec, exec, s[46:47]
.LBB4_1831:                             ;   in Loop: Header=BB4_1767 Depth=4
	s_or_b64 exec, exec, s[42:43]
.LBB4_1832:                             ;   in Loop: Header=BB4_1767 Depth=4
	s_or_b64 exec, exec, s[44:45]
	v_cmp_lt_i16_e32 vcc, s81, v2
	s_mov_b64 s[42:43], 0
	s_and_saveexec_b64 s[44:45], vcc
	s_xor_b64 s[44:45], exec, s[44:45]
	s_cbranch_execz .LBB4_2429
; %bb.1833:                             ;   in Loop: Header=BB4_1767 Depth=4
	v_cmp_eq_u16_e32 vcc, s80, v2
	s_mov_b64 s[42:43], -1
	s_and_saveexec_b64 s[46:47], vcc
; %bb.1834:                             ;   in Loop: Header=BB4_1767 Depth=4
	s_xor_b64 s[42:43], exec, -1
; %bb.1835:                             ;   in Loop: Header=BB4_1767 Depth=4
	s_or_b64 exec, exec, s[46:47]
	s_and_b64 s[42:43], s[42:43], exec
	s_or_saveexec_b64 s[44:45], s[44:45]
	v_bfrev_b32_e32 v0, 1
	s_xor_b64 exec, exec, s[44:45]
	s_cbranch_execnz .LBB4_2430
.LBB4_1836:                             ;   in Loop: Header=BB4_1767 Depth=4
	s_or_b64 exec, exec, s[44:45]
	s_and_saveexec_b64 s[44:45], s[42:43]
.LBB4_1837:                             ;   in Loop: Header=BB4_1767 Depth=4
	v_mov_b32_e32 v0, 0x7f800001
	v_cndmask_b32_e64 v0, v4, v0, s[40:41]
.LBB4_1838:                             ;   in Loop: Header=BB4_1767 Depth=4
	s_or_b64 exec, exec, s[44:45]
	v_max_f32_e32 v0, v0, v0
	v_max_f32_e32 v2, v5, v5
	v_min_f32_e32 v5, v2, v0
.LBB4_1839:                             ;   in Loop: Header=BB4_1767 Depth=4
	v_and_b32_e32 v2, 0x7f800000, v5
	v_cmp_ne_u64_e32 vcc, s[76:77], v[2:3]
                                        ; implicit-def: $vgpr30
	s_and_saveexec_b64 s[40:41], vcc
	s_xor_b64 s[42:43], exec, s[40:41]
	s_cbranch_execz .LBB4_1853
; %bb.1840:                             ;   in Loop: Header=BB4_1767 Depth=4
	v_and_b32_e32 v2, 0x7fffffff, v5
	v_cmp_gt_u64_e32 vcc, s[78:79], v[2:3]
	v_and_b32_sdwa v6, v5, s80 dst_sel:DWORD dst_unused:UNUSED_PAD src0_sel:BYTE_3 src1_sel:DWORD
                                        ; implicit-def: $vgpr30
	s_and_saveexec_b64 s[40:41], vcc
	s_xor_b64 s[44:45], exec, s[40:41]
	s_cbranch_execz .LBB4_1850
; %bb.1841:                             ;   in Loop: Header=BB4_1767 Depth=4
	v_mov_b32_e32 v30, 0
	v_cmp_ne_u32_e32 vcc, 0, v5
	s_and_saveexec_b64 s[46:47], vcc
	s_cbranch_execz .LBB4_1849
; %bb.1842:                             ;   in Loop: Header=BB4_1767 Depth=4
	v_bfe_u32 v24, v5, 23, 8
	v_cmp_gt_u32_e64 s[40:41], s83, v24
	v_sub_u32_e32 v0, 0x79, v24
	v_and_b32_e32 v2, 0x7fffff, v5
	v_cmp_eq_u32_e32 vcc, 0, v24
	v_cndmask_b32_e64 v0, 0, v0, s[40:41]
	v_mov_b32_e32 v5, 0x78
	v_or_b32_e32 v4, 0x800000, v2
	v_cndmask_b32_e32 v0, v0, v5, vcc
	v_cndmask_b32_e32 v2, v4, v2, vcc
	v_add_u32_e32 v4, 20, v0
	v_lshlrev_b64 v[4:5], v4, -1
	v_add_u32_e32 v22, 19, v0
	v_lshlrev_b64 v[22:23], v22, 1
	v_bfi_b32 v5, v5, 0, 0
	v_bfi_b32 v4, v4, 0, v2
	v_cmp_eq_u64_e64 s[40:41], v[4:5], v[22:23]
	v_lshrrev_b64 v[22:23], v0, v[2:3]
	v_mov_b32_e32 v4, v22
	v_mov_b32_e32 v5, v23
	s_and_saveexec_b64 s[54:55], s[40:41]
; %bb.1843:                             ;   in Loop: Header=BB4_1767 Depth=4
	v_bfe_u32 v2, v22, 20, 1
	v_add_co_u32_e64 v2, s[40:41], v22, v2
	v_add_co_u32_e64 v4, s[40:41], -1, v2
; %bb.1844:                             ;   in Loop: Header=BB4_1767 Depth=4
	s_or_b64 exec, exec, s[54:55]
	v_add_u32_e32 v2, 0xffffff81, v24
	v_mov_b32_e32 v5, 0xffffff82
	v_cndmask_b32_e32 v2, v2, v5, vcc
	v_lshrrev_b32_e32 v5, 23, v22
	v_add3_u32 v5, v0, v2, v5
	v_add_u32_e32 v0, 6, v5
	v_and_b32_e32 v2, 0xfffff, v4
	v_add_u32_e32 v2, v2, v22
	v_cmp_ne_u32_e32 vcc, 0, v0
                                        ; implicit-def: $vgpr22_vgpr23
                                        ; implicit-def: $vgpr4
	s_and_saveexec_b64 s[40:41], vcc
	s_xor_b64 s[40:41], exec, s[40:41]
; %bb.1845:                             ;   in Loop: Header=BB4_1767 Depth=4
	v_cmp_lt_u64_e32 vcc, s[88:89], v[2:3]
	v_add_u32_e32 v4, 7, v5
	v_cndmask_b32_e32 v4, v0, v4, vcc
	v_cndmask_b32_e64 v0, 0, 1, vcc
	v_lshrrev_b64 v[22:23], v0, v[2:3]
; %bb.1846:                             ;   in Loop: Header=BB4_1767 Depth=4
	s_andn2_saveexec_b64 s[40:41], s[40:41]
; %bb.1847:                             ;   in Loop: Header=BB4_1767 Depth=4
	v_mov_b32_e32 v23, v3
	v_bfe_u32 v4, v2, 23, 1
	v_mov_b32_e32 v22, v2
; %bb.1848:                             ;   in Loop: Header=BB4_1767 Depth=4
	s_or_b64 exec, exec, s[40:41]
	v_lshrrev_b64 v[22:23], 20, v[22:23]
	v_cmp_gt_i32_e32 vcc, 16, v4
	v_cndmask_b32_e32 v23, 0, v23, vcc
	v_cndmask_b32_e32 v22, 7, v22, vcc
	v_min_i32_e32 v0, 15, v4
	v_cmp_eq_u64_e64 s[40:41], 0, v[22:23]
	v_lshlrev_b32_e32 v0, 3, v0
	v_cmp_eq_u32_e32 vcc, 0, v4
	v_and_b32_e32 v0, 0xf8, v0
	v_and_or_b32 v0, v22, 7, v0
	s_and_b64 s[40:41], vcc, s[40:41]
	v_cndmask_b32_e64 v0, v0, 0, s[40:41]
	v_or_b32_e32 v30, v0, v6
.LBB4_1849:                             ;   in Loop: Header=BB4_1767 Depth=4
	s_or_b64 exec, exec, s[46:47]
                                        ; implicit-def: $vgpr6
.LBB4_1850:                             ;   in Loop: Header=BB4_1767 Depth=4
	s_andn2_saveexec_b64 s[40:41], s[44:45]
; %bb.1851:                             ;   in Loop: Header=BB4_1767 Depth=4
	v_or_b32_e32 v30, 0x7e, v6
; %bb.1852:                             ;   in Loop: Header=BB4_1767 Depth=4
	s_or_b64 exec, exec, s[40:41]
                                        ; implicit-def: $vgpr5
.LBB4_1853:                             ;   in Loop: Header=BB4_1767 Depth=4
	s_andn2_saveexec_b64 s[40:41], s[42:43]
; %bb.1854:                             ;   in Loop: Header=BB4_1767 Depth=4
	v_or_b32_sdwa v30, v5, s81 dst_sel:DWORD dst_unused:UNUSED_PAD src0_sel:BYTE_3 src1_sel:DWORD
; %bb.1855:                             ;   in Loop: Header=BB4_1767 Depth=4
	s_or_b64 exec, exec, s[40:41]
	v_bfe_u32 v0, v12, 16, 3
	v_bfe_u32 v4, v12, 16, 7
	v_cmp_eq_u32_e64 s[40:41], s81, v4
	v_cmp_gt_u32_e32 vcc, 8, v4
	v_ffbh_u32_e32 v4, v0
	v_min_u32_e32 v22, 32, v4
	v_lshrrev_b32_e32 v2, 16, v12
	v_subrev_u32_e32 v4, 28, v22
	v_lshlrev_b64 v[4:5], v4, v[2:3]
	v_bfe_u32 v6, v2, 3, 4
	v_sub_u32_e32 v5, 29, v22
	v_and_b32_e32 v4, 7, v4
	v_cndmask_b32_e32 v5, v6, v5, vcc
	v_cndmask_b32_e32 v0, v0, v4, vcc
	v_lshlrev_b32_e32 v4, 8, v12
	v_lshlrev_b32_e32 v0, 20, v0
	v_and_b32_e32 v4, 0x80000000, v4
	v_lshl_add_u32 v5, v5, 23, v54
	v_lshrrev_b32_e32 v22, 16, v8
	v_or3_b32 v4, v4, v5, v0
	v_cmp_ne_u16_sdwa s[42:43], v22, v3 src0_sel:BYTE_0 src1_sel:DWORD
	s_mov_b64 s[44:45], -1
	s_and_b64 vcc, exec, s[52:53]
                                        ; implicit-def: $vgpr5
	s_cbranch_vccz .LBB4_1869
; %bb.1856:                             ;   in Loop: Header=BB4_1767 Depth=4
	v_mov_b32_e32 v5, 0
	s_and_saveexec_b64 s[44:45], s[42:43]
	s_cbranch_execz .LBB4_1862
; %bb.1857:                             ;   in Loop: Header=BB4_1767 Depth=4
	v_cmp_ne_u16_sdwa vcc, v22, s80 src0_sel:BYTE_0 src1_sel:DWORD
	v_bfrev_b32_e32 v5, 1
	s_and_saveexec_b64 s[46:47], vcc
	s_cbranch_execz .LBB4_1861
; %bb.1858:                             ;   in Loop: Header=BB4_1767 Depth=4
	v_bfe_u32 v0, v8, 16, 7
	v_cmp_ne_u32_e32 vcc, s81, v0
	v_mov_b32_e32 v5, 0x7f800001
	s_and_saveexec_b64 s[54:55], vcc
	s_cbranch_execz .LBB4_1860
; %bb.1859:                             ;   in Loop: Header=BB4_1767 Depth=4
	v_and_b32_e32 v23, 7, v22
	v_lshrrev_b32_e32 v24, 3, v0
	v_cmp_gt_u32_e32 vcc, 8, v0
	v_ffbh_u32_e32 v0, v23
	v_min_u32_e32 v0, 32, v0
	v_subrev_u32_e32 v5, 28, v0
	v_lshlrev_b64 v[5:6], v5, v[22:23]
	v_sub_u32_e32 v0, 29, v0
	v_and_b32_e32 v5, 7, v5
	v_cndmask_b32_e32 v0, v24, v0, vcc
	v_cndmask_b32_e32 v5, v23, v5, vcc
	v_lshlrev_b32_e32 v6, 24, v22
	v_lshlrev_b32_e32 v5, 20, v5
	v_and_b32_e32 v6, 0x80000000, v6
	v_lshl_add_u32 v0, v0, 23, v54
	v_or3_b32 v5, v6, v0, v5
.LBB4_1860:                             ;   in Loop: Header=BB4_1767 Depth=4
	s_or_b64 exec, exec, s[54:55]
.LBB4_1861:                             ;   in Loop: Header=BB4_1767 Depth=4
	s_or_b64 exec, exec, s[46:47]
.LBB4_1862:                             ;   in Loop: Header=BB4_1767 Depth=4
	s_or_b64 exec, exec, s[44:45]
	v_cmp_gt_i16_sdwa s[46:47], v2, s81 src0_sel:BYTE_0 src1_sel:DWORD
	s_mov_b64 s[44:45], 0
	s_and_saveexec_b64 vcc, s[46:47]
	s_xor_b64 s[46:47], exec, vcc
	s_cbranch_execz .LBB4_2431
; %bb.1863:                             ;   in Loop: Header=BB4_1767 Depth=4
	v_cmp_eq_u16_sdwa s[54:55], v2, s80 src0_sel:BYTE_0 src1_sel:DWORD
	s_mov_b64 s[44:45], -1
	s_and_saveexec_b64 vcc, s[54:55]
; %bb.1864:                             ;   in Loop: Header=BB4_1767 Depth=4
	s_xor_b64 s[44:45], exec, -1
; %bb.1865:                             ;   in Loop: Header=BB4_1767 Depth=4
	s_or_b64 exec, exec, vcc
	s_and_b64 s[44:45], s[44:45], exec
	s_or_saveexec_b64 s[46:47], s[46:47]
	v_bfrev_b32_e32 v0, 1
	s_xor_b64 exec, exec, s[46:47]
	s_cbranch_execnz .LBB4_2432
.LBB4_1866:                             ;   in Loop: Header=BB4_1767 Depth=4
	s_or_b64 exec, exec, s[46:47]
	s_and_saveexec_b64 s[46:47], s[44:45]
.LBB4_1867:                             ;   in Loop: Header=BB4_1767 Depth=4
	v_mov_b32_e32 v0, 0x7f800001
	v_cndmask_b32_e64 v0, v4, v0, s[40:41]
.LBB4_1868:                             ;   in Loop: Header=BB4_1767 Depth=4
	s_or_b64 exec, exec, s[46:47]
	v_max_f32_e32 v0, v0, v0
	v_max_f32_e32 v5, v5, v5
	;; [unrolled: 1-line block ×3, first 2 shown]
	s_mov_b64 s[44:45], 0
.LBB4_1869:                             ;   in Loop: Header=BB4_1767 Depth=4
	s_and_b64 vcc, exec, s[44:45]
	s_cbranch_vccz .LBB4_1883
; %bb.1870:                             ;   in Loop: Header=BB4_1767 Depth=4
	v_mov_b32_e32 v5, 0
	s_and_saveexec_b64 s[44:45], s[42:43]
	s_cbranch_execz .LBB4_1876
; %bb.1871:                             ;   in Loop: Header=BB4_1767 Depth=4
	v_cmp_ne_u16_sdwa s[46:47], v22, s80 src0_sel:BYTE_0 src1_sel:DWORD
	v_bfrev_b32_e32 v5, 1
	s_and_saveexec_b64 s[42:43], s[46:47]
	s_cbranch_execz .LBB4_1875
; %bb.1872:                             ;   in Loop: Header=BB4_1767 Depth=4
	v_bfe_u32 v0, v8, 16, 7
	v_cmp_ne_u32_e32 vcc, s81, v0
	v_mov_b32_e32 v5, 0x7f800001
	s_and_saveexec_b64 s[46:47], vcc
	s_cbranch_execz .LBB4_1874
; %bb.1873:                             ;   in Loop: Header=BB4_1767 Depth=4
	v_and_b32_e32 v23, 7, v22
	v_lshrrev_b32_e32 v24, 3, v0
	v_cmp_gt_u32_e32 vcc, 8, v0
	v_ffbh_u32_e32 v0, v23
	v_min_u32_e32 v0, 32, v0
	v_subrev_u32_e32 v5, 28, v0
	v_lshlrev_b64 v[5:6], v5, v[22:23]
	v_sub_u32_e32 v0, 29, v0
	v_and_b32_e32 v5, 7, v5
	v_cndmask_b32_e32 v0, v24, v0, vcc
	v_cndmask_b32_e32 v5, v23, v5, vcc
	v_lshlrev_b32_e32 v6, 24, v22
	v_lshlrev_b32_e32 v5, 20, v5
	v_and_b32_e32 v6, 0x80000000, v6
	v_lshl_add_u32 v0, v0, 23, v54
	v_or3_b32 v5, v6, v0, v5
.LBB4_1874:                             ;   in Loop: Header=BB4_1767 Depth=4
	s_or_b64 exec, exec, s[46:47]
.LBB4_1875:                             ;   in Loop: Header=BB4_1767 Depth=4
	s_or_b64 exec, exec, s[42:43]
.LBB4_1876:                             ;   in Loop: Header=BB4_1767 Depth=4
	s_or_b64 exec, exec, s[44:45]
	v_cmp_gt_i16_sdwa s[44:45], v2, s81 src0_sel:BYTE_0 src1_sel:DWORD
	s_mov_b64 s[42:43], 0
	s_and_saveexec_b64 s[46:47], s[44:45]
	s_xor_b64 s[44:45], exec, s[46:47]
	s_cbranch_execz .LBB4_2433
; %bb.1877:                             ;   in Loop: Header=BB4_1767 Depth=4
	v_cmp_eq_u16_sdwa vcc, v2, s80 src0_sel:BYTE_0 src1_sel:DWORD
	s_mov_b64 s[42:43], -1
	s_and_saveexec_b64 s[46:47], vcc
; %bb.1878:                             ;   in Loop: Header=BB4_1767 Depth=4
	s_xor_b64 s[42:43], exec, -1
; %bb.1879:                             ;   in Loop: Header=BB4_1767 Depth=4
	s_or_b64 exec, exec, s[46:47]
	s_and_b64 s[42:43], s[42:43], exec
                                        ; implicit-def: $vgpr2
	s_or_saveexec_b64 s[44:45], s[44:45]
	v_bfrev_b32_e32 v0, 1
	s_xor_b64 exec, exec, s[44:45]
	s_cbranch_execnz .LBB4_2434
.LBB4_1880:                             ;   in Loop: Header=BB4_1767 Depth=4
	s_or_b64 exec, exec, s[44:45]
	s_and_saveexec_b64 s[44:45], s[42:43]
.LBB4_1881:                             ;   in Loop: Header=BB4_1767 Depth=4
	v_mov_b32_e32 v0, 0x7f800001
	v_cndmask_b32_e64 v0, v4, v0, s[40:41]
.LBB4_1882:                             ;   in Loop: Header=BB4_1767 Depth=4
	s_or_b64 exec, exec, s[44:45]
	v_max_f32_e32 v0, v0, v0
	v_max_f32_e32 v2, v5, v5
	v_min_f32_e32 v5, v2, v0
.LBB4_1883:                             ;   in Loop: Header=BB4_1767 Depth=4
	v_and_b32_e32 v2, 0x7f800000, v5
	v_cmp_ne_u64_e32 vcc, s[76:77], v[2:3]
                                        ; implicit-def: $vgpr31
	s_and_saveexec_b64 s[40:41], vcc
	s_xor_b64 s[42:43], exec, s[40:41]
	s_cbranch_execz .LBB4_1897
; %bb.1884:                             ;   in Loop: Header=BB4_1767 Depth=4
	v_and_b32_e32 v2, 0x7fffffff, v5
	v_cmp_gt_u64_e32 vcc, s[78:79], v[2:3]
	v_and_b32_sdwa v6, v5, s80 dst_sel:DWORD dst_unused:UNUSED_PAD src0_sel:BYTE_3 src1_sel:DWORD
                                        ; implicit-def: $vgpr31
	s_and_saveexec_b64 s[40:41], vcc
	s_xor_b64 s[44:45], exec, s[40:41]
	s_cbranch_execz .LBB4_1894
; %bb.1885:                             ;   in Loop: Header=BB4_1767 Depth=4
	v_mov_b32_e32 v31, 0
	v_cmp_ne_u32_e32 vcc, 0, v5
	s_and_saveexec_b64 s[46:47], vcc
	s_cbranch_execz .LBB4_1893
; %bb.1886:                             ;   in Loop: Header=BB4_1767 Depth=4
	v_bfe_u32 v24, v5, 23, 8
	v_cmp_gt_u32_e64 s[40:41], s83, v24
	v_sub_u32_e32 v0, 0x79, v24
	v_and_b32_e32 v2, 0x7fffff, v5
	v_cmp_eq_u32_e32 vcc, 0, v24
	v_cndmask_b32_e64 v0, 0, v0, s[40:41]
	v_mov_b32_e32 v5, 0x78
	v_or_b32_e32 v4, 0x800000, v2
	v_cndmask_b32_e32 v0, v0, v5, vcc
	v_cndmask_b32_e32 v2, v4, v2, vcc
	v_add_u32_e32 v4, 20, v0
	v_lshlrev_b64 v[4:5], v4, -1
	v_add_u32_e32 v22, 19, v0
	v_lshlrev_b64 v[22:23], v22, 1
	v_bfi_b32 v5, v5, 0, 0
	v_bfi_b32 v4, v4, 0, v2
	v_cmp_eq_u64_e64 s[40:41], v[4:5], v[22:23]
	v_lshrrev_b64 v[22:23], v0, v[2:3]
	v_mov_b32_e32 v4, v22
	v_mov_b32_e32 v5, v23
	s_and_saveexec_b64 s[54:55], s[40:41]
; %bb.1887:                             ;   in Loop: Header=BB4_1767 Depth=4
	v_bfe_u32 v2, v22, 20, 1
	v_add_co_u32_e64 v2, s[40:41], v22, v2
	v_add_co_u32_e64 v4, s[40:41], -1, v2
; %bb.1888:                             ;   in Loop: Header=BB4_1767 Depth=4
	s_or_b64 exec, exec, s[54:55]
	v_add_u32_e32 v2, 0xffffff81, v24
	v_mov_b32_e32 v5, 0xffffff82
	v_cndmask_b32_e32 v2, v2, v5, vcc
	v_lshrrev_b32_e32 v5, 23, v22
	v_add3_u32 v5, v0, v2, v5
	v_add_u32_e32 v0, 6, v5
	v_and_b32_e32 v2, 0xfffff, v4
	v_add_u32_e32 v2, v2, v22
	v_cmp_ne_u32_e32 vcc, 0, v0
                                        ; implicit-def: $vgpr22_vgpr23
                                        ; implicit-def: $vgpr4
	s_and_saveexec_b64 s[40:41], vcc
	s_xor_b64 s[40:41], exec, s[40:41]
; %bb.1889:                             ;   in Loop: Header=BB4_1767 Depth=4
	v_cmp_lt_u64_e32 vcc, s[88:89], v[2:3]
	v_add_u32_e32 v4, 7, v5
	v_cndmask_b32_e32 v4, v0, v4, vcc
	v_cndmask_b32_e64 v0, 0, 1, vcc
	v_lshrrev_b64 v[22:23], v0, v[2:3]
; %bb.1890:                             ;   in Loop: Header=BB4_1767 Depth=4
	s_andn2_saveexec_b64 s[40:41], s[40:41]
; %bb.1891:                             ;   in Loop: Header=BB4_1767 Depth=4
	v_mov_b32_e32 v23, v3
	v_bfe_u32 v4, v2, 23, 1
	v_mov_b32_e32 v22, v2
; %bb.1892:                             ;   in Loop: Header=BB4_1767 Depth=4
	s_or_b64 exec, exec, s[40:41]
	v_lshrrev_b64 v[22:23], 20, v[22:23]
	v_cmp_gt_i32_e32 vcc, 16, v4
	v_cndmask_b32_e32 v23, 0, v23, vcc
	v_cndmask_b32_e32 v22, 7, v22, vcc
	v_min_i32_e32 v0, 15, v4
	v_cmp_eq_u64_e64 s[40:41], 0, v[22:23]
	v_lshlrev_b32_e32 v0, 3, v0
	v_cmp_eq_u32_e32 vcc, 0, v4
	v_and_b32_e32 v0, 0xf8, v0
	v_and_or_b32 v0, v22, 7, v0
	s_and_b64 s[40:41], vcc, s[40:41]
	v_cndmask_b32_e64 v0, v0, 0, s[40:41]
	v_or_b32_e32 v31, v0, v6
.LBB4_1893:                             ;   in Loop: Header=BB4_1767 Depth=4
	s_or_b64 exec, exec, s[46:47]
                                        ; implicit-def: $vgpr6
.LBB4_1894:                             ;   in Loop: Header=BB4_1767 Depth=4
	s_andn2_saveexec_b64 s[40:41], s[44:45]
; %bb.1895:                             ;   in Loop: Header=BB4_1767 Depth=4
	v_or_b32_e32 v31, 0x7e, v6
; %bb.1896:                             ;   in Loop: Header=BB4_1767 Depth=4
	s_or_b64 exec, exec, s[40:41]
                                        ; implicit-def: $vgpr5
.LBB4_1897:                             ;   in Loop: Header=BB4_1767 Depth=4
	s_andn2_saveexec_b64 s[40:41], s[42:43]
; %bb.1898:                             ;   in Loop: Header=BB4_1767 Depth=4
	v_or_b32_sdwa v31, v5, s81 dst_sel:DWORD dst_unused:UNUSED_PAD src0_sel:BYTE_3 src1_sel:DWORD
; %bb.1899:                             ;   in Loop: Header=BB4_1767 Depth=4
	s_or_b64 exec, exec, s[40:41]
	v_bfe_u32 v6, v12, 24, 3
	v_bfe_u32 v4, v12, 24, 7
	v_cmp_eq_u32_e64 s[44:45], s81, v4
	v_cmp_gt_u32_e32 vcc, 8, v4
	v_ffbh_u32_e32 v4, v6
	v_min_u32_e32 v23, 32, v4
	v_lshrrev_b32_e32 v0, 24, v12
	v_subrev_u32_e32 v4, 28, v23
	v_lshlrev_b64 v[4:5], v4, v[0:1]
	v_bfe_u32 v22, v0, 3, 4
	v_cmp_eq_u32_e64 s[42:43], s80, v0
	v_sub_u32_e32 v0, 29, v23
	v_and_b32_e32 v4, 7, v4
	v_cndmask_b32_e32 v0, v22, v0, vcc
	v_cndmask_b32_e32 v4, v6, v4, vcc
	v_lshlrev_b32_e32 v4, 20, v4
	v_and_b32_e32 v5, 0x80000000, v12
	v_lshl_add_u32 v0, v0, 23, v54
	v_lshrrev_b32_e32 v2, 24, v8
	v_cmp_gt_u32_e64 s[40:41], s61, v12
	v_or3_b32 v4, v5, v0, v4
	v_cmp_lt_u32_e64 s[46:47], s63, v8
	s_mov_b64 s[54:55], -1
	s_and_b64 vcc, exec, s[52:53]
                                        ; implicit-def: $vgpr5
	s_cbranch_vccz .LBB4_1907
; %bb.1900:                             ;   in Loop: Header=BB4_1767 Depth=4
	v_mov_b32_e32 v0, 0
	s_and_saveexec_b64 s[54:55], s[46:47]
	s_cbranch_execz .LBB4_1906
; %bb.1901:                             ;   in Loop: Header=BB4_1767 Depth=4
	v_cmp_ne_u32_e32 vcc, s80, v2
	v_bfrev_b32_e32 v0, 1
	s_and_saveexec_b64 s[64:65], vcc
	s_cbranch_execz .LBB4_1905
; %bb.1902:                             ;   in Loop: Header=BB4_1767 Depth=4
	v_bfe_u32 v5, v8, 24, 7
	v_cmp_ne_u32_e32 vcc, s81, v5
	v_mov_b32_e32 v0, 0x7f800001
	s_and_saveexec_b64 s[66:67], vcc
	s_cbranch_execz .LBB4_1904
; %bb.1903:                             ;   in Loop: Header=BB4_1767 Depth=4
	v_and_b32_e32 v0, 7, v2
	v_lshrrev_b32_e32 v22, 3, v5
	v_cmp_gt_u32_e32 vcc, 8, v5
	v_ffbh_u32_e32 v5, v0
	v_min_u32_e32 v23, 32, v5
	v_subrev_u32_e32 v5, 28, v23
	v_lshlrev_b64 v[5:6], v5, v[2:3]
	v_sub_u32_e32 v6, 29, v23
	v_and_b32_e32 v5, 7, v5
	v_cndmask_b32_e32 v6, v22, v6, vcc
	v_cndmask_b32_e32 v0, v0, v5, vcc
	v_lshlrev_b32_e32 v5, 24, v2
	v_lshlrev_b32_e32 v0, 20, v0
	v_and_b32_e32 v5, 0x80000000, v5
	v_lshl_add_u32 v6, v6, 23, v54
	v_or3_b32 v0, v5, v6, v0
.LBB4_1904:                             ;   in Loop: Header=BB4_1767 Depth=4
	s_or_b64 exec, exec, s[66:67]
.LBB4_1905:                             ;   in Loop: Header=BB4_1767 Depth=4
	s_or_b64 exec, exec, s[64:65]
.LBB4_1906:                             ;   in Loop: Header=BB4_1767 Depth=4
	s_or_b64 exec, exec, s[54:55]
	v_mov_b32_e32 v5, 0x7f800001
	v_cndmask_b32_e64 v5, v4, v5, s[44:45]
	v_bfrev_b32_e32 v6, 1
	v_cndmask_b32_e64 v5, v5, v6, s[42:43]
	v_cndmask_b32_e64 v5, v5, 0, s[40:41]
	v_max_f32_e32 v5, v5, v5
	v_max_f32_e32 v0, v0, v0
	;; [unrolled: 1-line block ×3, first 2 shown]
	s_mov_b64 s[54:55], 0
.LBB4_1907:                             ;   in Loop: Header=BB4_1767 Depth=4
	s_and_b64 vcc, exec, s[54:55]
	s_cbranch_vccz .LBB4_1915
; %bb.1908:                             ;   in Loop: Header=BB4_1767 Depth=4
	v_mov_b32_e32 v0, 0
	s_and_saveexec_b64 s[54:55], s[46:47]
	s_cbranch_execz .LBB4_1914
; %bb.1909:                             ;   in Loop: Header=BB4_1767 Depth=4
	v_cmp_ne_u32_e32 vcc, s80, v2
	v_bfrev_b32_e32 v0, 1
	s_and_saveexec_b64 s[46:47], vcc
	s_cbranch_execz .LBB4_1913
; %bb.1910:                             ;   in Loop: Header=BB4_1767 Depth=4
	v_bfe_u32 v5, v8, 24, 7
	v_cmp_ne_u32_e32 vcc, s81, v5
	v_mov_b32_e32 v0, 0x7f800001
	s_and_saveexec_b64 s[64:65], vcc
	s_cbranch_execz .LBB4_1912
; %bb.1911:                             ;   in Loop: Header=BB4_1767 Depth=4
	v_and_b32_e32 v0, 7, v2
	v_lshrrev_b32_e32 v22, 3, v5
	v_cmp_gt_u32_e32 vcc, 8, v5
	v_ffbh_u32_e32 v5, v0
	v_min_u32_e32 v23, 32, v5
	v_subrev_u32_e32 v5, 28, v23
	v_lshlrev_b64 v[5:6], v5, v[2:3]
	v_sub_u32_e32 v6, 29, v23
	v_and_b32_e32 v5, 7, v5
	v_cndmask_b32_e32 v6, v22, v6, vcc
	v_cndmask_b32_e32 v0, v0, v5, vcc
	v_lshlrev_b32_e32 v2, 24, v2
	v_lshlrev_b32_e32 v0, 20, v0
	v_and_b32_e32 v2, 0x80000000, v2
	v_lshl_add_u32 v5, v6, 23, v54
	v_or3_b32 v0, v2, v5, v0
.LBB4_1912:                             ;   in Loop: Header=BB4_1767 Depth=4
	s_or_b64 exec, exec, s[64:65]
.LBB4_1913:                             ;   in Loop: Header=BB4_1767 Depth=4
	s_or_b64 exec, exec, s[46:47]
.LBB4_1914:                             ;   in Loop: Header=BB4_1767 Depth=4
	s_or_b64 exec, exec, s[54:55]
	v_mov_b32_e32 v2, 0x7f800001
	v_cndmask_b32_e64 v2, v4, v2, s[44:45]
	v_bfrev_b32_e32 v4, 1
	v_cndmask_b32_e64 v2, v2, v4, s[42:43]
	v_cndmask_b32_e64 v2, v2, 0, s[40:41]
	v_max_f32_e32 v2, v2, v2
	v_max_f32_e32 v0, v0, v0
	v_min_f32_e32 v5, v0, v2
.LBB4_1915:                             ;   in Loop: Header=BB4_1767 Depth=4
	v_and_b32_e32 v2, 0x7f800000, v5
	v_cmp_ne_u64_e32 vcc, s[76:77], v[2:3]
                                        ; implicit-def: $vgpr6
	s_and_saveexec_b64 s[40:41], vcc
	s_xor_b64 s[42:43], exec, s[40:41]
	s_cbranch_execz .LBB4_1929
; %bb.1916:                             ;   in Loop: Header=BB4_1767 Depth=4
	v_and_b32_e32 v2, 0x7fffffff, v5
	v_cmp_gt_u64_e32 vcc, s[78:79], v[2:3]
	v_and_b32_sdwa v24, v5, s80 dst_sel:DWORD dst_unused:UNUSED_PAD src0_sel:BYTE_3 src1_sel:DWORD
                                        ; implicit-def: $vgpr6
	s_and_saveexec_b64 s[40:41], vcc
	s_xor_b64 s[44:45], exec, s[40:41]
	s_cbranch_execz .LBB4_1926
; %bb.1917:                             ;   in Loop: Header=BB4_1767 Depth=4
	v_mov_b32_e32 v6, 0
	v_cmp_ne_u32_e32 vcc, 0, v5
	s_and_saveexec_b64 s[46:47], vcc
	s_cbranch_execz .LBB4_1925
; %bb.1918:                             ;   in Loop: Header=BB4_1767 Depth=4
	v_bfe_u32 v6, v5, 23, 8
	v_cmp_gt_u32_e64 s[40:41], s83, v6
	v_sub_u32_e32 v0, 0x79, v6
	v_and_b32_e32 v2, 0x7fffff, v5
	v_cmp_eq_u32_e32 vcc, 0, v6
	v_cndmask_b32_e64 v0, 0, v0, s[40:41]
	v_mov_b32_e32 v5, 0x78
	v_or_b32_e32 v4, 0x800000, v2
	v_cndmask_b32_e32 v0, v0, v5, vcc
	v_cndmask_b32_e32 v2, v4, v2, vcc
	v_add_u32_e32 v4, 20, v0
	v_lshlrev_b64 v[4:5], v4, -1
	v_add_u32_e32 v22, 19, v0
	v_lshlrev_b64 v[22:23], v22, 1
	v_bfi_b32 v5, v5, 0, 0
	v_bfi_b32 v4, v4, 0, v2
	v_cmp_eq_u64_e64 s[40:41], v[4:5], v[22:23]
	v_lshrrev_b64 v[22:23], v0, v[2:3]
	v_mov_b32_e32 v4, v22
	v_mov_b32_e32 v5, v23
	s_and_saveexec_b64 s[54:55], s[40:41]
; %bb.1919:                             ;   in Loop: Header=BB4_1767 Depth=4
	v_bfe_u32 v2, v22, 20, 1
	v_add_co_u32_e64 v2, s[40:41], v22, v2
	v_add_co_u32_e64 v4, s[40:41], -1, v2
; %bb.1920:                             ;   in Loop: Header=BB4_1767 Depth=4
	s_or_b64 exec, exec, s[54:55]
	v_add_u32_e32 v2, 0xffffff81, v6
	v_mov_b32_e32 v5, 0xffffff82
	v_cndmask_b32_e32 v2, v2, v5, vcc
	v_lshrrev_b32_e32 v5, 23, v22
	v_add3_u32 v5, v0, v2, v5
	v_add_u32_e32 v0, 6, v5
	v_and_b32_e32 v2, 0xfffff, v4
	v_add_u32_e32 v2, v2, v22
	v_cmp_ne_u32_e32 vcc, 0, v0
                                        ; implicit-def: $vgpr22_vgpr23
                                        ; implicit-def: $vgpr4
	s_and_saveexec_b64 s[40:41], vcc
	s_xor_b64 s[40:41], exec, s[40:41]
; %bb.1921:                             ;   in Loop: Header=BB4_1767 Depth=4
	v_cmp_lt_u64_e32 vcc, s[88:89], v[2:3]
	v_add_u32_e32 v4, 7, v5
	v_cndmask_b32_e32 v4, v0, v4, vcc
	v_cndmask_b32_e64 v0, 0, 1, vcc
	v_lshrrev_b64 v[22:23], v0, v[2:3]
; %bb.1922:                             ;   in Loop: Header=BB4_1767 Depth=4
	s_andn2_saveexec_b64 s[40:41], s[40:41]
; %bb.1923:                             ;   in Loop: Header=BB4_1767 Depth=4
	v_mov_b32_e32 v23, v3
	v_bfe_u32 v4, v2, 23, 1
	v_mov_b32_e32 v22, v2
; %bb.1924:                             ;   in Loop: Header=BB4_1767 Depth=4
	s_or_b64 exec, exec, s[40:41]
	v_lshrrev_b64 v[5:6], 20, v[22:23]
	v_cmp_gt_i32_e32 vcc, 16, v4
	v_cndmask_b32_e32 v6, 0, v6, vcc
	v_cndmask_b32_e32 v5, 7, v5, vcc
	v_min_i32_e32 v0, 15, v4
	v_cmp_eq_u64_e64 s[40:41], 0, v[5:6]
	v_lshlrev_b32_e32 v0, 3, v0
	v_cmp_eq_u32_e32 vcc, 0, v4
	v_and_b32_e32 v0, 0xf8, v0
	v_and_or_b32 v0, v5, 7, v0
	s_and_b64 s[40:41], vcc, s[40:41]
	v_cndmask_b32_e64 v0, v0, 0, s[40:41]
	v_or_b32_e32 v6, v0, v24
.LBB4_1925:                             ;   in Loop: Header=BB4_1767 Depth=4
	s_or_b64 exec, exec, s[46:47]
                                        ; implicit-def: $vgpr24
.LBB4_1926:                             ;   in Loop: Header=BB4_1767 Depth=4
	s_andn2_saveexec_b64 s[40:41], s[44:45]
; %bb.1927:                             ;   in Loop: Header=BB4_1767 Depth=4
	v_or_b32_e32 v6, 0x7e, v24
; %bb.1928:                             ;   in Loop: Header=BB4_1767 Depth=4
	s_or_b64 exec, exec, s[40:41]
                                        ; implicit-def: $vgpr5
.LBB4_1929:                             ;   in Loop: Header=BB4_1767 Depth=4
	s_andn2_saveexec_b64 s[40:41], s[42:43]
; %bb.1930:                             ;   in Loop: Header=BB4_1767 Depth=4
	v_or_b32_sdwa v6, v5, s81 dst_sel:DWORD dst_unused:UNUSED_PAD src0_sel:BYTE_3 src1_sel:DWORD
; %bb.1931:                             ;   in Loop: Header=BB4_1767 Depth=4
	s_or_b64 exec, exec, s[40:41]
	v_and_b32_e32 v0, 7, v13
	v_ffbh_u32_e32 v0, v0
	v_and_b32_e32 v4, 0x7f, v13
	v_min_u32_e32 v0, 32, v0
	v_cmp_eq_u32_e64 s[40:41], s81, v4
	v_cmp_gt_u32_e32 vcc, 8, v4
	v_subrev_u32_e32 v4, 28, v0
	v_mov_b32_e32 v2, v13
	v_bfe_u32 v5, v13, 3, 4
	v_sub_u32_e32 v0, 29, v0
	v_cndmask_b32_e32 v4, 0, v4, vcc
	v_cndmask_b32_e32 v0, v5, v0, vcc
	v_lshlrev_b64 v[4:5], v4, v[2:3]
	v_lshlrev_b32_e32 v5, 24, v13
	v_lshlrev_b32_e32 v4, 20, v4
	v_and_b32_e32 v4, 0x700000, v4
	v_and_b32_e32 v5, 0x80000000, v5
	v_lshl_add_u32 v0, v0, 23, v54
	v_or3_b32 v4, v5, v0, v4
	v_mov_b32_e32 v22, v9
	v_mov_b32_e32 v23, v3
	v_cmp_ne_u16_sdwa s[42:43], v9, v3 src0_sel:BYTE_0 src1_sel:DWORD
	s_mov_b64 s[44:45], -1
	s_and_b64 vcc, exec, s[52:53]
                                        ; implicit-def: $vgpr5
	s_cbranch_vccz .LBB4_1945
; %bb.1932:                             ;   in Loop: Header=BB4_1767 Depth=4
	v_mov_b32_e32 v5, 0
	s_and_saveexec_b64 s[44:45], s[42:43]
	s_cbranch_execz .LBB4_1938
; %bb.1933:                             ;   in Loop: Header=BB4_1767 Depth=4
	v_cmp_ne_u16_sdwa vcc, v9, s80 src0_sel:BYTE_0 src1_sel:DWORD
	v_bfrev_b32_e32 v5, 1
	s_and_saveexec_b64 s[46:47], vcc
	s_cbranch_execz .LBB4_1937
; %bb.1934:                             ;   in Loop: Header=BB4_1767 Depth=4
	v_and_b32_e32 v0, 0x7f, v9
	v_cmp_ne_u32_e32 vcc, s81, v0
	v_mov_b32_e32 v5, 0x7f800001
	s_and_saveexec_b64 s[54:55], vcc
	s_cbranch_execz .LBB4_1936
; %bb.1935:                             ;   in Loop: Header=BB4_1767 Depth=4
	v_and_b32_e32 v5, 7, v9
	v_lshrrev_b32_e32 v24, 3, v0
	v_cmp_gt_u32_e32 vcc, 8, v0
	v_ffbh_u32_e32 v0, v5
	v_min_u32_e32 v0, 32, v0
	v_subrev_u32_e32 v5, 28, v0
	v_cndmask_b32_e32 v5, 0, v5, vcc
	v_lshlrev_b64 v[34:35], v5, v[22:23]
	v_sub_u32_e32 v0, 29, v0
	v_cndmask_b32_e32 v0, v24, v0, vcc
	v_lshlrev_b32_e32 v5, 20, v34
	v_lshlrev_b32_e32 v24, 24, v22
	v_and_b32_e32 v5, 0x700000, v5
	v_and_b32_e32 v24, 0x80000000, v24
	v_lshl_add_u32 v0, v0, 23, v54
	v_or3_b32 v5, v24, v0, v5
.LBB4_1936:                             ;   in Loop: Header=BB4_1767 Depth=4
	s_or_b64 exec, exec, s[54:55]
.LBB4_1937:                             ;   in Loop: Header=BB4_1767 Depth=4
	s_or_b64 exec, exec, s[46:47]
.LBB4_1938:                             ;   in Loop: Header=BB4_1767 Depth=4
	s_or_b64 exec, exec, s[44:45]
	v_cmp_gt_i16_sdwa s[46:47], v13, s81 src0_sel:BYTE_0 src1_sel:DWORD
	s_mov_b64 s[44:45], 0
	s_and_saveexec_b64 vcc, s[46:47]
	s_xor_b64 s[46:47], exec, vcc
	s_cbranch_execz .LBB4_2435
; %bb.1939:                             ;   in Loop: Header=BB4_1767 Depth=4
	v_cmp_eq_u16_sdwa s[54:55], v13, s80 src0_sel:BYTE_0 src1_sel:DWORD
	s_mov_b64 s[44:45], -1
	s_and_saveexec_b64 vcc, s[54:55]
; %bb.1940:                             ;   in Loop: Header=BB4_1767 Depth=4
	s_xor_b64 s[44:45], exec, -1
; %bb.1941:                             ;   in Loop: Header=BB4_1767 Depth=4
	s_or_b64 exec, exec, vcc
	s_and_b64 s[44:45], s[44:45], exec
	s_or_saveexec_b64 s[46:47], s[46:47]
	v_bfrev_b32_e32 v0, 1
	s_xor_b64 exec, exec, s[46:47]
	s_cbranch_execnz .LBB4_2436
.LBB4_1942:                             ;   in Loop: Header=BB4_1767 Depth=4
	s_or_b64 exec, exec, s[46:47]
	s_and_saveexec_b64 s[46:47], s[44:45]
.LBB4_1943:                             ;   in Loop: Header=BB4_1767 Depth=4
	v_mov_b32_e32 v0, 0x7f800001
	v_cndmask_b32_e64 v0, v4, v0, s[40:41]
.LBB4_1944:                             ;   in Loop: Header=BB4_1767 Depth=4
	s_or_b64 exec, exec, s[46:47]
	v_max_f32_e32 v0, v0, v0
	v_max_f32_e32 v5, v5, v5
	;; [unrolled: 1-line block ×3, first 2 shown]
	s_mov_b64 s[44:45], 0
.LBB4_1945:                             ;   in Loop: Header=BB4_1767 Depth=4
	s_and_b64 vcc, exec, s[44:45]
	s_cbranch_vccz .LBB4_1959
; %bb.1946:                             ;   in Loop: Header=BB4_1767 Depth=4
	v_mov_b32_e32 v5, 0
	s_and_saveexec_b64 s[44:45], s[42:43]
	s_cbranch_execz .LBB4_1952
; %bb.1947:                             ;   in Loop: Header=BB4_1767 Depth=4
	v_cmp_ne_u16_sdwa s[46:47], v9, s80 src0_sel:BYTE_0 src1_sel:DWORD
	v_bfrev_b32_e32 v5, 1
	s_and_saveexec_b64 s[42:43], s[46:47]
	s_cbranch_execz .LBB4_1951
; %bb.1948:                             ;   in Loop: Header=BB4_1767 Depth=4
	v_and_b32_e32 v0, 0x7f, v9
	v_cmp_ne_u32_e32 vcc, s81, v0
	v_mov_b32_e32 v5, 0x7f800001
	s_and_saveexec_b64 s[46:47], vcc
	s_cbranch_execz .LBB4_1950
; %bb.1949:                             ;   in Loop: Header=BB4_1767 Depth=4
	v_and_b32_e32 v5, 7, v9
	v_lshrrev_b32_e32 v24, 3, v0
	v_cmp_gt_u32_e32 vcc, 8, v0
	v_ffbh_u32_e32 v0, v5
	v_min_u32_e32 v0, 32, v0
	v_subrev_u32_e32 v5, 28, v0
	v_sub_u32_e32 v0, 29, v0
	v_cndmask_b32_e32 v5, 0, v5, vcc
	v_cndmask_b32_e32 v0, v24, v0, vcc
	v_lshlrev_b64 v[23:24], v5, v[22:23]
	v_lshl_add_u32 v0, v0, 23, v54
	v_lshlrev_b32_e32 v5, 20, v23
	v_lshlrev_b32_e32 v23, 24, v22
	v_and_b32_e32 v5, 0x700000, v5
	v_and_b32_e32 v23, 0x80000000, v23
	v_or3_b32 v5, v23, v0, v5
.LBB4_1950:                             ;   in Loop: Header=BB4_1767 Depth=4
	s_or_b64 exec, exec, s[46:47]
.LBB4_1951:                             ;   in Loop: Header=BB4_1767 Depth=4
	s_or_b64 exec, exec, s[42:43]
.LBB4_1952:                             ;   in Loop: Header=BB4_1767 Depth=4
	s_or_b64 exec, exec, s[44:45]
	v_cmp_gt_i16_sdwa s[44:45], v13, s81 src0_sel:BYTE_0 src1_sel:DWORD
	s_mov_b64 s[42:43], 0
	s_and_saveexec_b64 s[46:47], s[44:45]
	s_xor_b64 s[44:45], exec, s[46:47]
	s_cbranch_execz .LBB4_2437
; %bb.1953:                             ;   in Loop: Header=BB4_1767 Depth=4
	v_cmp_eq_u16_sdwa vcc, v13, s80 src0_sel:BYTE_0 src1_sel:DWORD
	s_mov_b64 s[42:43], -1
	s_and_saveexec_b64 s[46:47], vcc
; %bb.1954:                             ;   in Loop: Header=BB4_1767 Depth=4
	s_xor_b64 s[42:43], exec, -1
; %bb.1955:                             ;   in Loop: Header=BB4_1767 Depth=4
	s_or_b64 exec, exec, s[46:47]
	s_and_b64 s[42:43], s[42:43], exec
	s_or_saveexec_b64 s[44:45], s[44:45]
	v_bfrev_b32_e32 v0, 1
	s_xor_b64 exec, exec, s[44:45]
	s_cbranch_execnz .LBB4_2438
.LBB4_1956:                             ;   in Loop: Header=BB4_1767 Depth=4
	s_or_b64 exec, exec, s[44:45]
	s_and_saveexec_b64 s[44:45], s[42:43]
.LBB4_1957:                             ;   in Loop: Header=BB4_1767 Depth=4
	v_mov_b32_e32 v0, 0x7f800001
	v_cndmask_b32_e64 v0, v4, v0, s[40:41]
.LBB4_1958:                             ;   in Loop: Header=BB4_1767 Depth=4
	s_or_b64 exec, exec, s[44:45]
	v_max_f32_e32 v0, v0, v0
	v_max_f32_e32 v4, v5, v5
	v_min_f32_e32 v5, v4, v0
.LBB4_1959:                             ;   in Loop: Header=BB4_1767 Depth=4
	v_and_b32_e32 v23, 0x7f800000, v5
	v_mov_b32_e32 v24, v3
	v_cmp_ne_u64_e32 vcc, s[76:77], v[23:24]
                                        ; implicit-def: $vgpr24
	s_and_saveexec_b64 s[40:41], vcc
	s_xor_b64 s[42:43], exec, s[40:41]
	s_cbranch_execz .LBB4_1973
; %bb.1960:                             ;   in Loop: Header=BB4_1767 Depth=4
	v_and_b32_e32 v23, 0x7fffffff, v5
	v_mov_b32_e32 v24, v3
	v_cmp_gt_u64_e32 vcc, s[78:79], v[23:24]
	v_and_b32_sdwa v34, v5, s80 dst_sel:DWORD dst_unused:UNUSED_PAD src0_sel:BYTE_3 src1_sel:DWORD
                                        ; implicit-def: $vgpr24
	s_and_saveexec_b64 s[40:41], vcc
	s_xor_b64 s[44:45], exec, s[40:41]
	s_cbranch_execz .LBB4_1970
; %bb.1961:                             ;   in Loop: Header=BB4_1767 Depth=4
	v_mov_b32_e32 v24, 0
	v_cmp_ne_u32_e32 vcc, 0, v5
	s_and_saveexec_b64 s[46:47], vcc
	s_cbranch_execz .LBB4_1969
; %bb.1962:                             ;   in Loop: Header=BB4_1767 Depth=4
	v_bfe_u32 v35, v5, 23, 8
	v_cmp_gt_u32_e64 s[40:41], s83, v35
	v_sub_u32_e32 v0, 0x79, v35
	v_cmp_eq_u32_e32 vcc, 0, v35
	v_cndmask_b32_e64 v0, 0, v0, s[40:41]
	v_mov_b32_e32 v23, 0x78
	v_cndmask_b32_e32 v0, v0, v23, vcc
	v_and_b32_e32 v4, 0x7fffff, v5
	v_add_u32_e32 v23, 20, v0
	v_or_b32_e32 v5, 0x800000, v4
	v_lshlrev_b64 v[23:24], v23, -1
	v_add_u32_e32 v36, 19, v0
	v_cndmask_b32_e32 v4, v5, v4, vcc
	v_lshlrev_b64 v[36:37], v36, 1
	v_mov_b32_e32 v5, v3
	v_bfi_b32 v24, v24, 0, 0
	v_bfi_b32 v23, v23, 0, v4
	v_cmp_eq_u64_e64 s[40:41], v[23:24], v[36:37]
	v_lshrrev_b64 v[23:24], v0, v[4:5]
	v_mov_b32_e32 v4, v23
	v_mov_b32_e32 v5, v24
	s_and_saveexec_b64 s[54:55], s[40:41]
; %bb.1963:                             ;   in Loop: Header=BB4_1767 Depth=4
	v_bfe_u32 v4, v23, 20, 1
	v_add_co_u32_e64 v4, s[40:41], v23, v4
	v_add_co_u32_e64 v4, s[40:41], -1, v4
; %bb.1964:                             ;   in Loop: Header=BB4_1767 Depth=4
	s_or_b64 exec, exec, s[54:55]
	v_add_u32_e32 v5, 0xffffff81, v35
	v_mov_b32_e32 v24, 0xffffff82
	v_cndmask_b32_e32 v5, v5, v24, vcc
	v_lshrrev_b32_e32 v24, 23, v23
	v_add3_u32 v5, v0, v5, v24
	v_add_u32_e32 v0, 6, v5
	v_and_b32_e32 v4, 0xfffff, v4
	v_add_u32_e32 v23, v4, v23
	v_mov_b32_e32 v24, v3
	v_cmp_ne_u32_e32 vcc, 0, v0
                                        ; implicit-def: $vgpr4
	s_and_saveexec_b64 s[40:41], vcc
	s_xor_b64 s[40:41], exec, s[40:41]
; %bb.1965:                             ;   in Loop: Header=BB4_1767 Depth=4
	v_cmp_lt_u64_e32 vcc, s[88:89], v[23:24]
	v_add_u32_e32 v4, 7, v5
	v_cndmask_b32_e32 v4, v0, v4, vcc
	v_cndmask_b32_e64 v0, 0, 1, vcc
	v_lshrrev_b64 v[23:24], v0, v[23:24]
; %bb.1966:                             ;   in Loop: Header=BB4_1767 Depth=4
	s_andn2_saveexec_b64 s[40:41], s[40:41]
; %bb.1967:                             ;   in Loop: Header=BB4_1767 Depth=4
	v_bfe_u32 v4, v23, 23, 1
; %bb.1968:                             ;   in Loop: Header=BB4_1767 Depth=4
	s_or_b64 exec, exec, s[40:41]
	v_lshrrev_b64 v[23:24], 20, v[23:24]
	v_cmp_gt_i32_e32 vcc, 16, v4
	v_cndmask_b32_e32 v24, 0, v24, vcc
	v_cndmask_b32_e32 v23, 7, v23, vcc
	v_min_i32_e32 v0, 15, v4
	v_cmp_eq_u64_e64 s[40:41], 0, v[23:24]
	v_lshlrev_b32_e32 v0, 3, v0
	v_cmp_eq_u32_e32 vcc, 0, v4
	v_and_b32_e32 v0, 0xf8, v0
	v_and_or_b32 v0, v23, 7, v0
	s_and_b64 s[40:41], vcc, s[40:41]
	v_cndmask_b32_e64 v0, v0, 0, s[40:41]
	v_or_b32_e32 v24, v0, v34
.LBB4_1969:                             ;   in Loop: Header=BB4_1767 Depth=4
	s_or_b64 exec, exec, s[46:47]
                                        ; implicit-def: $vgpr34
.LBB4_1970:                             ;   in Loop: Header=BB4_1767 Depth=4
	s_andn2_saveexec_b64 s[40:41], s[44:45]
; %bb.1971:                             ;   in Loop: Header=BB4_1767 Depth=4
	v_or_b32_e32 v24, 0x7e, v34
; %bb.1972:                             ;   in Loop: Header=BB4_1767 Depth=4
	s_or_b64 exec, exec, s[40:41]
                                        ; implicit-def: $vgpr5
.LBB4_1973:                             ;   in Loop: Header=BB4_1767 Depth=4
	s_andn2_saveexec_b64 s[40:41], s[42:43]
; %bb.1974:                             ;   in Loop: Header=BB4_1767 Depth=4
	v_or_b32_sdwa v24, v5, s81 dst_sel:DWORD dst_unused:UNUSED_PAD src0_sel:BYTE_3 src1_sel:DWORD
; %bb.1975:                             ;   in Loop: Header=BB4_1767 Depth=4
	s_or_b64 exec, exec, s[40:41]
	v_lshrrev_b16_e32 v2, 8, v2
	v_and_b32_e32 v0, 7, v2
	v_and_b32_e32 v4, 0x7f, v2
	v_cmp_eq_u32_e64 s[40:41], s81, v4
	v_cmp_gt_u32_e32 vcc, 8, v4
	v_ffbh_u32_e32 v4, v0
	v_min_u32_e32 v35, 32, v4
	v_subrev_u32_e32 v4, 28, v35
	v_lshlrev_b64 v[4:5], v4, v[2:3]
	v_bfe_u32 v34, v2, 3, 4
	v_sub_u32_e32 v5, 29, v35
	v_and_b32_e32 v4, 7, v4
	v_cndmask_b32_e32 v5, v34, v5, vcc
	v_cndmask_b32_e32 v0, v0, v4, vcc
	v_lshlrev_b32_e32 v4, 24, v2
	v_lshrrev_b16_e32 v23, 8, v22
	v_lshlrev_b32_e32 v0, 20, v0
	v_and_b32_e32 v4, 0x80000000, v4
	v_lshl_add_u32 v5, v5, 23, v54
	v_or3_b32 v4, v4, v5, v0
	v_cmp_ne_u16_e64 s[42:43], 0, v23
	s_mov_b64 s[44:45], -1
	s_and_b64 vcc, exec, s[52:53]
                                        ; implicit-def: $vgpr5
	s_cbranch_vccz .LBB4_1989
; %bb.1976:                             ;   in Loop: Header=BB4_1767 Depth=4
	v_mov_b32_e32 v5, 0
	s_and_saveexec_b64 s[44:45], s[42:43]
	s_cbranch_execz .LBB4_1982
; %bb.1977:                             ;   in Loop: Header=BB4_1767 Depth=4
	v_cmp_ne_u16_e32 vcc, s80, v23
	v_bfrev_b32_e32 v5, 1
	s_and_saveexec_b64 s[46:47], vcc
	s_cbranch_execz .LBB4_1981
; %bb.1978:                             ;   in Loop: Header=BB4_1767 Depth=4
	v_and_b32_e32 v0, 0x7f, v23
	v_cmp_ne_u32_e32 vcc, s81, v0
	v_mov_b32_e32 v5, 0x7f800001
	s_and_saveexec_b64 s[54:55], vcc
	s_cbranch_execz .LBB4_1980
; %bb.1979:                             ;   in Loop: Header=BB4_1767 Depth=4
	v_and_b32_e32 v5, 7, v23
	v_lshrrev_b32_e32 v36, 3, v0
	v_cmp_gt_u32_e32 vcc, 8, v0
	v_ffbh_u32_e32 v0, v5
	v_min_u32_e32 v0, 32, v0
	v_subrev_u32_e32 v34, 28, v0
	v_lshlrev_b64 v[34:35], v34, v[23:24]
	v_sub_u32_e32 v0, 29, v0
	v_and_b32_e32 v34, 7, v34
	v_cndmask_b32_e32 v0, v36, v0, vcc
	v_cndmask_b32_e32 v5, v5, v34, vcc
	v_lshlrev_b32_e32 v34, 16, v22
	v_lshlrev_b32_e32 v5, 20, v5
	v_and_b32_e32 v34, 0x80000000, v34
	v_lshl_add_u32 v0, v0, 23, v54
	v_or3_b32 v5, v34, v0, v5
.LBB4_1980:                             ;   in Loop: Header=BB4_1767 Depth=4
	s_or_b64 exec, exec, s[54:55]
.LBB4_1981:                             ;   in Loop: Header=BB4_1767 Depth=4
	s_or_b64 exec, exec, s[46:47]
.LBB4_1982:                             ;   in Loop: Header=BB4_1767 Depth=4
	s_or_b64 exec, exec, s[44:45]
	v_cmp_lt_i16_e32 vcc, s81, v2
	s_mov_b64 s[44:45], 0
	s_and_saveexec_b64 s[46:47], vcc
	s_xor_b64 s[46:47], exec, s[46:47]
	s_cbranch_execz .LBB4_2439
; %bb.1983:                             ;   in Loop: Header=BB4_1767 Depth=4
	v_cmp_eq_u16_e32 vcc, s80, v2
	s_mov_b64 s[44:45], -1
	s_and_saveexec_b64 s[54:55], vcc
; %bb.1984:                             ;   in Loop: Header=BB4_1767 Depth=4
	s_xor_b64 s[44:45], exec, -1
; %bb.1985:                             ;   in Loop: Header=BB4_1767 Depth=4
	s_or_b64 exec, exec, s[54:55]
	s_and_b64 s[44:45], s[44:45], exec
	s_or_saveexec_b64 s[46:47], s[46:47]
	v_bfrev_b32_e32 v0, 1
	s_xor_b64 exec, exec, s[46:47]
	s_cbranch_execnz .LBB4_2440
.LBB4_1986:                             ;   in Loop: Header=BB4_1767 Depth=4
	s_or_b64 exec, exec, s[46:47]
	s_and_saveexec_b64 s[46:47], s[44:45]
.LBB4_1987:                             ;   in Loop: Header=BB4_1767 Depth=4
	v_mov_b32_e32 v0, 0x7f800001
	v_cndmask_b32_e64 v0, v4, v0, s[40:41]
.LBB4_1988:                             ;   in Loop: Header=BB4_1767 Depth=4
	s_or_b64 exec, exec, s[46:47]
	v_max_f32_e32 v0, v0, v0
	v_max_f32_e32 v5, v5, v5
	;; [unrolled: 1-line block ×3, first 2 shown]
	s_mov_b64 s[44:45], 0
.LBB4_1989:                             ;   in Loop: Header=BB4_1767 Depth=4
	s_and_b64 vcc, exec, s[44:45]
	s_cbranch_vccz .LBB4_2003
; %bb.1990:                             ;   in Loop: Header=BB4_1767 Depth=4
	v_mov_b32_e32 v5, 0
	s_and_saveexec_b64 s[44:45], s[42:43]
	s_cbranch_execz .LBB4_1996
; %bb.1991:                             ;   in Loop: Header=BB4_1767 Depth=4
	v_cmp_ne_u16_e32 vcc, s80, v23
	v_bfrev_b32_e32 v5, 1
	s_and_saveexec_b64 s[42:43], vcc
	s_cbranch_execz .LBB4_1995
; %bb.1992:                             ;   in Loop: Header=BB4_1767 Depth=4
	v_and_b32_e32 v0, 0x7f, v23
	v_cmp_ne_u32_e32 vcc, s81, v0
	v_mov_b32_e32 v5, 0x7f800001
	s_and_saveexec_b64 s[46:47], vcc
	s_cbranch_execz .LBB4_1994
; %bb.1993:                             ;   in Loop: Header=BB4_1767 Depth=4
	v_and_b32_e32 v5, 7, v23
	v_lshrrev_b32_e32 v36, 3, v0
	v_cmp_gt_u32_e32 vcc, 8, v0
	v_ffbh_u32_e32 v0, v5
	v_min_u32_e32 v0, 32, v0
	v_subrev_u32_e32 v34, 28, v0
	v_lshlrev_b64 v[34:35], v34, v[23:24]
	v_sub_u32_e32 v0, 29, v0
	v_and_b32_e32 v23, 7, v34
	v_cndmask_b32_e32 v0, v36, v0, vcc
	v_cndmask_b32_e32 v5, v5, v23, vcc
	v_lshlrev_b32_e32 v22, 16, v22
	v_lshlrev_b32_e32 v5, 20, v5
	v_and_b32_e32 v22, 0x80000000, v22
	v_lshl_add_u32 v0, v0, 23, v54
	v_or3_b32 v5, v22, v0, v5
.LBB4_1994:                             ;   in Loop: Header=BB4_1767 Depth=4
	s_or_b64 exec, exec, s[46:47]
.LBB4_1995:                             ;   in Loop: Header=BB4_1767 Depth=4
	s_or_b64 exec, exec, s[42:43]
.LBB4_1996:                             ;   in Loop: Header=BB4_1767 Depth=4
	s_or_b64 exec, exec, s[44:45]
	v_cmp_lt_i16_e32 vcc, s81, v2
	s_mov_b64 s[42:43], 0
	s_and_saveexec_b64 s[44:45], vcc
	s_xor_b64 s[44:45], exec, s[44:45]
	s_cbranch_execz .LBB4_2441
; %bb.1997:                             ;   in Loop: Header=BB4_1767 Depth=4
	v_cmp_eq_u16_e32 vcc, s80, v2
	s_mov_b64 s[42:43], -1
	s_and_saveexec_b64 s[46:47], vcc
; %bb.1998:                             ;   in Loop: Header=BB4_1767 Depth=4
	s_xor_b64 s[42:43], exec, -1
; %bb.1999:                             ;   in Loop: Header=BB4_1767 Depth=4
	s_or_b64 exec, exec, s[46:47]
	s_and_b64 s[42:43], s[42:43], exec
	s_or_saveexec_b64 s[44:45], s[44:45]
	v_bfrev_b32_e32 v0, 1
	s_xor_b64 exec, exec, s[44:45]
	s_cbranch_execnz .LBB4_2442
.LBB4_2000:                             ;   in Loop: Header=BB4_1767 Depth=4
	s_or_b64 exec, exec, s[44:45]
	s_and_saveexec_b64 s[44:45], s[42:43]
.LBB4_2001:                             ;   in Loop: Header=BB4_1767 Depth=4
	v_mov_b32_e32 v0, 0x7f800001
	v_cndmask_b32_e64 v0, v4, v0, s[40:41]
.LBB4_2002:                             ;   in Loop: Header=BB4_1767 Depth=4
	s_or_b64 exec, exec, s[44:45]
	v_max_f32_e32 v0, v0, v0
	v_max_f32_e32 v2, v5, v5
	v_min_f32_e32 v5, v2, v0
.LBB4_2003:                             ;   in Loop: Header=BB4_1767 Depth=4
	v_and_b32_e32 v2, 0x7f800000, v5
	v_cmp_ne_u64_e32 vcc, s[76:77], v[2:3]
                                        ; implicit-def: $vgpr34
	s_and_saveexec_b64 s[40:41], vcc
	s_xor_b64 s[42:43], exec, s[40:41]
	s_cbranch_execz .LBB4_2017
; %bb.2004:                             ;   in Loop: Header=BB4_1767 Depth=4
	v_and_b32_e32 v2, 0x7fffffff, v5
	v_cmp_gt_u64_e32 vcc, s[78:79], v[2:3]
	v_and_b32_sdwa v35, v5, s80 dst_sel:DWORD dst_unused:UNUSED_PAD src0_sel:BYTE_3 src1_sel:DWORD
                                        ; implicit-def: $vgpr34
	s_and_saveexec_b64 s[40:41], vcc
	s_xor_b64 s[44:45], exec, s[40:41]
	s_cbranch_execz .LBB4_2014
; %bb.2005:                             ;   in Loop: Header=BB4_1767 Depth=4
	v_mov_b32_e32 v34, 0
	v_cmp_ne_u32_e32 vcc, 0, v5
	s_and_saveexec_b64 s[46:47], vcc
	s_cbranch_execz .LBB4_2013
; %bb.2006:                             ;   in Loop: Header=BB4_1767 Depth=4
	v_bfe_u32 v34, v5, 23, 8
	v_cmp_gt_u32_e64 s[40:41], s83, v34
	v_sub_u32_e32 v0, 0x79, v34
	v_and_b32_e32 v2, 0x7fffff, v5
	v_cmp_eq_u32_e32 vcc, 0, v34
	v_cndmask_b32_e64 v0, 0, v0, s[40:41]
	v_mov_b32_e32 v5, 0x78
	v_or_b32_e32 v4, 0x800000, v2
	v_cndmask_b32_e32 v0, v0, v5, vcc
	v_cndmask_b32_e32 v2, v4, v2, vcc
	v_add_u32_e32 v4, 20, v0
	v_lshlrev_b64 v[4:5], v4, -1
	v_add_u32_e32 v22, 19, v0
	v_lshlrev_b64 v[22:23], v22, 1
	v_bfi_b32 v5, v5, 0, 0
	v_bfi_b32 v4, v4, 0, v2
	v_cmp_eq_u64_e64 s[40:41], v[4:5], v[22:23]
	v_lshrrev_b64 v[22:23], v0, v[2:3]
	v_mov_b32_e32 v4, v22
	v_mov_b32_e32 v5, v23
	s_and_saveexec_b64 s[54:55], s[40:41]
; %bb.2007:                             ;   in Loop: Header=BB4_1767 Depth=4
	v_bfe_u32 v2, v22, 20, 1
	v_add_co_u32_e64 v2, s[40:41], v22, v2
	v_add_co_u32_e64 v4, s[40:41], -1, v2
; %bb.2008:                             ;   in Loop: Header=BB4_1767 Depth=4
	s_or_b64 exec, exec, s[54:55]
	v_add_u32_e32 v2, 0xffffff81, v34
	v_mov_b32_e32 v5, 0xffffff82
	v_cndmask_b32_e32 v2, v2, v5, vcc
	v_lshrrev_b32_e32 v5, 23, v22
	v_add3_u32 v5, v0, v2, v5
	v_add_u32_e32 v0, 6, v5
	v_and_b32_e32 v2, 0xfffff, v4
	v_add_u32_e32 v2, v2, v22
	v_cmp_ne_u32_e32 vcc, 0, v0
                                        ; implicit-def: $vgpr22_vgpr23
                                        ; implicit-def: $vgpr4
	s_and_saveexec_b64 s[40:41], vcc
	s_xor_b64 s[40:41], exec, s[40:41]
; %bb.2009:                             ;   in Loop: Header=BB4_1767 Depth=4
	v_cmp_lt_u64_e32 vcc, s[88:89], v[2:3]
	v_add_u32_e32 v4, 7, v5
	v_cndmask_b32_e32 v4, v0, v4, vcc
	v_cndmask_b32_e64 v0, 0, 1, vcc
	v_lshrrev_b64 v[22:23], v0, v[2:3]
; %bb.2010:                             ;   in Loop: Header=BB4_1767 Depth=4
	s_andn2_saveexec_b64 s[40:41], s[40:41]
; %bb.2011:                             ;   in Loop: Header=BB4_1767 Depth=4
	v_mov_b32_e32 v23, v3
	v_bfe_u32 v4, v2, 23, 1
	v_mov_b32_e32 v22, v2
; %bb.2012:                             ;   in Loop: Header=BB4_1767 Depth=4
	s_or_b64 exec, exec, s[40:41]
	v_lshrrev_b64 v[22:23], 20, v[22:23]
	v_cmp_gt_i32_e32 vcc, 16, v4
	v_cndmask_b32_e32 v23, 0, v23, vcc
	v_cndmask_b32_e32 v22, 7, v22, vcc
	v_min_i32_e32 v0, 15, v4
	v_cmp_eq_u64_e64 s[40:41], 0, v[22:23]
	v_lshlrev_b32_e32 v0, 3, v0
	v_cmp_eq_u32_e32 vcc, 0, v4
	v_and_b32_e32 v0, 0xf8, v0
	v_and_or_b32 v0, v22, 7, v0
	s_and_b64 s[40:41], vcc, s[40:41]
	v_cndmask_b32_e64 v0, v0, 0, s[40:41]
	v_or_b32_e32 v34, v0, v35
.LBB4_2013:                             ;   in Loop: Header=BB4_1767 Depth=4
	s_or_b64 exec, exec, s[46:47]
                                        ; implicit-def: $vgpr35
.LBB4_2014:                             ;   in Loop: Header=BB4_1767 Depth=4
	s_andn2_saveexec_b64 s[40:41], s[44:45]
; %bb.2015:                             ;   in Loop: Header=BB4_1767 Depth=4
	v_or_b32_e32 v34, 0x7e, v35
; %bb.2016:                             ;   in Loop: Header=BB4_1767 Depth=4
	s_or_b64 exec, exec, s[40:41]
                                        ; implicit-def: $vgpr5
.LBB4_2017:                             ;   in Loop: Header=BB4_1767 Depth=4
	s_andn2_saveexec_b64 s[40:41], s[42:43]
; %bb.2018:                             ;   in Loop: Header=BB4_1767 Depth=4
	v_or_b32_sdwa v34, v5, s81 dst_sel:DWORD dst_unused:UNUSED_PAD src0_sel:BYTE_3 src1_sel:DWORD
; %bb.2019:                             ;   in Loop: Header=BB4_1767 Depth=4
	s_or_b64 exec, exec, s[40:41]
	v_bfe_u32 v0, v13, 16, 3
	v_bfe_u32 v4, v13, 16, 7
	v_cmp_eq_u32_e64 s[40:41], s81, v4
	v_cmp_gt_u32_e32 vcc, 8, v4
	v_ffbh_u32_e32 v4, v0
	v_min_u32_e32 v23, 32, v4
	v_lshrrev_b32_e32 v2, 16, v13
	v_subrev_u32_e32 v4, 28, v23
	v_lshlrev_b64 v[4:5], v4, v[2:3]
	v_bfe_u32 v22, v2, 3, 4
	v_sub_u32_e32 v5, 29, v23
	v_and_b32_e32 v4, 7, v4
	v_cndmask_b32_e32 v5, v22, v5, vcc
	v_cndmask_b32_e32 v0, v0, v4, vcc
	v_lshlrev_b32_e32 v4, 8, v13
	v_lshlrev_b32_e32 v0, 20, v0
	v_and_b32_e32 v4, 0x80000000, v4
	v_lshl_add_u32 v5, v5, 23, v54
	v_lshrrev_b32_e32 v22, 16, v9
	v_or3_b32 v4, v4, v5, v0
	v_cmp_ne_u16_sdwa s[42:43], v22, v3 src0_sel:BYTE_0 src1_sel:DWORD
	s_mov_b64 s[44:45], -1
	s_and_b64 vcc, exec, s[52:53]
                                        ; implicit-def: $vgpr5
	s_cbranch_vccz .LBB4_2033
; %bb.2020:                             ;   in Loop: Header=BB4_1767 Depth=4
	v_mov_b32_e32 v5, 0
	s_and_saveexec_b64 s[44:45], s[42:43]
	s_cbranch_execz .LBB4_2026
; %bb.2021:                             ;   in Loop: Header=BB4_1767 Depth=4
	v_cmp_ne_u16_sdwa vcc, v22, s80 src0_sel:BYTE_0 src1_sel:DWORD
	v_bfrev_b32_e32 v5, 1
	s_and_saveexec_b64 s[46:47], vcc
	s_cbranch_execz .LBB4_2025
; %bb.2022:                             ;   in Loop: Header=BB4_1767 Depth=4
	v_bfe_u32 v0, v9, 16, 7
	v_cmp_ne_u32_e32 vcc, s81, v0
	v_mov_b32_e32 v5, 0x7f800001
	s_and_saveexec_b64 s[54:55], vcc
	s_cbranch_execz .LBB4_2024
; %bb.2023:                             ;   in Loop: Header=BB4_1767 Depth=4
	v_and_b32_e32 v5, 7, v22
	v_lshrrev_b32_e32 v23, 3, v0
	v_cmp_gt_u32_e32 vcc, 8, v0
	v_ffbh_u32_e32 v0, v5
	v_min_u32_e32 v0, 32, v0
	v_subrev_u32_e32 v35, 28, v0
	v_lshlrev_b64 v[35:36], v35, v[22:23]
	v_sub_u32_e32 v0, 29, v0
	v_and_b32_e32 v35, 7, v35
	v_cndmask_b32_e32 v0, v23, v0, vcc
	v_cndmask_b32_e32 v5, v5, v35, vcc
	v_lshlrev_b32_e32 v23, 24, v22
	v_lshlrev_b32_e32 v5, 20, v5
	v_and_b32_e32 v23, 0x80000000, v23
	v_lshl_add_u32 v0, v0, 23, v54
	v_or3_b32 v5, v23, v0, v5
.LBB4_2024:                             ;   in Loop: Header=BB4_1767 Depth=4
	s_or_b64 exec, exec, s[54:55]
.LBB4_2025:                             ;   in Loop: Header=BB4_1767 Depth=4
	s_or_b64 exec, exec, s[46:47]
.LBB4_2026:                             ;   in Loop: Header=BB4_1767 Depth=4
	s_or_b64 exec, exec, s[44:45]
	v_cmp_gt_i16_sdwa s[46:47], v2, s81 src0_sel:BYTE_0 src1_sel:DWORD
	s_mov_b64 s[44:45], 0
	s_and_saveexec_b64 vcc, s[46:47]
	s_xor_b64 s[46:47], exec, vcc
	s_cbranch_execz .LBB4_2443
; %bb.2027:                             ;   in Loop: Header=BB4_1767 Depth=4
	v_cmp_eq_u16_sdwa s[54:55], v2, s80 src0_sel:BYTE_0 src1_sel:DWORD
	s_mov_b64 s[44:45], -1
	s_and_saveexec_b64 vcc, s[54:55]
; %bb.2028:                             ;   in Loop: Header=BB4_1767 Depth=4
	s_xor_b64 s[44:45], exec, -1
; %bb.2029:                             ;   in Loop: Header=BB4_1767 Depth=4
	s_or_b64 exec, exec, vcc
	s_and_b64 s[44:45], s[44:45], exec
	s_or_saveexec_b64 s[46:47], s[46:47]
	v_bfrev_b32_e32 v0, 1
	s_xor_b64 exec, exec, s[46:47]
	s_cbranch_execnz .LBB4_2444
.LBB4_2030:                             ;   in Loop: Header=BB4_1767 Depth=4
	s_or_b64 exec, exec, s[46:47]
	s_and_saveexec_b64 s[46:47], s[44:45]
.LBB4_2031:                             ;   in Loop: Header=BB4_1767 Depth=4
	v_mov_b32_e32 v0, 0x7f800001
	v_cndmask_b32_e64 v0, v4, v0, s[40:41]
.LBB4_2032:                             ;   in Loop: Header=BB4_1767 Depth=4
	s_or_b64 exec, exec, s[46:47]
	v_max_f32_e32 v0, v0, v0
	v_max_f32_e32 v5, v5, v5
	;; [unrolled: 1-line block ×3, first 2 shown]
	s_mov_b64 s[44:45], 0
.LBB4_2033:                             ;   in Loop: Header=BB4_1767 Depth=4
	s_and_b64 vcc, exec, s[44:45]
	s_cbranch_vccz .LBB4_2047
; %bb.2034:                             ;   in Loop: Header=BB4_1767 Depth=4
	v_mov_b32_e32 v5, 0
	s_and_saveexec_b64 s[44:45], s[42:43]
	s_cbranch_execz .LBB4_2040
; %bb.2035:                             ;   in Loop: Header=BB4_1767 Depth=4
	v_cmp_ne_u16_sdwa s[46:47], v22, s80 src0_sel:BYTE_0 src1_sel:DWORD
	v_bfrev_b32_e32 v5, 1
	s_and_saveexec_b64 s[42:43], s[46:47]
	s_cbranch_execz .LBB4_2039
; %bb.2036:                             ;   in Loop: Header=BB4_1767 Depth=4
	v_bfe_u32 v0, v9, 16, 7
	v_cmp_ne_u32_e32 vcc, s81, v0
	v_mov_b32_e32 v5, 0x7f800001
	s_and_saveexec_b64 s[46:47], vcc
	s_cbranch_execz .LBB4_2038
; %bb.2037:                             ;   in Loop: Header=BB4_1767 Depth=4
	v_and_b32_e32 v5, 7, v22
	v_lshrrev_b32_e32 v23, 3, v0
	v_cmp_gt_u32_e32 vcc, 8, v0
	v_ffbh_u32_e32 v0, v5
	v_min_u32_e32 v0, 32, v0
	v_subrev_u32_e32 v35, 28, v0
	v_lshlrev_b64 v[35:36], v35, v[22:23]
	v_sub_u32_e32 v0, 29, v0
	v_and_b32_e32 v35, 7, v35
	v_cndmask_b32_e32 v0, v23, v0, vcc
	v_cndmask_b32_e32 v5, v5, v35, vcc
	v_lshlrev_b32_e32 v22, 24, v22
	v_lshlrev_b32_e32 v5, 20, v5
	v_and_b32_e32 v22, 0x80000000, v22
	v_lshl_add_u32 v0, v0, 23, v54
	v_or3_b32 v5, v22, v0, v5
.LBB4_2038:                             ;   in Loop: Header=BB4_1767 Depth=4
	s_or_b64 exec, exec, s[46:47]
.LBB4_2039:                             ;   in Loop: Header=BB4_1767 Depth=4
	s_or_b64 exec, exec, s[42:43]
.LBB4_2040:                             ;   in Loop: Header=BB4_1767 Depth=4
	s_or_b64 exec, exec, s[44:45]
	v_cmp_gt_i16_sdwa s[44:45], v2, s81 src0_sel:BYTE_0 src1_sel:DWORD
	s_mov_b64 s[42:43], 0
	s_and_saveexec_b64 s[46:47], s[44:45]
	s_xor_b64 s[44:45], exec, s[46:47]
	s_cbranch_execz .LBB4_2445
; %bb.2041:                             ;   in Loop: Header=BB4_1767 Depth=4
	v_cmp_eq_u16_sdwa vcc, v2, s80 src0_sel:BYTE_0 src1_sel:DWORD
	s_mov_b64 s[42:43], -1
	s_and_saveexec_b64 s[46:47], vcc
; %bb.2042:                             ;   in Loop: Header=BB4_1767 Depth=4
	s_xor_b64 s[42:43], exec, -1
; %bb.2043:                             ;   in Loop: Header=BB4_1767 Depth=4
	s_or_b64 exec, exec, s[46:47]
	s_and_b64 s[42:43], s[42:43], exec
                                        ; implicit-def: $vgpr2
	s_or_saveexec_b64 s[44:45], s[44:45]
	v_bfrev_b32_e32 v0, 1
	s_xor_b64 exec, exec, s[44:45]
	s_cbranch_execnz .LBB4_2446
.LBB4_2044:                             ;   in Loop: Header=BB4_1767 Depth=4
	s_or_b64 exec, exec, s[44:45]
	s_and_saveexec_b64 s[44:45], s[42:43]
.LBB4_2045:                             ;   in Loop: Header=BB4_1767 Depth=4
	v_mov_b32_e32 v0, 0x7f800001
	v_cndmask_b32_e64 v0, v4, v0, s[40:41]
.LBB4_2046:                             ;   in Loop: Header=BB4_1767 Depth=4
	s_or_b64 exec, exec, s[44:45]
	v_max_f32_e32 v0, v0, v0
	v_max_f32_e32 v2, v5, v5
	v_min_f32_e32 v5, v2, v0
.LBB4_2047:                             ;   in Loop: Header=BB4_1767 Depth=4
	v_and_b32_e32 v2, 0x7f800000, v5
	v_cmp_ne_u64_e32 vcc, s[76:77], v[2:3]
                                        ; implicit-def: $vgpr22
	s_and_saveexec_b64 s[40:41], vcc
	s_xor_b64 s[42:43], exec, s[40:41]
	s_cbranch_execz .LBB4_2061
; %bb.2048:                             ;   in Loop: Header=BB4_1767 Depth=4
	v_and_b32_e32 v2, 0x7fffffff, v5
	v_cmp_gt_u64_e32 vcc, s[78:79], v[2:3]
	v_and_b32_sdwa v35, v5, s80 dst_sel:DWORD dst_unused:UNUSED_PAD src0_sel:BYTE_3 src1_sel:DWORD
                                        ; implicit-def: $vgpr22
	s_and_saveexec_b64 s[40:41], vcc
	s_xor_b64 s[44:45], exec, s[40:41]
	s_cbranch_execz .LBB4_2058
; %bb.2049:                             ;   in Loop: Header=BB4_1767 Depth=4
	v_mov_b32_e32 v22, 0
	v_cmp_ne_u32_e32 vcc, 0, v5
	s_and_saveexec_b64 s[46:47], vcc
	s_cbranch_execz .LBB4_2057
; %bb.2050:                             ;   in Loop: Header=BB4_1767 Depth=4
	v_bfe_u32 v36, v5, 23, 8
	v_cmp_gt_u32_e64 s[40:41], s83, v36
	v_sub_u32_e32 v0, 0x79, v36
	v_and_b32_e32 v2, 0x7fffff, v5
	v_cmp_eq_u32_e32 vcc, 0, v36
	v_cndmask_b32_e64 v0, 0, v0, s[40:41]
	v_mov_b32_e32 v5, 0x78
	v_or_b32_e32 v4, 0x800000, v2
	v_cndmask_b32_e32 v0, v0, v5, vcc
	v_cndmask_b32_e32 v2, v4, v2, vcc
	v_add_u32_e32 v4, 20, v0
	v_lshlrev_b64 v[4:5], v4, -1
	v_add_u32_e32 v22, 19, v0
	v_lshlrev_b64 v[22:23], v22, 1
	v_bfi_b32 v5, v5, 0, 0
	v_bfi_b32 v4, v4, 0, v2
	v_cmp_eq_u64_e64 s[40:41], v[4:5], v[22:23]
	v_lshrrev_b64 v[22:23], v0, v[2:3]
	v_mov_b32_e32 v4, v22
	v_mov_b32_e32 v5, v23
	s_and_saveexec_b64 s[54:55], s[40:41]
; %bb.2051:                             ;   in Loop: Header=BB4_1767 Depth=4
	v_bfe_u32 v2, v22, 20, 1
	v_add_co_u32_e64 v2, s[40:41], v22, v2
	v_add_co_u32_e64 v4, s[40:41], -1, v2
; %bb.2052:                             ;   in Loop: Header=BB4_1767 Depth=4
	s_or_b64 exec, exec, s[54:55]
	v_add_u32_e32 v2, 0xffffff81, v36
	v_mov_b32_e32 v5, 0xffffff82
	v_cndmask_b32_e32 v2, v2, v5, vcc
	v_lshrrev_b32_e32 v5, 23, v22
	v_add3_u32 v5, v0, v2, v5
	v_add_u32_e32 v0, 6, v5
	v_and_b32_e32 v2, 0xfffff, v4
	v_add_u32_e32 v2, v2, v22
	v_cmp_ne_u32_e32 vcc, 0, v0
                                        ; implicit-def: $vgpr22_vgpr23
                                        ; implicit-def: $vgpr4
	s_and_saveexec_b64 s[40:41], vcc
	s_xor_b64 s[40:41], exec, s[40:41]
; %bb.2053:                             ;   in Loop: Header=BB4_1767 Depth=4
	v_cmp_lt_u64_e32 vcc, s[88:89], v[2:3]
	v_add_u32_e32 v4, 7, v5
	v_cndmask_b32_e32 v4, v0, v4, vcc
	v_cndmask_b32_e64 v0, 0, 1, vcc
	v_lshrrev_b64 v[22:23], v0, v[2:3]
; %bb.2054:                             ;   in Loop: Header=BB4_1767 Depth=4
	s_andn2_saveexec_b64 s[40:41], s[40:41]
; %bb.2055:                             ;   in Loop: Header=BB4_1767 Depth=4
	v_mov_b32_e32 v23, v3
	v_bfe_u32 v4, v2, 23, 1
	v_mov_b32_e32 v22, v2
; %bb.2056:                             ;   in Loop: Header=BB4_1767 Depth=4
	s_or_b64 exec, exec, s[40:41]
	v_lshrrev_b64 v[22:23], 20, v[22:23]
	v_cmp_gt_i32_e32 vcc, 16, v4
	v_cndmask_b32_e32 v23, 0, v23, vcc
	v_cndmask_b32_e32 v22, 7, v22, vcc
	v_min_i32_e32 v0, 15, v4
	v_cmp_eq_u64_e64 s[40:41], 0, v[22:23]
	v_lshlrev_b32_e32 v0, 3, v0
	v_cmp_eq_u32_e32 vcc, 0, v4
	v_and_b32_e32 v0, 0xf8, v0
	v_and_or_b32 v0, v22, 7, v0
	s_and_b64 s[40:41], vcc, s[40:41]
	v_cndmask_b32_e64 v0, v0, 0, s[40:41]
	v_or_b32_e32 v22, v0, v35
.LBB4_2057:                             ;   in Loop: Header=BB4_1767 Depth=4
	s_or_b64 exec, exec, s[46:47]
                                        ; implicit-def: $vgpr35
.LBB4_2058:                             ;   in Loop: Header=BB4_1767 Depth=4
	s_andn2_saveexec_b64 s[40:41], s[44:45]
; %bb.2059:                             ;   in Loop: Header=BB4_1767 Depth=4
	v_or_b32_e32 v22, 0x7e, v35
; %bb.2060:                             ;   in Loop: Header=BB4_1767 Depth=4
	s_or_b64 exec, exec, s[40:41]
                                        ; implicit-def: $vgpr5
.LBB4_2061:                             ;   in Loop: Header=BB4_1767 Depth=4
	s_andn2_saveexec_b64 s[40:41], s[42:43]
; %bb.2062:                             ;   in Loop: Header=BB4_1767 Depth=4
	v_or_b32_sdwa v22, v5, s81 dst_sel:DWORD dst_unused:UNUSED_PAD src0_sel:BYTE_3 src1_sel:DWORD
; %bb.2063:                             ;   in Loop: Header=BB4_1767 Depth=4
	s_or_b64 exec, exec, s[40:41]
	v_cmp_gt_u64_e64 s[40:41], s[60:61], v[12:13]
	v_bfe_u32 v12, v13, 24, 3
	v_bfe_u32 v4, v13, 24, 7
	v_cmp_eq_u32_e64 s[44:45], s81, v4
	v_cmp_gt_u32_e32 vcc, 8, v4
	v_ffbh_u32_e32 v4, v12
	v_min_u32_e32 v35, 32, v4
	v_lshrrev_b32_e32 v0, 24, v13
	v_subrev_u32_e32 v4, 28, v35
	v_lshlrev_b64 v[4:5], v4, v[0:1]
	v_bfe_u32 v23, v0, 3, 4
	v_cmp_eq_u32_e64 s[42:43], s80, v0
	v_sub_u32_e32 v0, 29, v35
	v_and_b32_e32 v4, 7, v4
	v_cndmask_b32_e32 v0, v23, v0, vcc
	v_cndmask_b32_e32 v4, v12, v4, vcc
	v_lshlrev_b32_e32 v4, 20, v4
	v_and_b32_e32 v5, 0x80000000, v13
	v_lshl_add_u32 v0, v0, 23, v54
	v_cmp_lt_u64_e64 s[46:47], s[62:63], v[8:9]
	v_lshrrev_b32_e32 v2, 24, v9
	v_or3_b32 v4, v5, v0, v4
	s_mov_b64 s[54:55], -1
	s_and_b64 vcc, exec, s[52:53]
                                        ; implicit-def: $vgpr5
	s_cbranch_vccz .LBB4_2071
; %bb.2064:                             ;   in Loop: Header=BB4_1767 Depth=4
	v_mov_b32_e32 v0, 0
	s_and_saveexec_b64 s[54:55], s[46:47]
	s_cbranch_execz .LBB4_2070
; %bb.2065:                             ;   in Loop: Header=BB4_1767 Depth=4
	v_cmp_ne_u32_e32 vcc, s80, v2
	v_bfrev_b32_e32 v0, 1
	s_and_saveexec_b64 s[64:65], vcc
	s_cbranch_execz .LBB4_2069
; %bb.2066:                             ;   in Loop: Header=BB4_1767 Depth=4
	v_bfe_u32 v5, v9, 24, 7
	v_cmp_ne_u32_e32 vcc, s81, v5
	v_mov_b32_e32 v0, 0x7f800001
	s_and_saveexec_b64 s[66:67], vcc
	s_cbranch_execz .LBB4_2068
; %bb.2067:                             ;   in Loop: Header=BB4_1767 Depth=4
	v_and_b32_e32 v0, 7, v2
	v_lshrrev_b32_e32 v8, 3, v5
	v_cmp_gt_u32_e32 vcc, 8, v5
	v_ffbh_u32_e32 v5, v0
	v_min_u32_e32 v5, 32, v5
	v_subrev_u32_e32 v12, 28, v5
	v_lshlrev_b64 v[12:13], v12, v[2:3]
	v_sub_u32_e32 v5, 29, v5
	v_and_b32_e32 v12, 7, v12
	v_cndmask_b32_e32 v5, v8, v5, vcc
	v_cndmask_b32_e32 v0, v0, v12, vcc
	v_lshlrev_b32_e32 v8, 24, v2
	v_lshlrev_b32_e32 v0, 20, v0
	v_and_b32_e32 v8, 0x80000000, v8
	v_lshl_add_u32 v5, v5, 23, v54
	v_or3_b32 v0, v8, v5, v0
.LBB4_2068:                             ;   in Loop: Header=BB4_1767 Depth=4
	s_or_b64 exec, exec, s[66:67]
.LBB4_2069:                             ;   in Loop: Header=BB4_1767 Depth=4
	s_or_b64 exec, exec, s[64:65]
.LBB4_2070:                             ;   in Loop: Header=BB4_1767 Depth=4
	s_or_b64 exec, exec, s[54:55]
	v_mov_b32_e32 v5, 0x7f800001
	v_cndmask_b32_e64 v5, v4, v5, s[44:45]
	v_bfrev_b32_e32 v8, 1
	v_cndmask_b32_e64 v5, v5, v8, s[42:43]
	v_cndmask_b32_e64 v5, v5, 0, s[40:41]
	v_max_f32_e32 v5, v5, v5
	v_max_f32_e32 v0, v0, v0
	;; [unrolled: 1-line block ×3, first 2 shown]
	s_mov_b64 s[54:55], 0
.LBB4_2071:                             ;   in Loop: Header=BB4_1767 Depth=4
	s_and_b64 vcc, exec, s[54:55]
	s_cbranch_vccz .LBB4_2079
; %bb.2072:                             ;   in Loop: Header=BB4_1767 Depth=4
	v_mov_b32_e32 v0, 0
	s_and_saveexec_b64 s[54:55], s[46:47]
	s_cbranch_execz .LBB4_2078
; %bb.2073:                             ;   in Loop: Header=BB4_1767 Depth=4
	v_cmp_ne_u32_e32 vcc, s80, v2
	v_bfrev_b32_e32 v0, 1
	s_and_saveexec_b64 s[46:47], vcc
	s_cbranch_execz .LBB4_2077
; %bb.2074:                             ;   in Loop: Header=BB4_1767 Depth=4
	v_bfe_u32 v5, v9, 24, 7
	v_cmp_ne_u32_e32 vcc, s81, v5
	v_mov_b32_e32 v0, 0x7f800001
	s_and_saveexec_b64 s[64:65], vcc
	s_cbranch_execz .LBB4_2076
; %bb.2075:                             ;   in Loop: Header=BB4_1767 Depth=4
	v_and_b32_e32 v0, 7, v2
	v_lshrrev_b32_e32 v12, 3, v5
	v_cmp_gt_u32_e32 vcc, 8, v5
	v_ffbh_u32_e32 v5, v0
	v_min_u32_e32 v5, 32, v5
	v_subrev_u32_e32 v8, 28, v5
	v_lshlrev_b64 v[8:9], v8, v[2:3]
	v_sub_u32_e32 v5, 29, v5
	v_and_b32_e32 v8, 7, v8
	v_cndmask_b32_e32 v5, v12, v5, vcc
	v_cndmask_b32_e32 v0, v0, v8, vcc
	v_lshlrev_b32_e32 v2, 24, v2
	v_lshlrev_b32_e32 v0, 20, v0
	v_and_b32_e32 v2, 0x80000000, v2
	v_lshl_add_u32 v5, v5, 23, v54
	v_or3_b32 v0, v2, v5, v0
.LBB4_2076:                             ;   in Loop: Header=BB4_1767 Depth=4
	s_or_b64 exec, exec, s[64:65]
.LBB4_2077:                             ;   in Loop: Header=BB4_1767 Depth=4
	s_or_b64 exec, exec, s[46:47]
.LBB4_2078:                             ;   in Loop: Header=BB4_1767 Depth=4
	s_or_b64 exec, exec, s[54:55]
	v_mov_b32_e32 v2, 0x7f800001
	v_cndmask_b32_e64 v2, v4, v2, s[44:45]
	v_bfrev_b32_e32 v4, 1
	v_cndmask_b32_e64 v2, v2, v4, s[42:43]
	v_cndmask_b32_e64 v2, v2, 0, s[40:41]
	v_max_f32_e32 v2, v2, v2
	v_max_f32_e32 v0, v0, v0
	v_min_f32_e32 v5, v0, v2
.LBB4_2079:                             ;   in Loop: Header=BB4_1767 Depth=4
	v_and_b32_e32 v2, 0x7f800000, v5
	v_cmp_ne_u64_e32 vcc, s[76:77], v[2:3]
                                        ; implicit-def: $vgpr23
	s_and_saveexec_b64 s[40:41], vcc
	s_xor_b64 s[42:43], exec, s[40:41]
	s_cbranch_execz .LBB4_2093
; %bb.2080:                             ;   in Loop: Header=BB4_1767 Depth=4
	v_and_b32_e32 v2, 0x7fffffff, v5
	v_cmp_gt_u64_e32 vcc, s[78:79], v[2:3]
	v_and_b32_sdwa v12, v5, s80 dst_sel:DWORD dst_unused:UNUSED_PAD src0_sel:BYTE_3 src1_sel:DWORD
                                        ; implicit-def: $vgpr23
	s_and_saveexec_b64 s[40:41], vcc
	s_xor_b64 s[44:45], exec, s[40:41]
	s_cbranch_execz .LBB4_2090
; %bb.2081:                             ;   in Loop: Header=BB4_1767 Depth=4
	v_mov_b32_e32 v23, 0
	v_cmp_ne_u32_e32 vcc, 0, v5
	s_and_saveexec_b64 s[46:47], vcc
	s_cbranch_execz .LBB4_2089
; %bb.2082:                             ;   in Loop: Header=BB4_1767 Depth=4
	v_bfe_u32 v13, v5, 23, 8
	v_cmp_gt_u32_e64 s[40:41], s83, v13
	v_sub_u32_e32 v0, 0x79, v13
	v_and_b32_e32 v2, 0x7fffff, v5
	v_cmp_eq_u32_e32 vcc, 0, v13
	v_cndmask_b32_e64 v0, 0, v0, s[40:41]
	v_mov_b32_e32 v5, 0x78
	v_or_b32_e32 v4, 0x800000, v2
	v_cndmask_b32_e32 v0, v0, v5, vcc
	v_cndmask_b32_e32 v2, v4, v2, vcc
	v_add_u32_e32 v4, 20, v0
	v_lshlrev_b64 v[4:5], v4, -1
	v_add_u32_e32 v8, 19, v0
	v_lshlrev_b64 v[8:9], v8, 1
	v_bfi_b32 v5, v5, 0, 0
	v_bfi_b32 v4, v4, 0, v2
	v_cmp_eq_u64_e64 s[40:41], v[4:5], v[8:9]
	v_lshrrev_b64 v[8:9], v0, v[2:3]
	v_mov_b32_e32 v4, v8
	v_mov_b32_e32 v5, v9
	s_and_saveexec_b64 s[54:55], s[40:41]
; %bb.2083:                             ;   in Loop: Header=BB4_1767 Depth=4
	v_bfe_u32 v2, v8, 20, 1
	v_add_co_u32_e64 v2, s[40:41], v8, v2
	v_add_co_u32_e64 v4, s[40:41], -1, v2
; %bb.2084:                             ;   in Loop: Header=BB4_1767 Depth=4
	s_or_b64 exec, exec, s[54:55]
	v_add_u32_e32 v2, 0xffffff81, v13
	v_mov_b32_e32 v5, 0xffffff82
	v_cndmask_b32_e32 v2, v2, v5, vcc
	v_lshrrev_b32_e32 v5, 23, v8
	v_add3_u32 v5, v0, v2, v5
	v_add_u32_e32 v0, 6, v5
	v_and_b32_e32 v2, 0xfffff, v4
	v_add_u32_e32 v2, v2, v8
	v_cmp_ne_u32_e32 vcc, 0, v0
                                        ; implicit-def: $vgpr8_vgpr9
                                        ; implicit-def: $vgpr4
	s_and_saveexec_b64 s[40:41], vcc
	s_xor_b64 s[40:41], exec, s[40:41]
; %bb.2085:                             ;   in Loop: Header=BB4_1767 Depth=4
	v_cmp_lt_u64_e32 vcc, s[88:89], v[2:3]
	v_add_u32_e32 v4, 7, v5
	v_cndmask_b32_e32 v4, v0, v4, vcc
	v_cndmask_b32_e64 v0, 0, 1, vcc
	v_lshrrev_b64 v[8:9], v0, v[2:3]
; %bb.2086:                             ;   in Loop: Header=BB4_1767 Depth=4
	s_andn2_saveexec_b64 s[40:41], s[40:41]
; %bb.2087:                             ;   in Loop: Header=BB4_1767 Depth=4
	v_mov_b32_e32 v9, v3
	v_bfe_u32 v4, v2, 23, 1
	v_mov_b32_e32 v8, v2
; %bb.2088:                             ;   in Loop: Header=BB4_1767 Depth=4
	s_or_b64 exec, exec, s[40:41]
	v_lshrrev_b64 v[8:9], 20, v[8:9]
	v_cmp_gt_i32_e32 vcc, 16, v4
	v_cndmask_b32_e32 v9, 0, v9, vcc
	v_cndmask_b32_e32 v8, 7, v8, vcc
	v_min_i32_e32 v0, 15, v4
	v_cmp_eq_u64_e64 s[40:41], 0, v[8:9]
	v_lshlrev_b32_e32 v0, 3, v0
	v_cmp_eq_u32_e32 vcc, 0, v4
	v_and_b32_e32 v0, 0xf8, v0
	v_and_or_b32 v0, v8, 7, v0
	s_and_b64 s[40:41], vcc, s[40:41]
	v_cndmask_b32_e64 v0, v0, 0, s[40:41]
	v_or_b32_e32 v23, v0, v12
.LBB4_2089:                             ;   in Loop: Header=BB4_1767 Depth=4
	s_or_b64 exec, exec, s[46:47]
                                        ; implicit-def: $vgpr12
.LBB4_2090:                             ;   in Loop: Header=BB4_1767 Depth=4
	s_andn2_saveexec_b64 s[40:41], s[44:45]
; %bb.2091:                             ;   in Loop: Header=BB4_1767 Depth=4
	v_or_b32_e32 v23, 0x7e, v12
; %bb.2092:                             ;   in Loop: Header=BB4_1767 Depth=4
	s_or_b64 exec, exec, s[40:41]
                                        ; implicit-def: $vgpr5
.LBB4_2093:                             ;   in Loop: Header=BB4_1767 Depth=4
	s_andn2_saveexec_b64 s[40:41], s[42:43]
; %bb.2094:                             ;   in Loop: Header=BB4_1767 Depth=4
	v_or_b32_sdwa v23, v5, s81 dst_sel:DWORD dst_unused:UNUSED_PAD src0_sel:BYTE_3 src1_sel:DWORD
; %bb.2095:                             ;   in Loop: Header=BB4_1767 Depth=4
	s_or_b64 exec, exec, s[40:41]
	v_and_b32_e32 v0, 7, v14
	v_ffbh_u32_e32 v0, v0
	v_and_b32_e32 v2, 0x7f, v14
	v_min_u32_e32 v0, 32, v0
	v_cmp_eq_u32_e64 s[40:41], s81, v2
	v_cmp_gt_u32_e32 vcc, 8, v2
	v_subrev_u32_e32 v2, 28, v0
	v_bfe_u32 v4, v14, 3, 4
	v_sub_u32_e32 v0, 29, v0
	v_cndmask_b32_e32 v2, 0, v2, vcc
	v_cndmask_b32_e32 v0, v4, v0, vcc
	v_lshlrev_b64 v[4:5], v2, v[14:15]
	v_lshl_add_u32 v0, v0, 23, v54
	v_lshlrev_b32_e32 v2, 20, v4
	v_lshlrev_b32_e32 v4, 24, v14
	v_and_b32_e32 v2, 0x700000, v2
	v_and_b32_e32 v4, 0x80000000, v4
	v_or3_b32 v2, v4, v0, v2
	v_cmp_ne_u16_sdwa s[42:43], v10, v3 src0_sel:BYTE_0 src1_sel:DWORD
	s_mov_b64 s[44:45], -1
	s_and_b64 vcc, exec, s[52:53]
                                        ; implicit-def: $vgpr4
	s_cbranch_vccz .LBB4_2109
; %bb.2096:                             ;   in Loop: Header=BB4_1767 Depth=4
	v_mov_b32_e32 v4, 0
	s_and_saveexec_b64 s[44:45], s[42:43]
	s_cbranch_execz .LBB4_2102
; %bb.2097:                             ;   in Loop: Header=BB4_1767 Depth=4
	v_cmp_ne_u16_sdwa vcc, v10, s80 src0_sel:BYTE_0 src1_sel:DWORD
	v_bfrev_b32_e32 v4, 1
	s_and_saveexec_b64 s[46:47], vcc
	s_cbranch_execz .LBB4_2101
; %bb.2098:                             ;   in Loop: Header=BB4_1767 Depth=4
	v_and_b32_e32 v0, 0x7f, v10
	v_cmp_ne_u32_e32 vcc, s81, v0
	v_mov_b32_e32 v4, 0x7f800001
	s_and_saveexec_b64 s[54:55], vcc
	s_cbranch_execz .LBB4_2100
; %bb.2099:                             ;   in Loop: Header=BB4_1767 Depth=4
	v_and_b32_e32 v4, 7, v10
	v_lshrrev_b32_e32 v5, 3, v0
	v_cmp_gt_u32_e32 vcc, 8, v0
	v_ffbh_u32_e32 v0, v4
	v_min_u32_e32 v0, 32, v0
	v_subrev_u32_e32 v4, 28, v0
	v_sub_u32_e32 v0, 29, v0
	v_cndmask_b32_e32 v4, 0, v4, vcc
	v_cndmask_b32_e32 v0, v5, v0, vcc
	v_lshlrev_b64 v[4:5], v4, v[10:11]
	v_lshlrev_b32_e32 v5, 24, v10
	v_lshlrev_b32_e32 v4, 20, v4
	v_and_b32_e32 v4, 0x700000, v4
	v_and_b32_e32 v5, 0x80000000, v5
	v_lshl_add_u32 v0, v0, 23, v54
	v_or3_b32 v4, v5, v0, v4
.LBB4_2100:                             ;   in Loop: Header=BB4_1767 Depth=4
	s_or_b64 exec, exec, s[54:55]
.LBB4_2101:                             ;   in Loop: Header=BB4_1767 Depth=4
	s_or_b64 exec, exec, s[46:47]
.LBB4_2102:                             ;   in Loop: Header=BB4_1767 Depth=4
	s_or_b64 exec, exec, s[44:45]
	v_cmp_gt_i16_sdwa s[46:47], v14, s81 src0_sel:BYTE_0 src1_sel:DWORD
	s_mov_b64 s[44:45], 0
	s_and_saveexec_b64 vcc, s[46:47]
	s_xor_b64 s[46:47], exec, vcc
	s_cbranch_execz .LBB4_2447
; %bb.2103:                             ;   in Loop: Header=BB4_1767 Depth=4
	v_cmp_eq_u16_sdwa s[54:55], v14, s80 src0_sel:BYTE_0 src1_sel:DWORD
	s_mov_b64 s[44:45], -1
	s_and_saveexec_b64 vcc, s[54:55]
; %bb.2104:                             ;   in Loop: Header=BB4_1767 Depth=4
	s_xor_b64 s[44:45], exec, -1
; %bb.2105:                             ;   in Loop: Header=BB4_1767 Depth=4
	s_or_b64 exec, exec, vcc
	s_and_b64 s[44:45], s[44:45], exec
	s_or_saveexec_b64 s[46:47], s[46:47]
	v_bfrev_b32_e32 v0, 1
	s_xor_b64 exec, exec, s[46:47]
	s_cbranch_execnz .LBB4_2448
.LBB4_2106:                             ;   in Loop: Header=BB4_1767 Depth=4
	s_or_b64 exec, exec, s[46:47]
	s_and_saveexec_b64 s[46:47], s[44:45]
.LBB4_2107:                             ;   in Loop: Header=BB4_1767 Depth=4
	v_mov_b32_e32 v0, 0x7f800001
	v_cndmask_b32_e64 v0, v2, v0, s[40:41]
.LBB4_2108:                             ;   in Loop: Header=BB4_1767 Depth=4
	s_or_b64 exec, exec, s[46:47]
	v_max_f32_e32 v0, v0, v0
	v_max_f32_e32 v4, v4, v4
	;; [unrolled: 1-line block ×3, first 2 shown]
	s_mov_b64 s[44:45], 0
.LBB4_2109:                             ;   in Loop: Header=BB4_1767 Depth=4
	s_and_b64 vcc, exec, s[44:45]
	s_cbranch_vccz .LBB4_2123
; %bb.2110:                             ;   in Loop: Header=BB4_1767 Depth=4
	v_mov_b32_e32 v4, 0
	s_and_saveexec_b64 s[44:45], s[42:43]
	s_cbranch_execz .LBB4_2116
; %bb.2111:                             ;   in Loop: Header=BB4_1767 Depth=4
	v_cmp_ne_u16_sdwa s[46:47], v10, s80 src0_sel:BYTE_0 src1_sel:DWORD
	v_bfrev_b32_e32 v4, 1
	s_and_saveexec_b64 s[42:43], s[46:47]
	s_cbranch_execz .LBB4_2115
; %bb.2112:                             ;   in Loop: Header=BB4_1767 Depth=4
	v_and_b32_e32 v0, 0x7f, v10
	v_cmp_ne_u32_e32 vcc, s81, v0
	v_mov_b32_e32 v4, 0x7f800001
	s_and_saveexec_b64 s[46:47], vcc
	s_cbranch_execz .LBB4_2114
; %bb.2113:                             ;   in Loop: Header=BB4_1767 Depth=4
	v_and_b32_e32 v4, 7, v10
	v_lshrrev_b32_e32 v5, 3, v0
	v_cmp_gt_u32_e32 vcc, 8, v0
	v_ffbh_u32_e32 v0, v4
	v_min_u32_e32 v0, 32, v0
	v_subrev_u32_e32 v4, 28, v0
	v_sub_u32_e32 v0, 29, v0
	v_cndmask_b32_e32 v4, 0, v4, vcc
	v_cndmask_b32_e32 v0, v5, v0, vcc
	v_lshlrev_b64 v[4:5], v4, v[10:11]
	v_lshlrev_b32_e32 v5, 24, v10
	v_lshlrev_b32_e32 v4, 20, v4
	v_and_b32_e32 v4, 0x700000, v4
	v_and_b32_e32 v5, 0x80000000, v5
	v_lshl_add_u32 v0, v0, 23, v54
	v_or3_b32 v4, v5, v0, v4
.LBB4_2114:                             ;   in Loop: Header=BB4_1767 Depth=4
	s_or_b64 exec, exec, s[46:47]
.LBB4_2115:                             ;   in Loop: Header=BB4_1767 Depth=4
	s_or_b64 exec, exec, s[42:43]
.LBB4_2116:                             ;   in Loop: Header=BB4_1767 Depth=4
	s_or_b64 exec, exec, s[44:45]
	v_cmp_gt_i16_sdwa s[44:45], v14, s81 src0_sel:BYTE_0 src1_sel:DWORD
	s_mov_b64 s[42:43], 0
	s_and_saveexec_b64 s[46:47], s[44:45]
	s_xor_b64 s[44:45], exec, s[46:47]
	s_cbranch_execz .LBB4_2449
; %bb.2117:                             ;   in Loop: Header=BB4_1767 Depth=4
	v_cmp_eq_u16_sdwa vcc, v14, s80 src0_sel:BYTE_0 src1_sel:DWORD
	s_mov_b64 s[42:43], -1
	s_and_saveexec_b64 s[46:47], vcc
; %bb.2118:                             ;   in Loop: Header=BB4_1767 Depth=4
	s_xor_b64 s[42:43], exec, -1
; %bb.2119:                             ;   in Loop: Header=BB4_1767 Depth=4
	s_or_b64 exec, exec, s[46:47]
	s_and_b64 s[42:43], s[42:43], exec
	s_or_saveexec_b64 s[44:45], s[44:45]
	v_bfrev_b32_e32 v0, 1
	s_xor_b64 exec, exec, s[44:45]
	s_cbranch_execnz .LBB4_2450
.LBB4_2120:                             ;   in Loop: Header=BB4_1767 Depth=4
	s_or_b64 exec, exec, s[44:45]
	s_and_saveexec_b64 s[44:45], s[42:43]
.LBB4_2121:                             ;   in Loop: Header=BB4_1767 Depth=4
	v_mov_b32_e32 v0, 0x7f800001
	v_cndmask_b32_e64 v0, v2, v0, s[40:41]
.LBB4_2122:                             ;   in Loop: Header=BB4_1767 Depth=4
	s_or_b64 exec, exec, s[44:45]
	v_max_f32_e32 v0, v0, v0
	v_max_f32_e32 v2, v4, v4
	v_min_f32_e32 v4, v2, v0
.LBB4_2123:                             ;   in Loop: Header=BB4_1767 Depth=4
	v_and_b32_e32 v2, 0x7f800000, v4
	v_cmp_ne_u64_e32 vcc, s[76:77], v[2:3]
                                        ; implicit-def: $vgpr35
	s_and_saveexec_b64 s[40:41], vcc
	s_xor_b64 s[42:43], exec, s[40:41]
	s_cbranch_execz .LBB4_2137
; %bb.2124:                             ;   in Loop: Header=BB4_1767 Depth=4
	v_and_b32_e32 v2, 0x7fffffff, v4
	v_cmp_gt_u64_e32 vcc, s[78:79], v[2:3]
	v_and_b32_sdwa v12, v4, s80 dst_sel:DWORD dst_unused:UNUSED_PAD src0_sel:BYTE_3 src1_sel:DWORD
                                        ; implicit-def: $vgpr35
	s_and_saveexec_b64 s[40:41], vcc
	s_xor_b64 s[44:45], exec, s[40:41]
	s_cbranch_execz .LBB4_2134
; %bb.2125:                             ;   in Loop: Header=BB4_1767 Depth=4
	v_mov_b32_e32 v35, 0
	v_cmp_ne_u32_e32 vcc, 0, v4
	s_and_saveexec_b64 s[46:47], vcc
	s_cbranch_execz .LBB4_2133
; %bb.2126:                             ;   in Loop: Header=BB4_1767 Depth=4
	v_bfe_u32 v13, v4, 23, 8
	v_cmp_gt_u32_e64 s[40:41], s83, v13
	v_sub_u32_e32 v0, 0x79, v13
	v_and_b32_e32 v2, 0x7fffff, v4
	v_cmp_eq_u32_e32 vcc, 0, v13
	v_cndmask_b32_e64 v0, 0, v0, s[40:41]
	v_mov_b32_e32 v5, 0x78
	v_or_b32_e32 v4, 0x800000, v2
	v_cndmask_b32_e32 v0, v0, v5, vcc
	v_cndmask_b32_e32 v2, v4, v2, vcc
	v_add_u32_e32 v4, 20, v0
	v_lshlrev_b64 v[4:5], v4, -1
	v_add_u32_e32 v8, 19, v0
	v_lshlrev_b64 v[8:9], v8, 1
	v_bfi_b32 v5, v5, 0, 0
	v_bfi_b32 v4, v4, 0, v2
	v_cmp_eq_u64_e64 s[40:41], v[4:5], v[8:9]
	v_lshrrev_b64 v[8:9], v0, v[2:3]
	v_mov_b32_e32 v4, v8
	v_mov_b32_e32 v5, v9
	s_and_saveexec_b64 s[54:55], s[40:41]
; %bb.2127:                             ;   in Loop: Header=BB4_1767 Depth=4
	v_bfe_u32 v2, v8, 20, 1
	v_add_co_u32_e64 v2, s[40:41], v8, v2
	v_add_co_u32_e64 v4, s[40:41], -1, v2
; %bb.2128:                             ;   in Loop: Header=BB4_1767 Depth=4
	s_or_b64 exec, exec, s[54:55]
	v_add_u32_e32 v2, 0xffffff81, v13
	v_mov_b32_e32 v5, 0xffffff82
	v_cndmask_b32_e32 v2, v2, v5, vcc
	v_lshrrev_b32_e32 v5, 23, v8
	v_add3_u32 v5, v0, v2, v5
	v_add_u32_e32 v0, 6, v5
	v_and_b32_e32 v2, 0xfffff, v4
	v_add_u32_e32 v2, v2, v8
	v_cmp_ne_u32_e32 vcc, 0, v0
                                        ; implicit-def: $vgpr8_vgpr9
                                        ; implicit-def: $vgpr4
	s_and_saveexec_b64 s[40:41], vcc
	s_xor_b64 s[40:41], exec, s[40:41]
; %bb.2129:                             ;   in Loop: Header=BB4_1767 Depth=4
	v_cmp_lt_u64_e32 vcc, s[88:89], v[2:3]
	v_add_u32_e32 v4, 7, v5
	v_cndmask_b32_e32 v4, v0, v4, vcc
	v_cndmask_b32_e64 v0, 0, 1, vcc
	v_lshrrev_b64 v[8:9], v0, v[2:3]
; %bb.2130:                             ;   in Loop: Header=BB4_1767 Depth=4
	s_andn2_saveexec_b64 s[40:41], s[40:41]
; %bb.2131:                             ;   in Loop: Header=BB4_1767 Depth=4
	v_mov_b32_e32 v9, v3
	v_bfe_u32 v4, v2, 23, 1
	v_mov_b32_e32 v8, v2
; %bb.2132:                             ;   in Loop: Header=BB4_1767 Depth=4
	s_or_b64 exec, exec, s[40:41]
	v_lshrrev_b64 v[8:9], 20, v[8:9]
	v_cmp_gt_i32_e32 vcc, 16, v4
	v_cndmask_b32_e32 v9, 0, v9, vcc
	v_cndmask_b32_e32 v8, 7, v8, vcc
	v_min_i32_e32 v0, 15, v4
	v_cmp_eq_u64_e64 s[40:41], 0, v[8:9]
	v_lshlrev_b32_e32 v0, 3, v0
	v_cmp_eq_u32_e32 vcc, 0, v4
	v_and_b32_e32 v0, 0xf8, v0
	v_and_or_b32 v0, v8, 7, v0
	s_and_b64 s[40:41], vcc, s[40:41]
	v_cndmask_b32_e64 v0, v0, 0, s[40:41]
	v_or_b32_e32 v35, v0, v12
.LBB4_2133:                             ;   in Loop: Header=BB4_1767 Depth=4
	s_or_b64 exec, exec, s[46:47]
                                        ; implicit-def: $vgpr12
.LBB4_2134:                             ;   in Loop: Header=BB4_1767 Depth=4
	s_andn2_saveexec_b64 s[40:41], s[44:45]
; %bb.2135:                             ;   in Loop: Header=BB4_1767 Depth=4
	v_or_b32_e32 v35, 0x7e, v12
; %bb.2136:                             ;   in Loop: Header=BB4_1767 Depth=4
	s_or_b64 exec, exec, s[40:41]
                                        ; implicit-def: $vgpr4
.LBB4_2137:                             ;   in Loop: Header=BB4_1767 Depth=4
	s_andn2_saveexec_b64 s[40:41], s[42:43]
; %bb.2138:                             ;   in Loop: Header=BB4_1767 Depth=4
	v_or_b32_sdwa v35, v4, s81 dst_sel:DWORD dst_unused:UNUSED_PAD src0_sel:BYTE_3 src1_sel:DWORD
; %bb.2139:                             ;   in Loop: Header=BB4_1767 Depth=4
	s_or_b64 exec, exec, s[40:41]
	v_lshrrev_b16_e32 v2, 8, v14
	v_and_b32_e32 v0, 7, v2
	v_and_b32_e32 v4, 0x7f, v2
	v_cmp_eq_u32_e64 s[40:41], s81, v4
	v_cmp_gt_u32_e32 vcc, 8, v4
	v_ffbh_u32_e32 v4, v0
	v_min_u32_e32 v12, 32, v4
	v_subrev_u32_e32 v4, 28, v12
	v_lshlrev_b64 v[4:5], v4, v[2:3]
	v_bfe_u32 v9, v2, 3, 4
	v_sub_u32_e32 v5, 29, v12
	v_and_b32_e32 v4, 7, v4
	v_cndmask_b32_e32 v5, v9, v5, vcc
	v_cndmask_b32_e32 v0, v0, v4, vcc
	v_lshlrev_b32_e32 v4, 24, v2
	v_lshrrev_b16_e32 v8, 8, v10
	v_lshlrev_b32_e32 v0, 20, v0
	v_and_b32_e32 v4, 0x80000000, v4
	v_lshl_add_u32 v5, v5, 23, v54
	v_or3_b32 v4, v4, v5, v0
	v_cmp_ne_u16_e64 s[42:43], 0, v8
	s_mov_b64 s[44:45], -1
	s_and_b64 vcc, exec, s[52:53]
                                        ; implicit-def: $vgpr5
	s_cbranch_vccz .LBB4_2153
; %bb.2140:                             ;   in Loop: Header=BB4_1767 Depth=4
	v_mov_b32_e32 v5, 0
	s_and_saveexec_b64 s[44:45], s[42:43]
	s_cbranch_execz .LBB4_2146
; %bb.2141:                             ;   in Loop: Header=BB4_1767 Depth=4
	v_cmp_ne_u16_e32 vcc, s80, v8
	v_bfrev_b32_e32 v5, 1
	s_and_saveexec_b64 s[46:47], vcc
	s_cbranch_execz .LBB4_2145
; %bb.2142:                             ;   in Loop: Header=BB4_1767 Depth=4
	v_and_b32_e32 v0, 0x7f, v8
	v_cmp_ne_u32_e32 vcc, s81, v0
	v_mov_b32_e32 v5, 0x7f800001
	s_and_saveexec_b64 s[54:55], vcc
	s_cbranch_execz .LBB4_2144
; %bb.2143:                             ;   in Loop: Header=BB4_1767 Depth=4
	v_and_b32_e32 v5, 7, v8
	v_lshrrev_b32_e32 v9, 3, v0
	v_cmp_gt_u32_e32 vcc, 8, v0
	v_ffbh_u32_e32 v0, v5
	v_min_u32_e32 v0, 32, v0
	v_subrev_u32_e32 v12, 28, v0
	v_lshlrev_b64 v[12:13], v12, v[8:9]
	v_sub_u32_e32 v0, 29, v0
	v_and_b32_e32 v12, 7, v12
	v_cndmask_b32_e32 v0, v9, v0, vcc
	v_cndmask_b32_e32 v5, v5, v12, vcc
	v_lshlrev_b32_e32 v9, 16, v10
	v_lshlrev_b32_e32 v5, 20, v5
	v_and_b32_e32 v9, 0x80000000, v9
	v_lshl_add_u32 v0, v0, 23, v54
	v_or3_b32 v5, v9, v0, v5
.LBB4_2144:                             ;   in Loop: Header=BB4_1767 Depth=4
	s_or_b64 exec, exec, s[54:55]
.LBB4_2145:                             ;   in Loop: Header=BB4_1767 Depth=4
	s_or_b64 exec, exec, s[46:47]
.LBB4_2146:                             ;   in Loop: Header=BB4_1767 Depth=4
	s_or_b64 exec, exec, s[44:45]
	v_cmp_lt_i16_e32 vcc, s81, v2
	s_mov_b64 s[44:45], 0
	s_and_saveexec_b64 s[46:47], vcc
	s_xor_b64 s[46:47], exec, s[46:47]
	s_cbranch_execz .LBB4_2451
; %bb.2147:                             ;   in Loop: Header=BB4_1767 Depth=4
	v_cmp_eq_u16_e32 vcc, s80, v2
	s_mov_b64 s[44:45], -1
	s_and_saveexec_b64 s[54:55], vcc
; %bb.2148:                             ;   in Loop: Header=BB4_1767 Depth=4
	s_xor_b64 s[44:45], exec, -1
; %bb.2149:                             ;   in Loop: Header=BB4_1767 Depth=4
	s_or_b64 exec, exec, s[54:55]
	s_and_b64 s[44:45], s[44:45], exec
	s_or_saveexec_b64 s[46:47], s[46:47]
	v_bfrev_b32_e32 v0, 1
	s_xor_b64 exec, exec, s[46:47]
	s_cbranch_execnz .LBB4_2452
.LBB4_2150:                             ;   in Loop: Header=BB4_1767 Depth=4
	s_or_b64 exec, exec, s[46:47]
	s_and_saveexec_b64 s[46:47], s[44:45]
.LBB4_2151:                             ;   in Loop: Header=BB4_1767 Depth=4
	v_mov_b32_e32 v0, 0x7f800001
	v_cndmask_b32_e64 v0, v4, v0, s[40:41]
.LBB4_2152:                             ;   in Loop: Header=BB4_1767 Depth=4
	s_or_b64 exec, exec, s[46:47]
	v_max_f32_e32 v0, v0, v0
	v_max_f32_e32 v5, v5, v5
	;; [unrolled: 1-line block ×3, first 2 shown]
	s_mov_b64 s[44:45], 0
.LBB4_2153:                             ;   in Loop: Header=BB4_1767 Depth=4
	s_and_b64 vcc, exec, s[44:45]
	s_cbranch_vccz .LBB4_2167
; %bb.2154:                             ;   in Loop: Header=BB4_1767 Depth=4
	v_mov_b32_e32 v5, 0
	s_and_saveexec_b64 s[44:45], s[42:43]
	s_cbranch_execz .LBB4_2160
; %bb.2155:                             ;   in Loop: Header=BB4_1767 Depth=4
	v_cmp_ne_u16_e32 vcc, s80, v8
	v_bfrev_b32_e32 v5, 1
	s_and_saveexec_b64 s[42:43], vcc
	s_cbranch_execz .LBB4_2159
; %bb.2156:                             ;   in Loop: Header=BB4_1767 Depth=4
	v_and_b32_e32 v0, 0x7f, v8
	v_cmp_ne_u32_e32 vcc, s81, v0
	v_mov_b32_e32 v5, 0x7f800001
	s_and_saveexec_b64 s[46:47], vcc
	s_cbranch_execz .LBB4_2158
; %bb.2157:                             ;   in Loop: Header=BB4_1767 Depth=4
	v_and_b32_e32 v5, 7, v8
	v_lshrrev_b32_e32 v12, 3, v0
	v_cmp_gt_u32_e32 vcc, 8, v0
	v_ffbh_u32_e32 v0, v5
	v_min_u32_e32 v0, 32, v0
	v_subrev_u32_e32 v9, 28, v0
	v_lshlrev_b64 v[8:9], v9, v[8:9]
	v_sub_u32_e32 v0, 29, v0
	v_and_b32_e32 v8, 7, v8
	v_cndmask_b32_e32 v0, v12, v0, vcc
	v_cndmask_b32_e32 v5, v5, v8, vcc
	v_lshlrev_b32_e32 v8, 16, v10
	v_lshlrev_b32_e32 v5, 20, v5
	v_and_b32_e32 v8, 0x80000000, v8
	v_lshl_add_u32 v0, v0, 23, v54
	v_or3_b32 v5, v8, v0, v5
.LBB4_2158:                             ;   in Loop: Header=BB4_1767 Depth=4
	s_or_b64 exec, exec, s[46:47]
.LBB4_2159:                             ;   in Loop: Header=BB4_1767 Depth=4
	s_or_b64 exec, exec, s[42:43]
.LBB4_2160:                             ;   in Loop: Header=BB4_1767 Depth=4
	s_or_b64 exec, exec, s[44:45]
	v_cmp_lt_i16_e32 vcc, s81, v2
	s_mov_b64 s[42:43], 0
	s_and_saveexec_b64 s[44:45], vcc
	s_xor_b64 s[44:45], exec, s[44:45]
	s_cbranch_execz .LBB4_2453
; %bb.2161:                             ;   in Loop: Header=BB4_1767 Depth=4
	v_cmp_eq_u16_e32 vcc, s80, v2
	s_mov_b64 s[42:43], -1
	s_and_saveexec_b64 s[46:47], vcc
; %bb.2162:                             ;   in Loop: Header=BB4_1767 Depth=4
	s_xor_b64 s[42:43], exec, -1
; %bb.2163:                             ;   in Loop: Header=BB4_1767 Depth=4
	s_or_b64 exec, exec, s[46:47]
	s_and_b64 s[42:43], s[42:43], exec
	s_or_saveexec_b64 s[44:45], s[44:45]
	v_bfrev_b32_e32 v0, 1
	s_xor_b64 exec, exec, s[44:45]
	s_cbranch_execnz .LBB4_2454
.LBB4_2164:                             ;   in Loop: Header=BB4_1767 Depth=4
	s_or_b64 exec, exec, s[44:45]
	s_and_saveexec_b64 s[44:45], s[42:43]
.LBB4_2165:                             ;   in Loop: Header=BB4_1767 Depth=4
	v_mov_b32_e32 v0, 0x7f800001
	v_cndmask_b32_e64 v0, v4, v0, s[40:41]
.LBB4_2166:                             ;   in Loop: Header=BB4_1767 Depth=4
	s_or_b64 exec, exec, s[44:45]
	v_max_f32_e32 v0, v0, v0
	v_max_f32_e32 v2, v5, v5
	v_min_f32_e32 v5, v2, v0
.LBB4_2167:                             ;   in Loop: Header=BB4_1767 Depth=4
	v_and_b32_e32 v2, 0x7f800000, v5
	v_cmp_ne_u64_e32 vcc, s[76:77], v[2:3]
                                        ; implicit-def: $vgpr36
	s_and_saveexec_b64 s[40:41], vcc
	s_xor_b64 s[42:43], exec, s[40:41]
	s_cbranch_execz .LBB4_2181
; %bb.2168:                             ;   in Loop: Header=BB4_1767 Depth=4
	v_and_b32_e32 v2, 0x7fffffff, v5
	v_cmp_gt_u64_e32 vcc, s[78:79], v[2:3]
	v_and_b32_sdwa v12, v5, s80 dst_sel:DWORD dst_unused:UNUSED_PAD src0_sel:BYTE_3 src1_sel:DWORD
                                        ; implicit-def: $vgpr36
	s_and_saveexec_b64 s[40:41], vcc
	s_xor_b64 s[44:45], exec, s[40:41]
	s_cbranch_execz .LBB4_2178
; %bb.2169:                             ;   in Loop: Header=BB4_1767 Depth=4
	v_mov_b32_e32 v36, 0
	v_cmp_ne_u32_e32 vcc, 0, v5
	s_and_saveexec_b64 s[46:47], vcc
	s_cbranch_execz .LBB4_2177
; %bb.2170:                             ;   in Loop: Header=BB4_1767 Depth=4
	v_bfe_u32 v13, v5, 23, 8
	v_cmp_gt_u32_e64 s[40:41], s83, v13
	v_sub_u32_e32 v0, 0x79, v13
	v_and_b32_e32 v2, 0x7fffff, v5
	v_cmp_eq_u32_e32 vcc, 0, v13
	v_cndmask_b32_e64 v0, 0, v0, s[40:41]
	v_mov_b32_e32 v5, 0x78
	v_or_b32_e32 v4, 0x800000, v2
	v_cndmask_b32_e32 v0, v0, v5, vcc
	v_cndmask_b32_e32 v2, v4, v2, vcc
	v_add_u32_e32 v4, 20, v0
	v_lshlrev_b64 v[4:5], v4, -1
	v_add_u32_e32 v8, 19, v0
	v_lshlrev_b64 v[8:9], v8, 1
	v_bfi_b32 v5, v5, 0, 0
	v_bfi_b32 v4, v4, 0, v2
	v_cmp_eq_u64_e64 s[40:41], v[4:5], v[8:9]
	v_lshrrev_b64 v[8:9], v0, v[2:3]
	v_mov_b32_e32 v4, v8
	v_mov_b32_e32 v5, v9
	s_and_saveexec_b64 s[54:55], s[40:41]
; %bb.2171:                             ;   in Loop: Header=BB4_1767 Depth=4
	v_bfe_u32 v2, v8, 20, 1
	v_add_co_u32_e64 v2, s[40:41], v8, v2
	v_add_co_u32_e64 v4, s[40:41], -1, v2
; %bb.2172:                             ;   in Loop: Header=BB4_1767 Depth=4
	s_or_b64 exec, exec, s[54:55]
	v_add_u32_e32 v2, 0xffffff81, v13
	v_mov_b32_e32 v5, 0xffffff82
	v_cndmask_b32_e32 v2, v2, v5, vcc
	v_lshrrev_b32_e32 v5, 23, v8
	v_add3_u32 v5, v0, v2, v5
	v_add_u32_e32 v0, 6, v5
	v_and_b32_e32 v2, 0xfffff, v4
	v_add_u32_e32 v2, v2, v8
	v_cmp_ne_u32_e32 vcc, 0, v0
                                        ; implicit-def: $vgpr8_vgpr9
                                        ; implicit-def: $vgpr4
	s_and_saveexec_b64 s[40:41], vcc
	s_xor_b64 s[40:41], exec, s[40:41]
; %bb.2173:                             ;   in Loop: Header=BB4_1767 Depth=4
	v_cmp_lt_u64_e32 vcc, s[88:89], v[2:3]
	v_add_u32_e32 v4, 7, v5
	v_cndmask_b32_e32 v4, v0, v4, vcc
	v_cndmask_b32_e64 v0, 0, 1, vcc
	v_lshrrev_b64 v[8:9], v0, v[2:3]
; %bb.2174:                             ;   in Loop: Header=BB4_1767 Depth=4
	s_andn2_saveexec_b64 s[40:41], s[40:41]
; %bb.2175:                             ;   in Loop: Header=BB4_1767 Depth=4
	v_mov_b32_e32 v9, v3
	v_bfe_u32 v4, v2, 23, 1
	v_mov_b32_e32 v8, v2
; %bb.2176:                             ;   in Loop: Header=BB4_1767 Depth=4
	s_or_b64 exec, exec, s[40:41]
	v_lshrrev_b64 v[8:9], 20, v[8:9]
	v_cmp_gt_i32_e32 vcc, 16, v4
	v_cndmask_b32_e32 v9, 0, v9, vcc
	v_cndmask_b32_e32 v8, 7, v8, vcc
	v_min_i32_e32 v0, 15, v4
	v_cmp_eq_u64_e64 s[40:41], 0, v[8:9]
	v_lshlrev_b32_e32 v0, 3, v0
	v_cmp_eq_u32_e32 vcc, 0, v4
	v_and_b32_e32 v0, 0xf8, v0
	v_and_or_b32 v0, v8, 7, v0
	s_and_b64 s[40:41], vcc, s[40:41]
	v_cndmask_b32_e64 v0, v0, 0, s[40:41]
	v_or_b32_e32 v36, v0, v12
.LBB4_2177:                             ;   in Loop: Header=BB4_1767 Depth=4
	s_or_b64 exec, exec, s[46:47]
                                        ; implicit-def: $vgpr12
.LBB4_2178:                             ;   in Loop: Header=BB4_1767 Depth=4
	s_andn2_saveexec_b64 s[40:41], s[44:45]
; %bb.2179:                             ;   in Loop: Header=BB4_1767 Depth=4
	v_or_b32_e32 v36, 0x7e, v12
; %bb.2180:                             ;   in Loop: Header=BB4_1767 Depth=4
	s_or_b64 exec, exec, s[40:41]
                                        ; implicit-def: $vgpr5
.LBB4_2181:                             ;   in Loop: Header=BB4_1767 Depth=4
	s_andn2_saveexec_b64 s[40:41], s[42:43]
; %bb.2182:                             ;   in Loop: Header=BB4_1767 Depth=4
	v_or_b32_sdwa v36, v5, s81 dst_sel:DWORD dst_unused:UNUSED_PAD src0_sel:BYTE_3 src1_sel:DWORD
; %bb.2183:                             ;   in Loop: Header=BB4_1767 Depth=4
	s_or_b64 exec, exec, s[40:41]
	v_bfe_u32 v0, v14, 16, 3
	v_bfe_u32 v4, v14, 16, 7
	v_cmp_eq_u32_e64 s[40:41], s81, v4
	v_cmp_gt_u32_e32 vcc, 8, v4
	v_ffbh_u32_e32 v4, v0
	v_min_u32_e32 v9, 32, v4
	v_lshrrev_b32_e32 v2, 16, v14
	v_subrev_u32_e32 v4, 28, v9
	v_lshlrev_b64 v[4:5], v4, v[2:3]
	v_bfe_u32 v8, v2, 3, 4
	v_sub_u32_e32 v5, 29, v9
	v_and_b32_e32 v4, 7, v4
	v_cndmask_b32_e32 v5, v8, v5, vcc
	v_cndmask_b32_e32 v0, v0, v4, vcc
	v_lshlrev_b32_e32 v4, 8, v14
	v_lshlrev_b32_e32 v0, 20, v0
	v_and_b32_e32 v4, 0x80000000, v4
	v_lshl_add_u32 v5, v5, 23, v54
	v_lshrrev_b32_e32 v8, 16, v10
	v_or3_b32 v4, v4, v5, v0
	v_cmp_ne_u16_sdwa s[42:43], v8, v3 src0_sel:BYTE_0 src1_sel:DWORD
	s_mov_b64 s[44:45], -1
	s_and_b64 vcc, exec, s[52:53]
                                        ; implicit-def: $vgpr5
	s_cbranch_vccz .LBB4_2197
; %bb.2184:                             ;   in Loop: Header=BB4_1767 Depth=4
	v_mov_b32_e32 v5, 0
	s_and_saveexec_b64 s[44:45], s[42:43]
	s_cbranch_execz .LBB4_2190
; %bb.2185:                             ;   in Loop: Header=BB4_1767 Depth=4
	v_cmp_ne_u16_sdwa vcc, v8, s80 src0_sel:BYTE_0 src1_sel:DWORD
	v_bfrev_b32_e32 v5, 1
	s_and_saveexec_b64 s[46:47], vcc
	s_cbranch_execz .LBB4_2189
; %bb.2186:                             ;   in Loop: Header=BB4_1767 Depth=4
	v_bfe_u32 v0, v10, 16, 7
	v_cmp_ne_u32_e32 vcc, s81, v0
	v_mov_b32_e32 v5, 0x7f800001
	s_and_saveexec_b64 s[54:55], vcc
	s_cbranch_execz .LBB4_2188
; %bb.2187:                             ;   in Loop: Header=BB4_1767 Depth=4
	v_and_b32_e32 v5, 7, v8
	v_lshrrev_b32_e32 v9, 3, v0
	v_cmp_gt_u32_e32 vcc, 8, v0
	v_ffbh_u32_e32 v0, v5
	v_min_u32_e32 v0, 32, v0
	v_subrev_u32_e32 v12, 28, v0
	v_lshlrev_b64 v[12:13], v12, v[8:9]
	v_sub_u32_e32 v0, 29, v0
	v_and_b32_e32 v12, 7, v12
	v_cndmask_b32_e32 v0, v9, v0, vcc
	v_cndmask_b32_e32 v5, v5, v12, vcc
	v_lshlrev_b32_e32 v9, 24, v8
	v_lshlrev_b32_e32 v5, 20, v5
	v_and_b32_e32 v9, 0x80000000, v9
	v_lshl_add_u32 v0, v0, 23, v54
	v_or3_b32 v5, v9, v0, v5
.LBB4_2188:                             ;   in Loop: Header=BB4_1767 Depth=4
	s_or_b64 exec, exec, s[54:55]
.LBB4_2189:                             ;   in Loop: Header=BB4_1767 Depth=4
	s_or_b64 exec, exec, s[46:47]
.LBB4_2190:                             ;   in Loop: Header=BB4_1767 Depth=4
	s_or_b64 exec, exec, s[44:45]
	v_cmp_gt_i16_sdwa s[46:47], v2, s81 src0_sel:BYTE_0 src1_sel:DWORD
	s_mov_b64 s[44:45], 0
	s_and_saveexec_b64 vcc, s[46:47]
	s_xor_b64 s[46:47], exec, vcc
	s_cbranch_execz .LBB4_2455
; %bb.2191:                             ;   in Loop: Header=BB4_1767 Depth=4
	v_cmp_eq_u16_sdwa s[54:55], v2, s80 src0_sel:BYTE_0 src1_sel:DWORD
	s_mov_b64 s[44:45], -1
	s_and_saveexec_b64 vcc, s[54:55]
; %bb.2192:                             ;   in Loop: Header=BB4_1767 Depth=4
	s_xor_b64 s[44:45], exec, -1
; %bb.2193:                             ;   in Loop: Header=BB4_1767 Depth=4
	s_or_b64 exec, exec, vcc
	s_and_b64 s[44:45], s[44:45], exec
	s_or_saveexec_b64 s[46:47], s[46:47]
	v_bfrev_b32_e32 v0, 1
	s_xor_b64 exec, exec, s[46:47]
	s_cbranch_execnz .LBB4_2456
.LBB4_2194:                             ;   in Loop: Header=BB4_1767 Depth=4
	s_or_b64 exec, exec, s[46:47]
	s_and_saveexec_b64 s[46:47], s[44:45]
.LBB4_2195:                             ;   in Loop: Header=BB4_1767 Depth=4
	v_mov_b32_e32 v0, 0x7f800001
	v_cndmask_b32_e64 v0, v4, v0, s[40:41]
.LBB4_2196:                             ;   in Loop: Header=BB4_1767 Depth=4
	s_or_b64 exec, exec, s[46:47]
	v_max_f32_e32 v0, v0, v0
	v_max_f32_e32 v5, v5, v5
	;; [unrolled: 1-line block ×3, first 2 shown]
	s_mov_b64 s[44:45], 0
.LBB4_2197:                             ;   in Loop: Header=BB4_1767 Depth=4
	s_and_b64 vcc, exec, s[44:45]
	s_cbranch_vccz .LBB4_2211
; %bb.2198:                             ;   in Loop: Header=BB4_1767 Depth=4
	v_mov_b32_e32 v5, 0
	s_and_saveexec_b64 s[44:45], s[42:43]
	s_cbranch_execz .LBB4_2204
; %bb.2199:                             ;   in Loop: Header=BB4_1767 Depth=4
	v_cmp_ne_u16_sdwa s[46:47], v8, s80 src0_sel:BYTE_0 src1_sel:DWORD
	v_bfrev_b32_e32 v5, 1
	s_and_saveexec_b64 s[42:43], s[46:47]
	s_cbranch_execz .LBB4_2203
; %bb.2200:                             ;   in Loop: Header=BB4_1767 Depth=4
	v_bfe_u32 v0, v10, 16, 7
	v_cmp_ne_u32_e32 vcc, s81, v0
	v_mov_b32_e32 v5, 0x7f800001
	s_and_saveexec_b64 s[46:47], vcc
	s_cbranch_execz .LBB4_2202
; %bb.2201:                             ;   in Loop: Header=BB4_1767 Depth=4
	v_and_b32_e32 v5, 7, v8
	v_lshrrev_b32_e32 v9, 3, v0
	v_cmp_gt_u32_e32 vcc, 8, v0
	v_ffbh_u32_e32 v0, v5
	v_min_u32_e32 v0, 32, v0
	v_subrev_u32_e32 v12, 28, v0
	v_lshlrev_b64 v[12:13], v12, v[8:9]
	v_sub_u32_e32 v0, 29, v0
	v_and_b32_e32 v12, 7, v12
	v_cndmask_b32_e32 v0, v9, v0, vcc
	v_cndmask_b32_e32 v5, v5, v12, vcc
	v_lshlrev_b32_e32 v8, 24, v8
	v_lshlrev_b32_e32 v5, 20, v5
	v_and_b32_e32 v8, 0x80000000, v8
	v_lshl_add_u32 v0, v0, 23, v54
	v_or3_b32 v5, v8, v0, v5
.LBB4_2202:                             ;   in Loop: Header=BB4_1767 Depth=4
	s_or_b64 exec, exec, s[46:47]
.LBB4_2203:                             ;   in Loop: Header=BB4_1767 Depth=4
	s_or_b64 exec, exec, s[42:43]
.LBB4_2204:                             ;   in Loop: Header=BB4_1767 Depth=4
	s_or_b64 exec, exec, s[44:45]
	v_cmp_gt_i16_sdwa s[44:45], v2, s81 src0_sel:BYTE_0 src1_sel:DWORD
	s_mov_b64 s[42:43], 0
	s_and_saveexec_b64 s[46:47], s[44:45]
	s_xor_b64 s[44:45], exec, s[46:47]
	s_cbranch_execz .LBB4_2457
; %bb.2205:                             ;   in Loop: Header=BB4_1767 Depth=4
	v_cmp_eq_u16_sdwa vcc, v2, s80 src0_sel:BYTE_0 src1_sel:DWORD
	s_mov_b64 s[42:43], -1
	s_and_saveexec_b64 s[46:47], vcc
; %bb.2206:                             ;   in Loop: Header=BB4_1767 Depth=4
	s_xor_b64 s[42:43], exec, -1
; %bb.2207:                             ;   in Loop: Header=BB4_1767 Depth=4
	s_or_b64 exec, exec, s[46:47]
	s_and_b64 s[42:43], s[42:43], exec
                                        ; implicit-def: $vgpr2
	s_or_saveexec_b64 s[44:45], s[44:45]
	v_bfrev_b32_e32 v0, 1
	s_xor_b64 exec, exec, s[44:45]
	s_cbranch_execnz .LBB4_2458
.LBB4_2208:                             ;   in Loop: Header=BB4_1767 Depth=4
	s_or_b64 exec, exec, s[44:45]
	s_and_saveexec_b64 s[44:45], s[42:43]
.LBB4_2209:                             ;   in Loop: Header=BB4_1767 Depth=4
	v_mov_b32_e32 v0, 0x7f800001
	v_cndmask_b32_e64 v0, v4, v0, s[40:41]
.LBB4_2210:                             ;   in Loop: Header=BB4_1767 Depth=4
	s_or_b64 exec, exec, s[44:45]
	v_max_f32_e32 v0, v0, v0
	v_max_f32_e32 v2, v5, v5
	v_min_f32_e32 v5, v2, v0
.LBB4_2211:                             ;   in Loop: Header=BB4_1767 Depth=4
	v_and_b32_e32 v2, 0x7f800000, v5
	v_cmp_ne_u64_e32 vcc, s[76:77], v[2:3]
                                        ; implicit-def: $vgpr37
	s_and_saveexec_b64 s[40:41], vcc
	s_xor_b64 s[42:43], exec, s[40:41]
	s_cbranch_execz .LBB4_2225
; %bb.2212:                             ;   in Loop: Header=BB4_1767 Depth=4
	v_and_b32_e32 v2, 0x7fffffff, v5
	v_cmp_gt_u64_e32 vcc, s[78:79], v[2:3]
	v_and_b32_sdwa v12, v5, s80 dst_sel:DWORD dst_unused:UNUSED_PAD src0_sel:BYTE_3 src1_sel:DWORD
                                        ; implicit-def: $vgpr37
	s_and_saveexec_b64 s[40:41], vcc
	s_xor_b64 s[44:45], exec, s[40:41]
	s_cbranch_execz .LBB4_2222
; %bb.2213:                             ;   in Loop: Header=BB4_1767 Depth=4
	v_mov_b32_e32 v37, 0
	v_cmp_ne_u32_e32 vcc, 0, v5
	s_and_saveexec_b64 s[46:47], vcc
	s_cbranch_execz .LBB4_2221
; %bb.2214:                             ;   in Loop: Header=BB4_1767 Depth=4
	v_bfe_u32 v13, v5, 23, 8
	v_cmp_gt_u32_e64 s[40:41], s83, v13
	v_sub_u32_e32 v0, 0x79, v13
	v_and_b32_e32 v2, 0x7fffff, v5
	v_cmp_eq_u32_e32 vcc, 0, v13
	v_cndmask_b32_e64 v0, 0, v0, s[40:41]
	v_mov_b32_e32 v5, 0x78
	v_or_b32_e32 v4, 0x800000, v2
	v_cndmask_b32_e32 v0, v0, v5, vcc
	v_cndmask_b32_e32 v2, v4, v2, vcc
	v_add_u32_e32 v4, 20, v0
	v_lshlrev_b64 v[4:5], v4, -1
	v_add_u32_e32 v8, 19, v0
	v_lshlrev_b64 v[8:9], v8, 1
	v_bfi_b32 v5, v5, 0, 0
	v_bfi_b32 v4, v4, 0, v2
	v_cmp_eq_u64_e64 s[40:41], v[4:5], v[8:9]
	v_lshrrev_b64 v[8:9], v0, v[2:3]
	v_mov_b32_e32 v4, v8
	v_mov_b32_e32 v5, v9
	s_and_saveexec_b64 s[54:55], s[40:41]
; %bb.2215:                             ;   in Loop: Header=BB4_1767 Depth=4
	v_bfe_u32 v2, v8, 20, 1
	v_add_co_u32_e64 v2, s[40:41], v8, v2
	v_add_co_u32_e64 v4, s[40:41], -1, v2
; %bb.2216:                             ;   in Loop: Header=BB4_1767 Depth=4
	s_or_b64 exec, exec, s[54:55]
	v_add_u32_e32 v2, 0xffffff81, v13
	v_mov_b32_e32 v5, 0xffffff82
	v_cndmask_b32_e32 v2, v2, v5, vcc
	v_lshrrev_b32_e32 v5, 23, v8
	v_add3_u32 v5, v0, v2, v5
	v_add_u32_e32 v0, 6, v5
	v_and_b32_e32 v2, 0xfffff, v4
	v_add_u32_e32 v2, v2, v8
	v_cmp_ne_u32_e32 vcc, 0, v0
                                        ; implicit-def: $vgpr8_vgpr9
                                        ; implicit-def: $vgpr4
	s_and_saveexec_b64 s[40:41], vcc
	s_xor_b64 s[40:41], exec, s[40:41]
; %bb.2217:                             ;   in Loop: Header=BB4_1767 Depth=4
	v_cmp_lt_u64_e32 vcc, s[88:89], v[2:3]
	v_add_u32_e32 v4, 7, v5
	v_cndmask_b32_e32 v4, v0, v4, vcc
	v_cndmask_b32_e64 v0, 0, 1, vcc
	v_lshrrev_b64 v[8:9], v0, v[2:3]
; %bb.2218:                             ;   in Loop: Header=BB4_1767 Depth=4
	s_andn2_saveexec_b64 s[40:41], s[40:41]
; %bb.2219:                             ;   in Loop: Header=BB4_1767 Depth=4
	v_mov_b32_e32 v9, v3
	v_bfe_u32 v4, v2, 23, 1
	v_mov_b32_e32 v8, v2
; %bb.2220:                             ;   in Loop: Header=BB4_1767 Depth=4
	s_or_b64 exec, exec, s[40:41]
	v_lshrrev_b64 v[8:9], 20, v[8:9]
	v_cmp_gt_i32_e32 vcc, 16, v4
	v_cndmask_b32_e32 v9, 0, v9, vcc
	v_cndmask_b32_e32 v8, 7, v8, vcc
	v_min_i32_e32 v0, 15, v4
	v_cmp_eq_u64_e64 s[40:41], 0, v[8:9]
	v_lshlrev_b32_e32 v0, 3, v0
	v_cmp_eq_u32_e32 vcc, 0, v4
	v_and_b32_e32 v0, 0xf8, v0
	v_and_or_b32 v0, v8, 7, v0
	s_and_b64 s[40:41], vcc, s[40:41]
	v_cndmask_b32_e64 v0, v0, 0, s[40:41]
	v_or_b32_e32 v37, v0, v12
.LBB4_2221:                             ;   in Loop: Header=BB4_1767 Depth=4
	s_or_b64 exec, exec, s[46:47]
                                        ; implicit-def: $vgpr12
.LBB4_2222:                             ;   in Loop: Header=BB4_1767 Depth=4
	s_andn2_saveexec_b64 s[40:41], s[44:45]
; %bb.2223:                             ;   in Loop: Header=BB4_1767 Depth=4
	v_or_b32_e32 v37, 0x7e, v12
; %bb.2224:                             ;   in Loop: Header=BB4_1767 Depth=4
	s_or_b64 exec, exec, s[40:41]
                                        ; implicit-def: $vgpr5
.LBB4_2225:                             ;   in Loop: Header=BB4_1767 Depth=4
	s_andn2_saveexec_b64 s[40:41], s[42:43]
; %bb.2226:                             ;   in Loop: Header=BB4_1767 Depth=4
	v_or_b32_sdwa v37, v5, s81 dst_sel:DWORD dst_unused:UNUSED_PAD src0_sel:BYTE_3 src1_sel:DWORD
; %bb.2227:                             ;   in Loop: Header=BB4_1767 Depth=4
	s_or_b64 exec, exec, s[40:41]
	v_bfe_u32 v8, v14, 24, 3
	v_bfe_u32 v4, v14, 24, 7
	v_cmp_eq_u32_e64 s[44:45], s81, v4
	v_cmp_gt_u32_e32 vcc, 8, v4
	v_ffbh_u32_e32 v4, v8
	v_min_u32_e32 v12, 32, v4
	v_lshrrev_b32_e32 v0, 24, v14
	v_subrev_u32_e32 v4, 28, v12
	v_lshlrev_b64 v[4:5], v4, v[0:1]
	v_bfe_u32 v9, v0, 3, 4
	v_cmp_eq_u32_e64 s[42:43], s80, v0
	v_sub_u32_e32 v0, 29, v12
	v_and_b32_e32 v4, 7, v4
	v_cndmask_b32_e32 v0, v9, v0, vcc
	v_cndmask_b32_e32 v4, v8, v4, vcc
	v_lshlrev_b32_e32 v4, 20, v4
	v_and_b32_e32 v5, 0x80000000, v14
	v_lshl_add_u32 v0, v0, 23, v54
	v_lshrrev_b32_e32 v2, 24, v10
	v_cmp_gt_u32_e64 s[40:41], s61, v14
	v_or3_b32 v4, v5, v0, v4
	v_cmp_lt_u32_e64 s[46:47], s63, v10
	s_mov_b64 s[54:55], -1
	s_and_b64 vcc, exec, s[52:53]
                                        ; implicit-def: $vgpr5
	s_cbranch_vccz .LBB4_2235
; %bb.2228:                             ;   in Loop: Header=BB4_1767 Depth=4
	v_mov_b32_e32 v0, 0
	s_and_saveexec_b64 s[54:55], s[46:47]
	s_cbranch_execz .LBB4_2234
; %bb.2229:                             ;   in Loop: Header=BB4_1767 Depth=4
	v_cmp_ne_u32_e32 vcc, s80, v2
	v_bfrev_b32_e32 v0, 1
	s_and_saveexec_b64 s[64:65], vcc
	s_cbranch_execz .LBB4_2233
; %bb.2230:                             ;   in Loop: Header=BB4_1767 Depth=4
	v_bfe_u32 v5, v10, 24, 7
	v_cmp_ne_u32_e32 vcc, s81, v5
	v_mov_b32_e32 v0, 0x7f800001
	s_and_saveexec_b64 s[66:67], vcc
	s_cbranch_execz .LBB4_2232
; %bb.2231:                             ;   in Loop: Header=BB4_1767 Depth=4
	v_and_b32_e32 v0, 7, v2
	v_lshrrev_b32_e32 v12, 3, v5
	v_cmp_gt_u32_e32 vcc, 8, v5
	v_ffbh_u32_e32 v5, v0
	v_min_u32_e32 v5, 32, v5
	v_subrev_u32_e32 v8, 28, v5
	v_lshlrev_b64 v[8:9], v8, v[2:3]
	v_sub_u32_e32 v5, 29, v5
	v_and_b32_e32 v8, 7, v8
	v_cndmask_b32_e32 v5, v12, v5, vcc
	v_cndmask_b32_e32 v0, v0, v8, vcc
	v_lshlrev_b32_e32 v8, 24, v2
	v_lshlrev_b32_e32 v0, 20, v0
	v_and_b32_e32 v8, 0x80000000, v8
	v_lshl_add_u32 v5, v5, 23, v54
	v_or3_b32 v0, v8, v5, v0
.LBB4_2232:                             ;   in Loop: Header=BB4_1767 Depth=4
	s_or_b64 exec, exec, s[66:67]
.LBB4_2233:                             ;   in Loop: Header=BB4_1767 Depth=4
	s_or_b64 exec, exec, s[64:65]
.LBB4_2234:                             ;   in Loop: Header=BB4_1767 Depth=4
	s_or_b64 exec, exec, s[54:55]
	v_mov_b32_e32 v5, 0x7f800001
	v_cndmask_b32_e64 v5, v4, v5, s[44:45]
	v_bfrev_b32_e32 v8, 1
	v_cndmask_b32_e64 v5, v5, v8, s[42:43]
	v_cndmask_b32_e64 v5, v5, 0, s[40:41]
	v_max_f32_e32 v5, v5, v5
	v_max_f32_e32 v0, v0, v0
	v_max_f32_e32 v5, v0, v5
	s_mov_b64 s[54:55], 0
.LBB4_2235:                             ;   in Loop: Header=BB4_1767 Depth=4
	s_and_b64 vcc, exec, s[54:55]
	s_cbranch_vccz .LBB4_2243
; %bb.2236:                             ;   in Loop: Header=BB4_1767 Depth=4
	v_mov_b32_e32 v0, 0
	s_and_saveexec_b64 s[54:55], s[46:47]
	s_cbranch_execz .LBB4_2242
; %bb.2237:                             ;   in Loop: Header=BB4_1767 Depth=4
	v_cmp_ne_u32_e32 vcc, s80, v2
	v_bfrev_b32_e32 v0, 1
	s_and_saveexec_b64 s[46:47], vcc
	s_cbranch_execz .LBB4_2241
; %bb.2238:                             ;   in Loop: Header=BB4_1767 Depth=4
	v_bfe_u32 v5, v10, 24, 7
	v_cmp_ne_u32_e32 vcc, s81, v5
	v_mov_b32_e32 v0, 0x7f800001
	s_and_saveexec_b64 s[64:65], vcc
	s_cbranch_execz .LBB4_2240
; %bb.2239:                             ;   in Loop: Header=BB4_1767 Depth=4
	v_and_b32_e32 v0, 7, v2
	v_lshrrev_b32_e32 v12, 3, v5
	v_cmp_gt_u32_e32 vcc, 8, v5
	v_ffbh_u32_e32 v5, v0
	v_min_u32_e32 v5, 32, v5
	v_subrev_u32_e32 v8, 28, v5
	v_lshlrev_b64 v[8:9], v8, v[2:3]
	v_sub_u32_e32 v5, 29, v5
	v_and_b32_e32 v8, 7, v8
	v_cndmask_b32_e32 v5, v12, v5, vcc
	v_cndmask_b32_e32 v0, v0, v8, vcc
	v_lshlrev_b32_e32 v2, 24, v2
	v_lshlrev_b32_e32 v0, 20, v0
	v_and_b32_e32 v2, 0x80000000, v2
	v_lshl_add_u32 v5, v5, 23, v54
	v_or3_b32 v0, v2, v5, v0
.LBB4_2240:                             ;   in Loop: Header=BB4_1767 Depth=4
	s_or_b64 exec, exec, s[64:65]
.LBB4_2241:                             ;   in Loop: Header=BB4_1767 Depth=4
	s_or_b64 exec, exec, s[46:47]
.LBB4_2242:                             ;   in Loop: Header=BB4_1767 Depth=4
	s_or_b64 exec, exec, s[54:55]
	v_mov_b32_e32 v2, 0x7f800001
	v_cndmask_b32_e64 v2, v4, v2, s[44:45]
	v_bfrev_b32_e32 v4, 1
	v_cndmask_b32_e64 v2, v2, v4, s[42:43]
	v_cndmask_b32_e64 v2, v2, 0, s[40:41]
	v_max_f32_e32 v2, v2, v2
	v_max_f32_e32 v0, v0, v0
	v_min_f32_e32 v5, v0, v2
.LBB4_2243:                             ;   in Loop: Header=BB4_1767 Depth=4
	v_and_b32_e32 v2, 0x7f800000, v5
	v_cmp_ne_u64_e32 vcc, s[76:77], v[2:3]
                                        ; implicit-def: $vgpr53
	s_and_saveexec_b64 s[40:41], vcc
	s_xor_b64 s[42:43], exec, s[40:41]
	s_cbranch_execz .LBB4_2257
; %bb.2244:                             ;   in Loop: Header=BB4_1767 Depth=4
	v_and_b32_e32 v2, 0x7fffffff, v5
	v_cmp_gt_u64_e32 vcc, s[78:79], v[2:3]
	v_and_b32_sdwa v12, v5, s80 dst_sel:DWORD dst_unused:UNUSED_PAD src0_sel:BYTE_3 src1_sel:DWORD
                                        ; implicit-def: $vgpr53
	s_and_saveexec_b64 s[40:41], vcc
	s_xor_b64 s[44:45], exec, s[40:41]
	s_cbranch_execz .LBB4_2254
; %bb.2245:                             ;   in Loop: Header=BB4_1767 Depth=4
	v_mov_b32_e32 v53, 0
	v_cmp_ne_u32_e32 vcc, 0, v5
	s_and_saveexec_b64 s[46:47], vcc
	s_cbranch_execz .LBB4_2253
; %bb.2246:                             ;   in Loop: Header=BB4_1767 Depth=4
	v_bfe_u32 v13, v5, 23, 8
	v_cmp_gt_u32_e64 s[40:41], s83, v13
	v_sub_u32_e32 v0, 0x79, v13
	v_and_b32_e32 v2, 0x7fffff, v5
	v_cmp_eq_u32_e32 vcc, 0, v13
	v_cndmask_b32_e64 v0, 0, v0, s[40:41]
	v_mov_b32_e32 v5, 0x78
	v_or_b32_e32 v4, 0x800000, v2
	v_cndmask_b32_e32 v0, v0, v5, vcc
	v_cndmask_b32_e32 v2, v4, v2, vcc
	v_add_u32_e32 v4, 20, v0
	v_lshlrev_b64 v[4:5], v4, -1
	v_add_u32_e32 v8, 19, v0
	v_lshlrev_b64 v[8:9], v8, 1
	v_bfi_b32 v5, v5, 0, 0
	v_bfi_b32 v4, v4, 0, v2
	v_cmp_eq_u64_e64 s[40:41], v[4:5], v[8:9]
	v_lshrrev_b64 v[8:9], v0, v[2:3]
	v_mov_b32_e32 v4, v8
	v_mov_b32_e32 v5, v9
	s_and_saveexec_b64 s[54:55], s[40:41]
; %bb.2247:                             ;   in Loop: Header=BB4_1767 Depth=4
	v_bfe_u32 v2, v8, 20, 1
	v_add_co_u32_e64 v2, s[40:41], v8, v2
	v_add_co_u32_e64 v4, s[40:41], -1, v2
; %bb.2248:                             ;   in Loop: Header=BB4_1767 Depth=4
	s_or_b64 exec, exec, s[54:55]
	v_add_u32_e32 v2, 0xffffff81, v13
	v_mov_b32_e32 v5, 0xffffff82
	v_cndmask_b32_e32 v2, v2, v5, vcc
	v_lshrrev_b32_e32 v5, 23, v8
	v_add3_u32 v5, v0, v2, v5
	v_add_u32_e32 v0, 6, v5
	v_and_b32_e32 v2, 0xfffff, v4
	v_add_u32_e32 v2, v2, v8
	v_cmp_ne_u32_e32 vcc, 0, v0
                                        ; implicit-def: $vgpr8_vgpr9
                                        ; implicit-def: $vgpr4
	s_and_saveexec_b64 s[40:41], vcc
	s_xor_b64 s[40:41], exec, s[40:41]
; %bb.2249:                             ;   in Loop: Header=BB4_1767 Depth=4
	v_cmp_lt_u64_e32 vcc, s[88:89], v[2:3]
	v_add_u32_e32 v4, 7, v5
	v_cndmask_b32_e32 v4, v0, v4, vcc
	v_cndmask_b32_e64 v0, 0, 1, vcc
	v_lshrrev_b64 v[8:9], v0, v[2:3]
; %bb.2250:                             ;   in Loop: Header=BB4_1767 Depth=4
	s_andn2_saveexec_b64 s[40:41], s[40:41]
; %bb.2251:                             ;   in Loop: Header=BB4_1767 Depth=4
	v_mov_b32_e32 v9, v3
	v_bfe_u32 v4, v2, 23, 1
	v_mov_b32_e32 v8, v2
; %bb.2252:                             ;   in Loop: Header=BB4_1767 Depth=4
	s_or_b64 exec, exec, s[40:41]
	v_lshrrev_b64 v[8:9], 20, v[8:9]
	v_cmp_gt_i32_e32 vcc, 16, v4
	v_cndmask_b32_e32 v9, 0, v9, vcc
	v_cndmask_b32_e32 v8, 7, v8, vcc
	v_min_i32_e32 v0, 15, v4
	v_cmp_eq_u64_e64 s[40:41], 0, v[8:9]
	v_lshlrev_b32_e32 v0, 3, v0
	v_cmp_eq_u32_e32 vcc, 0, v4
	v_and_b32_e32 v0, 0xf8, v0
	v_and_or_b32 v0, v8, 7, v0
	s_and_b64 s[40:41], vcc, s[40:41]
	v_cndmask_b32_e64 v0, v0, 0, s[40:41]
	v_or_b32_e32 v53, v0, v12
.LBB4_2253:                             ;   in Loop: Header=BB4_1767 Depth=4
	s_or_b64 exec, exec, s[46:47]
                                        ; implicit-def: $vgpr12
.LBB4_2254:                             ;   in Loop: Header=BB4_1767 Depth=4
	s_andn2_saveexec_b64 s[40:41], s[44:45]
; %bb.2255:                             ;   in Loop: Header=BB4_1767 Depth=4
	v_or_b32_e32 v53, 0x7e, v12
; %bb.2256:                             ;   in Loop: Header=BB4_1767 Depth=4
	s_or_b64 exec, exec, s[40:41]
                                        ; implicit-def: $vgpr5
.LBB4_2257:                             ;   in Loop: Header=BB4_1767 Depth=4
	s_andn2_saveexec_b64 s[40:41], s[42:43]
; %bb.2258:                             ;   in Loop: Header=BB4_1767 Depth=4
	v_or_b32_sdwa v53, v5, s81 dst_sel:DWORD dst_unused:UNUSED_PAD src0_sel:BYTE_3 src1_sel:DWORD
; %bb.2259:                             ;   in Loop: Header=BB4_1767 Depth=4
	s_or_b64 exec, exec, s[40:41]
	v_and_b32_e32 v0, 7, v15
	v_ffbh_u32_e32 v0, v0
	v_and_b32_e32 v4, 0x7f, v15
	v_min_u32_e32 v0, 32, v0
	v_cmp_eq_u32_e64 s[40:41], s81, v4
	v_cmp_gt_u32_e32 vcc, 8, v4
	v_subrev_u32_e32 v4, 28, v0
	v_mov_b32_e32 v8, v15
	v_mov_b32_e32 v9, v3
	v_bfe_u32 v5, v15, 3, 4
	v_sub_u32_e32 v0, 29, v0
	v_cndmask_b32_e32 v4, 0, v4, vcc
	v_cndmask_b32_e32 v0, v5, v0, vcc
	v_lshlrev_b64 v[4:5], v4, v[8:9]
	v_lshlrev_b32_e32 v5, 24, v15
	v_lshlrev_b32_e32 v4, 20, v4
	v_and_b32_e32 v4, 0x700000, v4
	v_and_b32_e32 v5, 0x80000000, v5
	v_lshl_add_u32 v0, v0, 23, v54
	v_mov_b32_e32 v2, v11
	v_or3_b32 v4, v5, v0, v4
	v_cmp_ne_u16_sdwa s[42:43], v11, v3 src0_sel:BYTE_0 src1_sel:DWORD
	s_mov_b64 s[44:45], -1
	s_and_b64 vcc, exec, s[52:53]
                                        ; implicit-def: $vgpr5
	s_cbranch_vccz .LBB4_2273
; %bb.2260:                             ;   in Loop: Header=BB4_1767 Depth=4
	v_mov_b32_e32 v5, 0
	s_and_saveexec_b64 s[44:45], s[42:43]
	s_cbranch_execz .LBB4_2266
; %bb.2261:                             ;   in Loop: Header=BB4_1767 Depth=4
	v_cmp_ne_u16_sdwa vcc, v11, s80 src0_sel:BYTE_0 src1_sel:DWORD
	v_bfrev_b32_e32 v5, 1
	s_and_saveexec_b64 s[46:47], vcc
	s_cbranch_execz .LBB4_2265
; %bb.2262:                             ;   in Loop: Header=BB4_1767 Depth=4
	v_and_b32_e32 v0, 0x7f, v11
	v_cmp_ne_u32_e32 vcc, s81, v0
	v_mov_b32_e32 v5, 0x7f800001
	s_and_saveexec_b64 s[54:55], vcc
	s_cbranch_execz .LBB4_2264
; %bb.2263:                             ;   in Loop: Header=BB4_1767 Depth=4
	v_and_b32_e32 v5, 7, v11
	v_lshrrev_b32_e32 v9, 3, v0
	v_cmp_gt_u32_e32 vcc, 8, v0
	v_ffbh_u32_e32 v0, v5
	v_min_u32_e32 v0, 32, v0
	v_subrev_u32_e32 v5, 28, v0
	v_cndmask_b32_e32 v5, 0, v5, vcc
	v_lshlrev_b64 v[12:13], v5, v[2:3]
	v_sub_u32_e32 v0, 29, v0
	v_cndmask_b32_e32 v0, v9, v0, vcc
	v_lshlrev_b32_e32 v5, 20, v12
	v_lshlrev_b32_e32 v9, 24, v2
	v_and_b32_e32 v5, 0x700000, v5
	v_and_b32_e32 v9, 0x80000000, v9
	v_lshl_add_u32 v0, v0, 23, v54
	v_or3_b32 v5, v9, v0, v5
.LBB4_2264:                             ;   in Loop: Header=BB4_1767 Depth=4
	s_or_b64 exec, exec, s[54:55]
.LBB4_2265:                             ;   in Loop: Header=BB4_1767 Depth=4
	s_or_b64 exec, exec, s[46:47]
.LBB4_2266:                             ;   in Loop: Header=BB4_1767 Depth=4
	s_or_b64 exec, exec, s[44:45]
	v_cmp_gt_i16_sdwa s[46:47], v15, s81 src0_sel:BYTE_0 src1_sel:DWORD
	s_mov_b64 s[44:45], 0
	s_and_saveexec_b64 vcc, s[46:47]
	s_xor_b64 s[46:47], exec, vcc
	s_cbranch_execz .LBB4_2459
; %bb.2267:                             ;   in Loop: Header=BB4_1767 Depth=4
	v_cmp_eq_u16_sdwa s[54:55], v15, s80 src0_sel:BYTE_0 src1_sel:DWORD
	s_mov_b64 s[44:45], -1
	s_and_saveexec_b64 vcc, s[54:55]
; %bb.2268:                             ;   in Loop: Header=BB4_1767 Depth=4
	s_xor_b64 s[44:45], exec, -1
; %bb.2269:                             ;   in Loop: Header=BB4_1767 Depth=4
	s_or_b64 exec, exec, vcc
	s_and_b64 s[44:45], s[44:45], exec
	s_or_saveexec_b64 s[46:47], s[46:47]
	v_bfrev_b32_e32 v0, 1
	s_xor_b64 exec, exec, s[46:47]
	s_cbranch_execnz .LBB4_2460
.LBB4_2270:                             ;   in Loop: Header=BB4_1767 Depth=4
	s_or_b64 exec, exec, s[46:47]
	s_and_saveexec_b64 s[46:47], s[44:45]
.LBB4_2271:                             ;   in Loop: Header=BB4_1767 Depth=4
	v_mov_b32_e32 v0, 0x7f800001
	v_cndmask_b32_e64 v0, v4, v0, s[40:41]
.LBB4_2272:                             ;   in Loop: Header=BB4_1767 Depth=4
	s_or_b64 exec, exec, s[46:47]
	v_max_f32_e32 v0, v0, v0
	v_max_f32_e32 v5, v5, v5
	;; [unrolled: 1-line block ×3, first 2 shown]
	s_mov_b64 s[44:45], 0
.LBB4_2273:                             ;   in Loop: Header=BB4_1767 Depth=4
	s_and_b64 vcc, exec, s[44:45]
	s_cbranch_vccz .LBB4_2287
; %bb.2274:                             ;   in Loop: Header=BB4_1767 Depth=4
	v_mov_b32_e32 v5, 0
	s_and_saveexec_b64 s[44:45], s[42:43]
	s_cbranch_execz .LBB4_2280
; %bb.2275:                             ;   in Loop: Header=BB4_1767 Depth=4
	v_cmp_ne_u16_sdwa s[46:47], v11, s80 src0_sel:BYTE_0 src1_sel:DWORD
	v_bfrev_b32_e32 v5, 1
	s_and_saveexec_b64 s[42:43], s[46:47]
	s_cbranch_execz .LBB4_2279
; %bb.2276:                             ;   in Loop: Header=BB4_1767 Depth=4
	v_and_b32_e32 v0, 0x7f, v11
	v_cmp_ne_u32_e32 vcc, s81, v0
	v_mov_b32_e32 v5, 0x7f800001
	s_and_saveexec_b64 s[46:47], vcc
	s_cbranch_execz .LBB4_2278
; %bb.2277:                             ;   in Loop: Header=BB4_1767 Depth=4
	v_and_b32_e32 v5, 7, v11
	v_lshrrev_b32_e32 v9, 3, v0
	v_cmp_gt_u32_e32 vcc, 8, v0
	v_ffbh_u32_e32 v0, v5
	v_min_u32_e32 v0, 32, v0
	v_subrev_u32_e32 v5, 28, v0
	v_cndmask_b32_e32 v5, 0, v5, vcc
	v_lshlrev_b64 v[12:13], v5, v[2:3]
	v_sub_u32_e32 v0, 29, v0
	v_cndmask_b32_e32 v0, v9, v0, vcc
	v_lshlrev_b32_e32 v5, 20, v12
	v_lshlrev_b32_e32 v9, 24, v2
	v_and_b32_e32 v5, 0x700000, v5
	v_and_b32_e32 v9, 0x80000000, v9
	v_lshl_add_u32 v0, v0, 23, v54
	v_or3_b32 v5, v9, v0, v5
.LBB4_2278:                             ;   in Loop: Header=BB4_1767 Depth=4
	s_or_b64 exec, exec, s[46:47]
.LBB4_2279:                             ;   in Loop: Header=BB4_1767 Depth=4
	s_or_b64 exec, exec, s[42:43]
.LBB4_2280:                             ;   in Loop: Header=BB4_1767 Depth=4
	s_or_b64 exec, exec, s[44:45]
	v_cmp_gt_i16_sdwa s[44:45], v15, s81 src0_sel:BYTE_0 src1_sel:DWORD
	s_mov_b64 s[42:43], 0
	s_and_saveexec_b64 s[46:47], s[44:45]
	s_xor_b64 s[44:45], exec, s[46:47]
	s_cbranch_execz .LBB4_2461
; %bb.2281:                             ;   in Loop: Header=BB4_1767 Depth=4
	v_cmp_eq_u16_sdwa vcc, v15, s80 src0_sel:BYTE_0 src1_sel:DWORD
	s_mov_b64 s[42:43], -1
	s_and_saveexec_b64 s[46:47], vcc
; %bb.2282:                             ;   in Loop: Header=BB4_1767 Depth=4
	s_xor_b64 s[42:43], exec, -1
; %bb.2283:                             ;   in Loop: Header=BB4_1767 Depth=4
	s_or_b64 exec, exec, s[46:47]
	s_and_b64 s[42:43], s[42:43], exec
	s_or_saveexec_b64 s[44:45], s[44:45]
	v_bfrev_b32_e32 v0, 1
	s_xor_b64 exec, exec, s[44:45]
	s_cbranch_execnz .LBB4_2462
.LBB4_2284:                             ;   in Loop: Header=BB4_1767 Depth=4
	s_or_b64 exec, exec, s[44:45]
	s_and_saveexec_b64 s[44:45], s[42:43]
.LBB4_2285:                             ;   in Loop: Header=BB4_1767 Depth=4
	v_mov_b32_e32 v0, 0x7f800001
	v_cndmask_b32_e64 v0, v4, v0, s[40:41]
.LBB4_2286:                             ;   in Loop: Header=BB4_1767 Depth=4
	s_or_b64 exec, exec, s[44:45]
	v_max_f32_e32 v0, v0, v0
	v_max_f32_e32 v4, v5, v5
	v_min_f32_e32 v5, v4, v0
.LBB4_2287:                             ;   in Loop: Header=BB4_1767 Depth=4
	v_and_b32_e32 v12, 0x7f800000, v5
	v_mov_b32_e32 v13, v3
	v_cmp_ne_u64_e32 vcc, s[76:77], v[12:13]
                                        ; implicit-def: $vgpr13
	s_and_saveexec_b64 s[40:41], vcc
	s_xor_b64 s[42:43], exec, s[40:41]
	s_cbranch_execz .LBB4_2301
; %bb.2288:                             ;   in Loop: Header=BB4_1767 Depth=4
	v_and_b32_e32 v12, 0x7fffffff, v5
	v_mov_b32_e32 v13, v3
	v_cmp_gt_u64_e32 vcc, s[78:79], v[12:13]
	v_and_b32_sdwa v9, v5, s80 dst_sel:DWORD dst_unused:UNUSED_PAD src0_sel:BYTE_3 src1_sel:DWORD
                                        ; implicit-def: $vgpr13
	s_and_saveexec_b64 s[40:41], vcc
	s_xor_b64 s[44:45], exec, s[40:41]
	s_cbranch_execz .LBB4_2298
; %bb.2289:                             ;   in Loop: Header=BB4_1767 Depth=4
	v_mov_b32_e32 v13, 0
	v_cmp_ne_u32_e32 vcc, 0, v5
	s_and_saveexec_b64 s[46:47], vcc
	s_cbranch_execz .LBB4_2297
; %bb.2290:                             ;   in Loop: Header=BB4_1767 Depth=4
	v_bfe_u32 v50, v5, 23, 8
	v_cmp_gt_u32_e64 s[40:41], s83, v50
	v_sub_u32_e32 v0, 0x79, v50
	v_cmp_eq_u32_e32 vcc, 0, v50
	v_cndmask_b32_e64 v0, 0, v0, s[40:41]
	v_mov_b32_e32 v12, 0x78
	v_cndmask_b32_e32 v0, v0, v12, vcc
	v_and_b32_e32 v4, 0x7fffff, v5
	v_add_u32_e32 v12, 20, v0
	v_or_b32_e32 v5, 0x800000, v4
	v_lshlrev_b64 v[12:13], v12, -1
	v_add_u32_e32 v55, 19, v0
	v_cndmask_b32_e32 v4, v5, v4, vcc
	v_lshlrev_b64 v[40:41], v55, 1
	v_mov_b32_e32 v5, v3
	v_bfi_b32 v13, v13, 0, 0
	v_bfi_b32 v12, v12, 0, v4
	v_cmp_eq_u64_e64 s[40:41], v[12:13], v[40:41]
	v_lshrrev_b64 v[12:13], v0, v[4:5]
	v_mov_b32_e32 v4, v12
	v_mov_b32_e32 v5, v13
	s_and_saveexec_b64 s[54:55], s[40:41]
; %bb.2291:                             ;   in Loop: Header=BB4_1767 Depth=4
	v_bfe_u32 v4, v12, 20, 1
	v_add_co_u32_e64 v4, s[40:41], v12, v4
	v_add_co_u32_e64 v4, s[40:41], -1, v4
; %bb.2292:                             ;   in Loop: Header=BB4_1767 Depth=4
	s_or_b64 exec, exec, s[54:55]
	v_add_u32_e32 v5, 0xffffff81, v50
	v_mov_b32_e32 v13, 0xffffff82
	v_cndmask_b32_e32 v5, v5, v13, vcc
	v_lshrrev_b32_e32 v13, 23, v12
	v_add3_u32 v5, v0, v5, v13
	v_add_u32_e32 v0, 6, v5
	v_and_b32_e32 v4, 0xfffff, v4
	v_add_u32_e32 v12, v4, v12
	v_mov_b32_e32 v13, v3
	v_cmp_ne_u32_e32 vcc, 0, v0
                                        ; implicit-def: $vgpr4
	s_and_saveexec_b64 s[40:41], vcc
	s_xor_b64 s[40:41], exec, s[40:41]
; %bb.2293:                             ;   in Loop: Header=BB4_1767 Depth=4
	v_cmp_lt_u64_e32 vcc, s[88:89], v[12:13]
	v_add_u32_e32 v4, 7, v5
	v_cndmask_b32_e32 v4, v0, v4, vcc
	v_cndmask_b32_e64 v0, 0, 1, vcc
	v_lshrrev_b64 v[12:13], v0, v[12:13]
; %bb.2294:                             ;   in Loop: Header=BB4_1767 Depth=4
	s_andn2_saveexec_b64 s[40:41], s[40:41]
; %bb.2295:                             ;   in Loop: Header=BB4_1767 Depth=4
	v_bfe_u32 v4, v12, 23, 1
; %bb.2296:                             ;   in Loop: Header=BB4_1767 Depth=4
	s_or_b64 exec, exec, s[40:41]
	v_lshrrev_b64 v[12:13], 20, v[12:13]
	v_cmp_gt_i32_e32 vcc, 16, v4
	v_cndmask_b32_e32 v13, 0, v13, vcc
	v_cndmask_b32_e32 v12, 7, v12, vcc
	v_min_i32_e32 v0, 15, v4
	v_cmp_eq_u64_e64 s[40:41], 0, v[12:13]
	v_lshlrev_b32_e32 v0, 3, v0
	v_cmp_eq_u32_e32 vcc, 0, v4
	v_and_b32_e32 v0, 0xf8, v0
	v_and_or_b32 v0, v12, 7, v0
	s_and_b64 s[40:41], vcc, s[40:41]
	v_cndmask_b32_e64 v0, v0, 0, s[40:41]
	v_or_b32_e32 v13, v0, v9
.LBB4_2297:                             ;   in Loop: Header=BB4_1767 Depth=4
	s_or_b64 exec, exec, s[46:47]
                                        ; implicit-def: $vgpr9
.LBB4_2298:                             ;   in Loop: Header=BB4_1767 Depth=4
	s_andn2_saveexec_b64 s[40:41], s[44:45]
; %bb.2299:                             ;   in Loop: Header=BB4_1767 Depth=4
	v_or_b32_e32 v13, 0x7e, v9
; %bb.2300:                             ;   in Loop: Header=BB4_1767 Depth=4
	s_or_b64 exec, exec, s[40:41]
                                        ; implicit-def: $vgpr5
.LBB4_2301:                             ;   in Loop: Header=BB4_1767 Depth=4
	s_andn2_saveexec_b64 s[40:41], s[42:43]
; %bb.2302:                             ;   in Loop: Header=BB4_1767 Depth=4
	v_or_b32_sdwa v13, v5, s81 dst_sel:DWORD dst_unused:UNUSED_PAD src0_sel:BYTE_3 src1_sel:DWORD
; %bb.2303:                             ;   in Loop: Header=BB4_1767 Depth=4
	s_or_b64 exec, exec, s[40:41]
	v_lshrrev_b16_e32 v8, 8, v8
	v_and_b32_e32 v0, 7, v8
	v_and_b32_e32 v4, 0x7f, v8
	v_cmp_eq_u32_e64 s[40:41], s81, v4
	v_cmp_gt_u32_e32 vcc, 8, v4
	v_ffbh_u32_e32 v4, v0
	v_min_u32_e32 v55, 32, v4
	v_mov_b32_e32 v9, v3
	v_subrev_u32_e32 v4, 28, v55
	v_lshlrev_b64 v[4:5], v4, v[8:9]
	v_bfe_u32 v50, v8, 3, 4
	v_sub_u32_e32 v5, 29, v55
	v_and_b32_e32 v4, 7, v4
	v_cndmask_b32_e32 v5, v50, v5, vcc
	v_cndmask_b32_e32 v0, v0, v4, vcc
	v_lshlrev_b32_e32 v4, 24, v8
	v_lshrrev_b16_e32 v12, 8, v2
	v_lshlrev_b32_e32 v0, 20, v0
	v_and_b32_e32 v4, 0x80000000, v4
	v_lshl_add_u32 v5, v5, 23, v54
	v_or3_b32 v4, v4, v5, v0
	v_cmp_ne_u16_e64 s[42:43], 0, v12
	s_mov_b64 s[44:45], -1
	s_and_b64 vcc, exec, s[52:53]
                                        ; implicit-def: $vgpr5
	s_cbranch_vccz .LBB4_2317
; %bb.2304:                             ;   in Loop: Header=BB4_1767 Depth=4
	v_mov_b32_e32 v5, 0
	s_and_saveexec_b64 s[44:45], s[42:43]
	s_cbranch_execz .LBB4_2310
; %bb.2305:                             ;   in Loop: Header=BB4_1767 Depth=4
	v_cmp_ne_u16_e32 vcc, s80, v12
	v_bfrev_b32_e32 v5, 1
	s_and_saveexec_b64 s[46:47], vcc
	s_cbranch_execz .LBB4_2309
; %bb.2306:                             ;   in Loop: Header=BB4_1767 Depth=4
	v_and_b32_e32 v0, 0x7f, v12
	v_cmp_ne_u32_e32 vcc, s81, v0
	v_mov_b32_e32 v5, 0x7f800001
	s_and_saveexec_b64 s[54:55], vcc
	s_cbranch_execz .LBB4_2308
; %bb.2307:                             ;   in Loop: Header=BB4_1767 Depth=4
	v_and_b32_e32 v5, 7, v12
	v_lshrrev_b32_e32 v9, 3, v0
	v_cmp_gt_u32_e32 vcc, 8, v0
	v_ffbh_u32_e32 v0, v5
	v_min_u32_e32 v0, 32, v0
	v_subrev_u32_e32 v50, 28, v0
	v_lshlrev_b64 v[40:41], v50, v[12:13]
	v_sub_u32_e32 v0, 29, v0
	v_and_b32_e32 v50, 7, v40
	v_cndmask_b32_e32 v0, v9, v0, vcc
	v_cndmask_b32_e32 v5, v5, v50, vcc
	v_lshlrev_b32_e32 v9, 16, v2
	v_lshlrev_b32_e32 v5, 20, v5
	v_and_b32_e32 v9, 0x80000000, v9
	v_lshl_add_u32 v0, v0, 23, v54
	v_or3_b32 v5, v9, v0, v5
.LBB4_2308:                             ;   in Loop: Header=BB4_1767 Depth=4
	s_or_b64 exec, exec, s[54:55]
.LBB4_2309:                             ;   in Loop: Header=BB4_1767 Depth=4
	s_or_b64 exec, exec, s[46:47]
.LBB4_2310:                             ;   in Loop: Header=BB4_1767 Depth=4
	s_or_b64 exec, exec, s[44:45]
	v_cmp_lt_i16_e32 vcc, s81, v8
	s_mov_b64 s[44:45], 0
	s_and_saveexec_b64 s[46:47], vcc
	s_xor_b64 s[46:47], exec, s[46:47]
	s_cbranch_execz .LBB4_2463
; %bb.2311:                             ;   in Loop: Header=BB4_1767 Depth=4
	v_cmp_eq_u16_e32 vcc, s80, v8
	s_mov_b64 s[44:45], -1
	s_and_saveexec_b64 s[54:55], vcc
; %bb.2312:                             ;   in Loop: Header=BB4_1767 Depth=4
	s_xor_b64 s[44:45], exec, -1
; %bb.2313:                             ;   in Loop: Header=BB4_1767 Depth=4
	s_or_b64 exec, exec, s[54:55]
	s_and_b64 s[44:45], s[44:45], exec
	s_or_saveexec_b64 s[46:47], s[46:47]
	v_bfrev_b32_e32 v0, 1
	s_xor_b64 exec, exec, s[46:47]
	s_cbranch_execnz .LBB4_2464
.LBB4_2314:                             ;   in Loop: Header=BB4_1767 Depth=4
	s_or_b64 exec, exec, s[46:47]
	s_and_saveexec_b64 s[46:47], s[44:45]
.LBB4_2315:                             ;   in Loop: Header=BB4_1767 Depth=4
	v_mov_b32_e32 v0, 0x7f800001
	v_cndmask_b32_e64 v0, v4, v0, s[40:41]
.LBB4_2316:                             ;   in Loop: Header=BB4_1767 Depth=4
	s_or_b64 exec, exec, s[46:47]
	v_max_f32_e32 v0, v0, v0
	v_max_f32_e32 v5, v5, v5
	;; [unrolled: 1-line block ×3, first 2 shown]
	s_mov_b64 s[44:45], 0
.LBB4_2317:                             ;   in Loop: Header=BB4_1767 Depth=4
	s_and_b64 vcc, exec, s[44:45]
	s_cbranch_vccz .LBB4_2331
; %bb.2318:                             ;   in Loop: Header=BB4_1767 Depth=4
	v_mov_b32_e32 v5, 0
	s_and_saveexec_b64 s[44:45], s[42:43]
	s_cbranch_execz .LBB4_2324
; %bb.2319:                             ;   in Loop: Header=BB4_1767 Depth=4
	v_cmp_ne_u16_e32 vcc, s80, v12
	v_bfrev_b32_e32 v5, 1
	s_and_saveexec_b64 s[42:43], vcc
	s_cbranch_execz .LBB4_2323
; %bb.2320:                             ;   in Loop: Header=BB4_1767 Depth=4
	v_and_b32_e32 v0, 0x7f, v12
	v_cmp_ne_u32_e32 vcc, s81, v0
	v_mov_b32_e32 v5, 0x7f800001
	s_and_saveexec_b64 s[46:47], vcc
	s_cbranch_execz .LBB4_2322
; %bb.2321:                             ;   in Loop: Header=BB4_1767 Depth=4
	v_and_b32_e32 v5, 7, v12
	v_lshrrev_b32_e32 v9, 3, v0
	v_cmp_gt_u32_e32 vcc, 8, v0
	v_ffbh_u32_e32 v0, v5
	v_min_u32_e32 v0, 32, v0
	v_subrev_u32_e32 v50, 28, v0
	v_lshlrev_b64 v[40:41], v50, v[12:13]
	v_sub_u32_e32 v0, 29, v0
	v_and_b32_e32 v12, 7, v40
	v_cndmask_b32_e32 v0, v9, v0, vcc
	v_cndmask_b32_e32 v5, v5, v12, vcc
	v_lshlrev_b32_e32 v2, 16, v2
	v_lshlrev_b32_e32 v5, 20, v5
	v_and_b32_e32 v2, 0x80000000, v2
	v_lshl_add_u32 v0, v0, 23, v54
	v_or3_b32 v5, v2, v0, v5
.LBB4_2322:                             ;   in Loop: Header=BB4_1767 Depth=4
	s_or_b64 exec, exec, s[46:47]
.LBB4_2323:                             ;   in Loop: Header=BB4_1767 Depth=4
	s_or_b64 exec, exec, s[42:43]
.LBB4_2324:                             ;   in Loop: Header=BB4_1767 Depth=4
	s_or_b64 exec, exec, s[44:45]
	v_cmp_lt_i16_e32 vcc, s81, v8
	s_mov_b64 s[42:43], 0
	s_and_saveexec_b64 s[44:45], vcc
	s_xor_b64 s[44:45], exec, s[44:45]
	s_cbranch_execz .LBB4_2465
; %bb.2325:                             ;   in Loop: Header=BB4_1767 Depth=4
	v_cmp_eq_u16_e32 vcc, s80, v8
	s_mov_b64 s[42:43], -1
	s_and_saveexec_b64 s[46:47], vcc
; %bb.2326:                             ;   in Loop: Header=BB4_1767 Depth=4
	s_xor_b64 s[42:43], exec, -1
; %bb.2327:                             ;   in Loop: Header=BB4_1767 Depth=4
	s_or_b64 exec, exec, s[46:47]
	s_and_b64 s[42:43], s[42:43], exec
                                        ; implicit-def: $vgpr8
	s_or_saveexec_b64 s[44:45], s[44:45]
	v_bfrev_b32_e32 v0, 1
	s_xor_b64 exec, exec, s[44:45]
	s_cbranch_execnz .LBB4_2466
.LBB4_2328:                             ;   in Loop: Header=BB4_1767 Depth=4
	s_or_b64 exec, exec, s[44:45]
	s_and_saveexec_b64 s[44:45], s[42:43]
.LBB4_2329:                             ;   in Loop: Header=BB4_1767 Depth=4
	v_mov_b32_e32 v0, 0x7f800001
	v_cndmask_b32_e64 v0, v4, v0, s[40:41]
.LBB4_2330:                             ;   in Loop: Header=BB4_1767 Depth=4
	s_or_b64 exec, exec, s[44:45]
	v_max_f32_e32 v0, v0, v0
	v_max_f32_e32 v2, v5, v5
	v_min_f32_e32 v5, v2, v0
.LBB4_2331:                             ;   in Loop: Header=BB4_1767 Depth=4
	v_and_b32_e32 v2, 0x7f800000, v5
	v_cmp_ne_u64_e32 vcc, s[76:77], v[2:3]
                                        ; implicit-def: $vgpr12
	s_and_saveexec_b64 s[40:41], vcc
	s_xor_b64 s[42:43], exec, s[40:41]
	s_cbranch_execz .LBB4_2345
; %bb.2332:                             ;   in Loop: Header=BB4_1767 Depth=4
	v_and_b32_e32 v2, 0x7fffffff, v5
	v_cmp_gt_u64_e32 vcc, s[78:79], v[2:3]
	v_and_b32_sdwa v50, v5, s80 dst_sel:DWORD dst_unused:UNUSED_PAD src0_sel:BYTE_3 src1_sel:DWORD
                                        ; implicit-def: $vgpr12
	s_and_saveexec_b64 s[40:41], vcc
	s_xor_b64 s[44:45], exec, s[40:41]
	s_cbranch_execz .LBB4_2342
; %bb.2333:                             ;   in Loop: Header=BB4_1767 Depth=4
	v_mov_b32_e32 v12, 0
	v_cmp_ne_u32_e32 vcc, 0, v5
	s_and_saveexec_b64 s[46:47], vcc
	s_cbranch_execz .LBB4_2341
; %bb.2334:                             ;   in Loop: Header=BB4_1767 Depth=4
	v_bfe_u32 v12, v5, 23, 8
	v_cmp_gt_u32_e64 s[40:41], s83, v12
	v_sub_u32_e32 v0, 0x79, v12
	v_and_b32_e32 v2, 0x7fffff, v5
	v_cmp_eq_u32_e32 vcc, 0, v12
	v_cndmask_b32_e64 v0, 0, v0, s[40:41]
	v_mov_b32_e32 v5, 0x78
	v_or_b32_e32 v4, 0x800000, v2
	v_cndmask_b32_e32 v0, v0, v5, vcc
	v_cndmask_b32_e32 v2, v4, v2, vcc
	v_add_u32_e32 v4, 20, v0
	v_lshlrev_b64 v[4:5], v4, -1
	v_add_u32_e32 v8, 19, v0
	v_lshlrev_b64 v[8:9], v8, 1
	v_bfi_b32 v5, v5, 0, 0
	v_bfi_b32 v4, v4, 0, v2
	v_cmp_eq_u64_e64 s[40:41], v[4:5], v[8:9]
	v_lshrrev_b64 v[8:9], v0, v[2:3]
	v_mov_b32_e32 v4, v8
	v_mov_b32_e32 v5, v9
	s_and_saveexec_b64 s[54:55], s[40:41]
; %bb.2335:                             ;   in Loop: Header=BB4_1767 Depth=4
	v_bfe_u32 v2, v8, 20, 1
	v_add_co_u32_e64 v2, s[40:41], v8, v2
	v_add_co_u32_e64 v4, s[40:41], -1, v2
; %bb.2336:                             ;   in Loop: Header=BB4_1767 Depth=4
	s_or_b64 exec, exec, s[54:55]
	v_add_u32_e32 v2, 0xffffff81, v12
	v_mov_b32_e32 v5, 0xffffff82
	v_cndmask_b32_e32 v2, v2, v5, vcc
	v_lshrrev_b32_e32 v5, 23, v8
	v_add3_u32 v5, v0, v2, v5
	v_add_u32_e32 v0, 6, v5
	v_and_b32_e32 v2, 0xfffff, v4
	v_add_u32_e32 v2, v2, v8
	v_cmp_ne_u32_e32 vcc, 0, v0
                                        ; implicit-def: $vgpr8_vgpr9
                                        ; implicit-def: $vgpr4
	s_and_saveexec_b64 s[40:41], vcc
	s_xor_b64 s[40:41], exec, s[40:41]
; %bb.2337:                             ;   in Loop: Header=BB4_1767 Depth=4
	v_cmp_lt_u64_e32 vcc, s[88:89], v[2:3]
	v_add_u32_e32 v4, 7, v5
	v_cndmask_b32_e32 v4, v0, v4, vcc
	v_cndmask_b32_e64 v0, 0, 1, vcc
	v_lshrrev_b64 v[8:9], v0, v[2:3]
; %bb.2338:                             ;   in Loop: Header=BB4_1767 Depth=4
	s_andn2_saveexec_b64 s[40:41], s[40:41]
; %bb.2339:                             ;   in Loop: Header=BB4_1767 Depth=4
	v_mov_b32_e32 v9, v3
	v_bfe_u32 v4, v2, 23, 1
	v_mov_b32_e32 v8, v2
; %bb.2340:                             ;   in Loop: Header=BB4_1767 Depth=4
	s_or_b64 exec, exec, s[40:41]
	v_lshrrev_b64 v[8:9], 20, v[8:9]
	v_cmp_gt_i32_e32 vcc, 16, v4
	v_cndmask_b32_e32 v9, 0, v9, vcc
	v_cndmask_b32_e32 v8, 7, v8, vcc
	v_min_i32_e32 v0, 15, v4
	v_cmp_eq_u64_e64 s[40:41], 0, v[8:9]
	v_lshlrev_b32_e32 v0, 3, v0
	v_cmp_eq_u32_e32 vcc, 0, v4
	v_and_b32_e32 v0, 0xf8, v0
	v_and_or_b32 v0, v8, 7, v0
	s_and_b64 s[40:41], vcc, s[40:41]
	v_cndmask_b32_e64 v0, v0, 0, s[40:41]
	v_or_b32_e32 v12, v0, v50
.LBB4_2341:                             ;   in Loop: Header=BB4_1767 Depth=4
	s_or_b64 exec, exec, s[46:47]
                                        ; implicit-def: $vgpr50
.LBB4_2342:                             ;   in Loop: Header=BB4_1767 Depth=4
	s_andn2_saveexec_b64 s[40:41], s[44:45]
; %bb.2343:                             ;   in Loop: Header=BB4_1767 Depth=4
	v_or_b32_e32 v12, 0x7e, v50
; %bb.2344:                             ;   in Loop: Header=BB4_1767 Depth=4
	s_or_b64 exec, exec, s[40:41]
                                        ; implicit-def: $vgpr5
.LBB4_2345:                             ;   in Loop: Header=BB4_1767 Depth=4
	s_andn2_saveexec_b64 s[40:41], s[42:43]
; %bb.2346:                             ;   in Loop: Header=BB4_1767 Depth=4
	v_or_b32_sdwa v12, v5, s81 dst_sel:DWORD dst_unused:UNUSED_PAD src0_sel:BYTE_3 src1_sel:DWORD
; %bb.2347:                             ;   in Loop: Header=BB4_1767 Depth=4
	s_or_b64 exec, exec, s[40:41]
	v_bfe_u32 v0, v15, 16, 3
	v_bfe_u32 v4, v15, 16, 7
	v_cmp_eq_u32_e64 s[40:41], s81, v4
	v_cmp_gt_u32_e32 vcc, 8, v4
	v_ffbh_u32_e32 v4, v0
	v_min_u32_e32 v9, 32, v4
	v_lshrrev_b32_e32 v2, 16, v15
	v_subrev_u32_e32 v4, 28, v9
	v_lshlrev_b64 v[4:5], v4, v[2:3]
	v_bfe_u32 v8, v2, 3, 4
	v_sub_u32_e32 v5, 29, v9
	v_and_b32_e32 v4, 7, v4
	v_cndmask_b32_e32 v5, v8, v5, vcc
	v_cndmask_b32_e32 v0, v0, v4, vcc
	v_lshlrev_b32_e32 v4, 8, v15
	v_lshlrev_b32_e32 v0, 20, v0
	v_and_b32_e32 v4, 0x80000000, v4
	v_lshl_add_u32 v5, v5, 23, v54
	v_lshrrev_b32_e32 v8, 16, v11
	v_or3_b32 v4, v4, v5, v0
	v_cmp_ne_u16_sdwa s[42:43], v8, v3 src0_sel:BYTE_0 src1_sel:DWORD
	s_mov_b64 s[44:45], -1
	s_and_b64 vcc, exec, s[52:53]
                                        ; implicit-def: $vgpr5
	s_cbranch_vccz .LBB4_2361
; %bb.2348:                             ;   in Loop: Header=BB4_1767 Depth=4
	v_mov_b32_e32 v5, 0
	s_and_saveexec_b64 s[44:45], s[42:43]
	s_cbranch_execz .LBB4_2354
; %bb.2349:                             ;   in Loop: Header=BB4_1767 Depth=4
	v_cmp_ne_u16_sdwa vcc, v8, s80 src0_sel:BYTE_0 src1_sel:DWORD
	v_bfrev_b32_e32 v5, 1
	s_and_saveexec_b64 s[46:47], vcc
	s_cbranch_execz .LBB4_2353
; %bb.2350:                             ;   in Loop: Header=BB4_1767 Depth=4
	v_bfe_u32 v0, v11, 16, 7
	v_cmp_ne_u32_e32 vcc, s81, v0
	v_mov_b32_e32 v5, 0x7f800001
	s_and_saveexec_b64 s[54:55], vcc
	s_cbranch_execz .LBB4_2352
; %bb.2351:                             ;   in Loop: Header=BB4_1767 Depth=4
	v_and_b32_e32 v5, 7, v8
	v_lshrrev_b32_e32 v9, 3, v0
	v_cmp_gt_u32_e32 vcc, 8, v0
	v_ffbh_u32_e32 v0, v5
	v_min_u32_e32 v0, 32, v0
	v_subrev_u32_e32 v50, 28, v0
	v_lshlrev_b64 v[40:41], v50, v[8:9]
	v_sub_u32_e32 v0, 29, v0
	v_and_b32_e32 v50, 7, v40
	v_cndmask_b32_e32 v0, v9, v0, vcc
	v_cndmask_b32_e32 v5, v5, v50, vcc
	v_lshlrev_b32_e32 v9, 24, v8
	v_lshlrev_b32_e32 v5, 20, v5
	v_and_b32_e32 v9, 0x80000000, v9
	v_lshl_add_u32 v0, v0, 23, v54
	v_or3_b32 v5, v9, v0, v5
.LBB4_2352:                             ;   in Loop: Header=BB4_1767 Depth=4
	s_or_b64 exec, exec, s[54:55]
.LBB4_2353:                             ;   in Loop: Header=BB4_1767 Depth=4
	s_or_b64 exec, exec, s[46:47]
.LBB4_2354:                             ;   in Loop: Header=BB4_1767 Depth=4
	s_or_b64 exec, exec, s[44:45]
	v_cmp_gt_i16_sdwa s[46:47], v2, s81 src0_sel:BYTE_0 src1_sel:DWORD
	s_mov_b64 s[44:45], 0
	s_and_saveexec_b64 vcc, s[46:47]
	s_xor_b64 s[46:47], exec, vcc
	s_cbranch_execz .LBB4_2467
; %bb.2355:                             ;   in Loop: Header=BB4_1767 Depth=4
	v_cmp_eq_u16_sdwa s[54:55], v2, s80 src0_sel:BYTE_0 src1_sel:DWORD
	s_mov_b64 s[44:45], -1
	s_and_saveexec_b64 vcc, s[54:55]
; %bb.2356:                             ;   in Loop: Header=BB4_1767 Depth=4
	s_xor_b64 s[44:45], exec, -1
; %bb.2357:                             ;   in Loop: Header=BB4_1767 Depth=4
	s_or_b64 exec, exec, vcc
	s_and_b64 s[44:45], s[44:45], exec
	s_or_saveexec_b64 s[46:47], s[46:47]
	v_bfrev_b32_e32 v0, 1
	s_xor_b64 exec, exec, s[46:47]
	s_cbranch_execnz .LBB4_2468
.LBB4_2358:                             ;   in Loop: Header=BB4_1767 Depth=4
	s_or_b64 exec, exec, s[46:47]
	s_and_saveexec_b64 s[46:47], s[44:45]
.LBB4_2359:                             ;   in Loop: Header=BB4_1767 Depth=4
	v_mov_b32_e32 v0, 0x7f800001
	v_cndmask_b32_e64 v0, v4, v0, s[40:41]
.LBB4_2360:                             ;   in Loop: Header=BB4_1767 Depth=4
	s_or_b64 exec, exec, s[46:47]
	v_max_f32_e32 v0, v0, v0
	v_max_f32_e32 v5, v5, v5
	;; [unrolled: 1-line block ×3, first 2 shown]
	s_mov_b64 s[44:45], 0
.LBB4_2361:                             ;   in Loop: Header=BB4_1767 Depth=4
	s_and_b64 vcc, exec, s[44:45]
	s_cbranch_vccz .LBB4_2375
; %bb.2362:                             ;   in Loop: Header=BB4_1767 Depth=4
	v_mov_b32_e32 v5, 0
	s_and_saveexec_b64 s[44:45], s[42:43]
	s_cbranch_execz .LBB4_2368
; %bb.2363:                             ;   in Loop: Header=BB4_1767 Depth=4
	v_cmp_ne_u16_sdwa s[46:47], v8, s80 src0_sel:BYTE_0 src1_sel:DWORD
	v_bfrev_b32_e32 v5, 1
	s_and_saveexec_b64 s[42:43], s[46:47]
	s_cbranch_execz .LBB4_2367
; %bb.2364:                             ;   in Loop: Header=BB4_1767 Depth=4
	v_bfe_u32 v0, v11, 16, 7
	v_cmp_ne_u32_e32 vcc, s81, v0
	v_mov_b32_e32 v5, 0x7f800001
	s_and_saveexec_b64 s[46:47], vcc
	s_cbranch_execz .LBB4_2366
; %bb.2365:                             ;   in Loop: Header=BB4_1767 Depth=4
	v_and_b32_e32 v5, 7, v8
	v_lshrrev_b32_e32 v9, 3, v0
	v_cmp_gt_u32_e32 vcc, 8, v0
	v_ffbh_u32_e32 v0, v5
	v_min_u32_e32 v0, 32, v0
	v_subrev_u32_e32 v50, 28, v0
	v_lshlrev_b64 v[40:41], v50, v[8:9]
	v_sub_u32_e32 v0, 29, v0
	v_and_b32_e32 v50, 7, v40
	v_cndmask_b32_e32 v0, v9, v0, vcc
	v_cndmask_b32_e32 v5, v5, v50, vcc
	v_lshlrev_b32_e32 v8, 24, v8
	v_lshlrev_b32_e32 v5, 20, v5
	v_and_b32_e32 v8, 0x80000000, v8
	v_lshl_add_u32 v0, v0, 23, v54
	v_or3_b32 v5, v8, v0, v5
.LBB4_2366:                             ;   in Loop: Header=BB4_1767 Depth=4
	s_or_b64 exec, exec, s[46:47]
.LBB4_2367:                             ;   in Loop: Header=BB4_1767 Depth=4
	s_or_b64 exec, exec, s[42:43]
.LBB4_2368:                             ;   in Loop: Header=BB4_1767 Depth=4
	s_or_b64 exec, exec, s[44:45]
	v_cmp_gt_i16_sdwa s[44:45], v2, s81 src0_sel:BYTE_0 src1_sel:DWORD
	s_mov_b64 s[42:43], 0
	s_and_saveexec_b64 s[46:47], s[44:45]
	s_xor_b64 s[44:45], exec, s[46:47]
	s_cbranch_execz .LBB4_2469
; %bb.2369:                             ;   in Loop: Header=BB4_1767 Depth=4
	v_cmp_eq_u16_sdwa vcc, v2, s80 src0_sel:BYTE_0 src1_sel:DWORD
	s_mov_b64 s[42:43], -1
	s_and_saveexec_b64 s[46:47], vcc
; %bb.2370:                             ;   in Loop: Header=BB4_1767 Depth=4
	s_xor_b64 s[42:43], exec, -1
; %bb.2371:                             ;   in Loop: Header=BB4_1767 Depth=4
	s_or_b64 exec, exec, s[46:47]
	s_and_b64 s[42:43], s[42:43], exec
                                        ; implicit-def: $vgpr2
	s_or_saveexec_b64 s[44:45], s[44:45]
	v_bfrev_b32_e32 v0, 1
	s_xor_b64 exec, exec, s[44:45]
	s_cbranch_execnz .LBB4_2470
.LBB4_2372:                             ;   in Loop: Header=BB4_1767 Depth=4
	s_or_b64 exec, exec, s[44:45]
	s_and_saveexec_b64 s[44:45], s[42:43]
.LBB4_2373:                             ;   in Loop: Header=BB4_1767 Depth=4
	v_mov_b32_e32 v0, 0x7f800001
	v_cndmask_b32_e64 v0, v4, v0, s[40:41]
.LBB4_2374:                             ;   in Loop: Header=BB4_1767 Depth=4
	s_or_b64 exec, exec, s[44:45]
	v_max_f32_e32 v0, v0, v0
	v_max_f32_e32 v2, v5, v5
	v_min_f32_e32 v5, v2, v0
.LBB4_2375:                             ;   in Loop: Header=BB4_1767 Depth=4
	v_and_b32_e32 v2, 0x7f800000, v5
	v_cmp_ne_u64_e32 vcc, s[76:77], v[2:3]
                                        ; implicit-def: $vgpr50
	s_and_saveexec_b64 s[40:41], vcc
	s_xor_b64 s[42:43], exec, s[40:41]
	s_cbranch_execz .LBB4_2389
; %bb.2376:                             ;   in Loop: Header=BB4_1767 Depth=4
	v_and_b32_e32 v2, 0x7fffffff, v5
	v_cmp_gt_u64_e32 vcc, s[78:79], v[2:3]
	v_and_b32_sdwa v55, v5, s80 dst_sel:DWORD dst_unused:UNUSED_PAD src0_sel:BYTE_3 src1_sel:DWORD
                                        ; implicit-def: $vgpr50
	s_and_saveexec_b64 s[40:41], vcc
	s_xor_b64 s[44:45], exec, s[40:41]
	s_cbranch_execz .LBB4_2386
; %bb.2377:                             ;   in Loop: Header=BB4_1767 Depth=4
	v_mov_b32_e32 v50, 0
	v_cmp_ne_u32_e32 vcc, 0, v5
	s_and_saveexec_b64 s[46:47], vcc
	s_cbranch_execz .LBB4_2385
; %bb.2378:                             ;   in Loop: Header=BB4_1767 Depth=4
	v_bfe_u32 v50, v5, 23, 8
	v_cmp_gt_u32_e64 s[40:41], s83, v50
	v_sub_u32_e32 v0, 0x79, v50
	v_and_b32_e32 v2, 0x7fffff, v5
	v_cmp_eq_u32_e32 vcc, 0, v50
	v_cndmask_b32_e64 v0, 0, v0, s[40:41]
	v_mov_b32_e32 v5, 0x78
	v_or_b32_e32 v4, 0x800000, v2
	v_cndmask_b32_e32 v0, v0, v5, vcc
	v_cndmask_b32_e32 v2, v4, v2, vcc
	v_add_u32_e32 v4, 20, v0
	v_lshlrev_b64 v[4:5], v4, -1
	v_add_u32_e32 v8, 19, v0
	v_lshlrev_b64 v[8:9], v8, 1
	v_bfi_b32 v5, v5, 0, 0
	v_bfi_b32 v4, v4, 0, v2
	v_cmp_eq_u64_e64 s[40:41], v[4:5], v[8:9]
	v_lshrrev_b64 v[8:9], v0, v[2:3]
	v_mov_b32_e32 v4, v8
	v_mov_b32_e32 v5, v9
	s_and_saveexec_b64 s[54:55], s[40:41]
; %bb.2379:                             ;   in Loop: Header=BB4_1767 Depth=4
	v_bfe_u32 v2, v8, 20, 1
	v_add_co_u32_e64 v2, s[40:41], v8, v2
	v_add_co_u32_e64 v4, s[40:41], -1, v2
; %bb.2380:                             ;   in Loop: Header=BB4_1767 Depth=4
	s_or_b64 exec, exec, s[54:55]
	v_add_u32_e32 v2, 0xffffff81, v50
	v_mov_b32_e32 v5, 0xffffff82
	v_cndmask_b32_e32 v2, v2, v5, vcc
	v_lshrrev_b32_e32 v5, 23, v8
	v_add3_u32 v5, v0, v2, v5
	v_add_u32_e32 v0, 6, v5
	v_and_b32_e32 v2, 0xfffff, v4
	v_add_u32_e32 v2, v2, v8
	v_cmp_ne_u32_e32 vcc, 0, v0
                                        ; implicit-def: $vgpr8_vgpr9
                                        ; implicit-def: $vgpr4
	s_and_saveexec_b64 s[40:41], vcc
	s_xor_b64 s[40:41], exec, s[40:41]
; %bb.2381:                             ;   in Loop: Header=BB4_1767 Depth=4
	v_cmp_lt_u64_e32 vcc, s[88:89], v[2:3]
	v_add_u32_e32 v4, 7, v5
	v_cndmask_b32_e32 v4, v0, v4, vcc
	v_cndmask_b32_e64 v0, 0, 1, vcc
	v_lshrrev_b64 v[8:9], v0, v[2:3]
; %bb.2382:                             ;   in Loop: Header=BB4_1767 Depth=4
	s_andn2_saveexec_b64 s[40:41], s[40:41]
; %bb.2383:                             ;   in Loop: Header=BB4_1767 Depth=4
	v_mov_b32_e32 v9, v3
	v_bfe_u32 v4, v2, 23, 1
	v_mov_b32_e32 v8, v2
; %bb.2384:                             ;   in Loop: Header=BB4_1767 Depth=4
	s_or_b64 exec, exec, s[40:41]
	v_lshrrev_b64 v[8:9], 20, v[8:9]
	v_cmp_gt_i32_e32 vcc, 16, v4
	v_cndmask_b32_e32 v9, 0, v9, vcc
	v_cndmask_b32_e32 v8, 7, v8, vcc
	v_min_i32_e32 v0, 15, v4
	v_cmp_eq_u64_e64 s[40:41], 0, v[8:9]
	v_lshlrev_b32_e32 v0, 3, v0
	v_cmp_eq_u32_e32 vcc, 0, v4
	v_and_b32_e32 v0, 0xf8, v0
	v_and_or_b32 v0, v8, 7, v0
	s_and_b64 s[40:41], vcc, s[40:41]
	v_cndmask_b32_e64 v0, v0, 0, s[40:41]
	v_or_b32_e32 v50, v0, v55
.LBB4_2385:                             ;   in Loop: Header=BB4_1767 Depth=4
	s_or_b64 exec, exec, s[46:47]
                                        ; implicit-def: $vgpr55
.LBB4_2386:                             ;   in Loop: Header=BB4_1767 Depth=4
	s_andn2_saveexec_b64 s[40:41], s[44:45]
; %bb.2387:                             ;   in Loop: Header=BB4_1767 Depth=4
	v_or_b32_e32 v50, 0x7e, v55
; %bb.2388:                             ;   in Loop: Header=BB4_1767 Depth=4
	s_or_b64 exec, exec, s[40:41]
                                        ; implicit-def: $vgpr5
.LBB4_2389:                             ;   in Loop: Header=BB4_1767 Depth=4
	s_andn2_saveexec_b64 s[40:41], s[42:43]
; %bb.2390:                             ;   in Loop: Header=BB4_1767 Depth=4
	v_or_b32_sdwa v50, v5, s81 dst_sel:DWORD dst_unused:UNUSED_PAD src0_sel:BYTE_3 src1_sel:DWORD
; %bb.2391:                             ;   in Loop: Header=BB4_1767 Depth=4
	s_or_b64 exec, exec, s[40:41]
	v_bfe_u32 v8, v15, 24, 3
	v_bfe_u32 v4, v15, 24, 7
	v_cmp_eq_u32_e64 s[44:45], s81, v4
	v_cmp_gt_u32_e32 vcc, 8, v4
	v_ffbh_u32_e32 v4, v8
	v_cmp_gt_u64_e64 s[40:41], s[60:61], v[14:15]
	v_min_u32_e32 v14, 32, v4
	v_lshrrev_b32_e32 v0, 24, v15
	v_subrev_u32_e32 v4, 28, v14
	v_lshlrev_b64 v[4:5], v4, v[0:1]
	v_bfe_u32 v9, v0, 3, 4
	v_cmp_eq_u32_e64 s[42:43], s80, v0
	v_sub_u32_e32 v0, 29, v14
	v_and_b32_e32 v4, 7, v4
	v_cndmask_b32_e32 v0, v9, v0, vcc
	v_cndmask_b32_e32 v4, v8, v4, vcc
	v_lshlrev_b32_e32 v4, 20, v4
	v_and_b32_e32 v5, 0x80000000, v15
	v_lshl_add_u32 v0, v0, 23, v54
	v_cmp_lt_u64_e64 s[46:47], s[62:63], v[10:11]
	v_lshrrev_b32_e32 v2, 24, v11
	v_or3_b32 v4, v5, v0, v4
	s_mov_b64 s[54:55], -1
	s_and_b64 vcc, exec, s[52:53]
                                        ; implicit-def: $vgpr5
	s_cbranch_vccz .LBB4_2399
; %bb.2392:                             ;   in Loop: Header=BB4_1767 Depth=4
	v_mov_b32_e32 v0, 0
	s_and_saveexec_b64 s[54:55], s[46:47]
	s_cbranch_execz .LBB4_2398
; %bb.2393:                             ;   in Loop: Header=BB4_1767 Depth=4
	v_cmp_ne_u32_e32 vcc, s80, v2
	v_bfrev_b32_e32 v0, 1
	s_and_saveexec_b64 s[64:65], vcc
	s_cbranch_execz .LBB4_2397
; %bb.2394:                             ;   in Loop: Header=BB4_1767 Depth=4
	v_bfe_u32 v5, v11, 24, 7
	v_cmp_ne_u32_e32 vcc, s81, v5
	v_mov_b32_e32 v0, 0x7f800001
	s_and_saveexec_b64 s[66:67], vcc
	s_cbranch_execz .LBB4_2396
; %bb.2395:                             ;   in Loop: Header=BB4_1767 Depth=4
	v_and_b32_e32 v0, 7, v2
	v_lshrrev_b32_e32 v10, 3, v5
	v_cmp_gt_u32_e32 vcc, 8, v5
	v_ffbh_u32_e32 v5, v0
	v_min_u32_e32 v5, 32, v5
	v_subrev_u32_e32 v8, 28, v5
	v_lshlrev_b64 v[8:9], v8, v[2:3]
	v_sub_u32_e32 v5, 29, v5
	v_and_b32_e32 v8, 7, v8
	v_cndmask_b32_e32 v5, v10, v5, vcc
	v_cndmask_b32_e32 v0, v0, v8, vcc
	v_lshlrev_b32_e32 v8, 24, v2
	v_lshlrev_b32_e32 v0, 20, v0
	v_and_b32_e32 v8, 0x80000000, v8
	v_lshl_add_u32 v5, v5, 23, v54
	v_or3_b32 v0, v8, v5, v0
.LBB4_2396:                             ;   in Loop: Header=BB4_1767 Depth=4
	s_or_b64 exec, exec, s[66:67]
.LBB4_2397:                             ;   in Loop: Header=BB4_1767 Depth=4
	s_or_b64 exec, exec, s[64:65]
.LBB4_2398:                             ;   in Loop: Header=BB4_1767 Depth=4
	s_or_b64 exec, exec, s[54:55]
	v_mov_b32_e32 v5, 0x7f800001
	v_cndmask_b32_e64 v5, v4, v5, s[44:45]
	v_bfrev_b32_e32 v8, 1
	v_cndmask_b32_e64 v5, v5, v8, s[42:43]
	v_cndmask_b32_e64 v5, v5, 0, s[40:41]
	v_max_f32_e32 v5, v5, v5
	v_max_f32_e32 v0, v0, v0
	;; [unrolled: 1-line block ×3, first 2 shown]
	s_mov_b64 s[54:55], 0
.LBB4_2399:                             ;   in Loop: Header=BB4_1767 Depth=4
	s_and_b64 vcc, exec, s[54:55]
	s_cbranch_vccz .LBB4_2407
; %bb.2400:                             ;   in Loop: Header=BB4_1767 Depth=4
	v_mov_b32_e32 v0, 0
	s_and_saveexec_b64 s[54:55], s[46:47]
	s_cbranch_execz .LBB4_2406
; %bb.2401:                             ;   in Loop: Header=BB4_1767 Depth=4
	v_cmp_ne_u32_e32 vcc, s80, v2
	v_bfrev_b32_e32 v0, 1
	s_and_saveexec_b64 s[46:47], vcc
	s_cbranch_execz .LBB4_2405
; %bb.2402:                             ;   in Loop: Header=BB4_1767 Depth=4
	v_bfe_u32 v5, v11, 24, 7
	v_cmp_ne_u32_e32 vcc, s81, v5
	v_mov_b32_e32 v0, 0x7f800001
	s_and_saveexec_b64 s[64:65], vcc
	s_cbranch_execz .LBB4_2404
; %bb.2403:                             ;   in Loop: Header=BB4_1767 Depth=4
	v_and_b32_e32 v0, 7, v2
	v_lshrrev_b32_e32 v10, 3, v5
	v_cmp_gt_u32_e32 vcc, 8, v5
	v_ffbh_u32_e32 v5, v0
	v_min_u32_e32 v5, 32, v5
	v_subrev_u32_e32 v8, 28, v5
	v_lshlrev_b64 v[8:9], v8, v[2:3]
	v_sub_u32_e32 v5, 29, v5
	v_and_b32_e32 v8, 7, v8
	v_cndmask_b32_e32 v5, v10, v5, vcc
	v_cndmask_b32_e32 v0, v0, v8, vcc
	v_lshlrev_b32_e32 v2, 24, v2
	v_lshlrev_b32_e32 v0, 20, v0
	v_and_b32_e32 v2, 0x80000000, v2
	v_lshl_add_u32 v5, v5, 23, v54
	v_or3_b32 v0, v2, v5, v0
.LBB4_2404:                             ;   in Loop: Header=BB4_1767 Depth=4
	s_or_b64 exec, exec, s[64:65]
.LBB4_2405:                             ;   in Loop: Header=BB4_1767 Depth=4
	s_or_b64 exec, exec, s[46:47]
.LBB4_2406:                             ;   in Loop: Header=BB4_1767 Depth=4
	s_or_b64 exec, exec, s[54:55]
	v_mov_b32_e32 v2, 0x7f800001
	v_cndmask_b32_e64 v2, v4, v2, s[44:45]
	v_bfrev_b32_e32 v4, 1
	v_cndmask_b32_e64 v2, v2, v4, s[42:43]
	v_cndmask_b32_e64 v2, v2, 0, s[40:41]
	v_max_f32_e32 v2, v2, v2
	v_max_f32_e32 v0, v0, v0
	v_min_f32_e32 v5, v0, v2
.LBB4_2407:                             ;   in Loop: Header=BB4_1767 Depth=4
	v_and_b32_e32 v2, 0x7f800000, v5
	v_cmp_ne_u64_e32 vcc, s[76:77], v[2:3]
                                        ; implicit-def: $vgpr2
	s_and_saveexec_b64 s[40:41], vcc
	s_xor_b64 s[42:43], exec, s[40:41]
	s_cbranch_execz .LBB4_2421
; %bb.2408:                             ;   in Loop: Header=BB4_1767 Depth=4
	v_and_b32_e32 v2, 0x7fffffff, v5
	v_cmp_gt_u64_e32 vcc, s[78:79], v[2:3]
	v_and_b32_sdwa v10, v5, s80 dst_sel:DWORD dst_unused:UNUSED_PAD src0_sel:BYTE_3 src1_sel:DWORD
                                        ; implicit-def: $vgpr2
	s_and_saveexec_b64 s[40:41], vcc
	s_xor_b64 s[44:45], exec, s[40:41]
	s_cbranch_execz .LBB4_2418
; %bb.2409:                             ;   in Loop: Header=BB4_1767 Depth=4
	v_mov_b32_e32 v2, 0
	v_cmp_ne_u32_e32 vcc, 0, v5
	s_and_saveexec_b64 s[46:47], vcc
	s_cbranch_execz .LBB4_2417
; %bb.2410:                             ;   in Loop: Header=BB4_1767 Depth=4
	v_bfe_u32 v11, v5, 23, 8
	v_cmp_gt_u32_e64 s[40:41], s83, v11
	v_sub_u32_e32 v0, 0x79, v11
	v_and_b32_e32 v2, 0x7fffff, v5
	v_cmp_eq_u32_e32 vcc, 0, v11
	v_cndmask_b32_e64 v0, 0, v0, s[40:41]
	v_mov_b32_e32 v5, 0x78
	v_or_b32_e32 v4, 0x800000, v2
	v_cndmask_b32_e32 v0, v0, v5, vcc
	v_cndmask_b32_e32 v2, v4, v2, vcc
	v_add_u32_e32 v4, 20, v0
	v_lshlrev_b64 v[4:5], v4, -1
	v_add_u32_e32 v8, 19, v0
	v_lshlrev_b64 v[8:9], v8, 1
	v_bfi_b32 v5, v5, 0, 0
	v_bfi_b32 v4, v4, 0, v2
	v_cmp_eq_u64_e64 s[40:41], v[4:5], v[8:9]
	v_lshrrev_b64 v[8:9], v0, v[2:3]
	v_mov_b32_e32 v4, v8
	v_mov_b32_e32 v5, v9
	s_and_saveexec_b64 s[54:55], s[40:41]
; %bb.2411:                             ;   in Loop: Header=BB4_1767 Depth=4
	v_bfe_u32 v2, v8, 20, 1
	v_add_co_u32_e64 v2, s[40:41], v8, v2
	v_add_co_u32_e64 v4, s[40:41], -1, v2
; %bb.2412:                             ;   in Loop: Header=BB4_1767 Depth=4
	s_or_b64 exec, exec, s[54:55]
	v_add_u32_e32 v2, 0xffffff81, v11
	v_mov_b32_e32 v5, 0xffffff82
	v_cndmask_b32_e32 v2, v2, v5, vcc
	v_lshrrev_b32_e32 v5, 23, v8
	v_add3_u32 v5, v0, v2, v5
	v_add_u32_e32 v0, 6, v5
	v_and_b32_e32 v2, 0xfffff, v4
	v_add_u32_e32 v2, v2, v8
	v_cmp_ne_u32_e32 vcc, 0, v0
                                        ; implicit-def: $vgpr8_vgpr9
                                        ; implicit-def: $vgpr4
	s_and_saveexec_b64 s[40:41], vcc
	s_xor_b64 s[40:41], exec, s[40:41]
; %bb.2413:                             ;   in Loop: Header=BB4_1767 Depth=4
	v_cmp_lt_u64_e32 vcc, s[88:89], v[2:3]
	v_add_u32_e32 v4, 7, v5
	v_cndmask_b32_e32 v4, v0, v4, vcc
	v_cndmask_b32_e64 v0, 0, 1, vcc
	v_lshrrev_b64 v[8:9], v0, v[2:3]
; %bb.2414:                             ;   in Loop: Header=BB4_1767 Depth=4
	s_andn2_saveexec_b64 s[40:41], s[40:41]
; %bb.2415:                             ;   in Loop: Header=BB4_1767 Depth=4
	v_mov_b32_e32 v9, v3
	v_bfe_u32 v4, v2, 23, 1
	v_mov_b32_e32 v8, v2
; %bb.2416:                             ;   in Loop: Header=BB4_1767 Depth=4
	s_or_b64 exec, exec, s[40:41]
	v_lshrrev_b64 v[8:9], 20, v[8:9]
	v_cmp_gt_i32_e32 vcc, 16, v4
	v_cndmask_b32_e32 v9, 0, v9, vcc
	v_cndmask_b32_e32 v8, 7, v8, vcc
	v_min_i32_e32 v0, 15, v4
	v_cmp_eq_u64_e64 s[40:41], 0, v[8:9]
	v_lshlrev_b32_e32 v0, 3, v0
	v_cmp_eq_u32_e32 vcc, 0, v4
	v_and_b32_e32 v0, 0xf8, v0
	v_and_or_b32 v0, v8, 7, v0
	s_and_b64 s[40:41], vcc, s[40:41]
	v_cndmask_b32_e64 v0, v0, 0, s[40:41]
	v_or_b32_e32 v2, v0, v10
.LBB4_2417:                             ;   in Loop: Header=BB4_1767 Depth=4
	s_or_b64 exec, exec, s[46:47]
                                        ; implicit-def: $vgpr10
.LBB4_2418:                             ;   in Loop: Header=BB4_1767 Depth=4
	s_andn2_saveexec_b64 s[40:41], s[44:45]
; %bb.2419:                             ;   in Loop: Header=BB4_1767 Depth=4
	v_or_b32_e32 v2, 0x7e, v10
; %bb.2420:                             ;   in Loop: Header=BB4_1767 Depth=4
	s_or_b64 exec, exec, s[40:41]
                                        ; implicit-def: $vgpr5
.LBB4_2421:                             ;   in Loop: Header=BB4_1767 Depth=4
	s_andn2_saveexec_b64 s[40:41], s[42:43]
	s_cbranch_execz .LBB4_1766
; %bb.2422:                             ;   in Loop: Header=BB4_1767 Depth=4
	v_or_b32_sdwa v2, v5, s81 dst_sel:DWORD dst_unused:UNUSED_PAD src0_sel:BYTE_3 src1_sel:DWORD
	s_branch .LBB4_1766
.LBB4_2423:                             ;   in Loop: Header=BB4_1767 Depth=4
	s_or_saveexec_b64 s[46:47], s[46:47]
	v_bfrev_b32_e32 v0, 1
	s_xor_b64 exec, exec, s[46:47]
	s_cbranch_execz .LBB4_1778
.LBB4_2424:                             ;   in Loop: Header=BB4_1767 Depth=4
	v_cmp_ne_u16_sdwa vcc, v12, v3 src0_sel:BYTE_0 src1_sel:DWORD
	s_andn2_b64 s[44:45], s[44:45], exec
	s_and_b64 vcc, vcc, exec
	v_mov_b32_e32 v0, 0
	s_or_b64 s[44:45], s[44:45], vcc
	s_or_b64 exec, exec, s[46:47]
	s_and_saveexec_b64 s[46:47], s[44:45]
	s_cbranch_execnz .LBB4_1779
	s_branch .LBB4_1780
.LBB4_2425:                             ;   in Loop: Header=BB4_1767 Depth=4
	s_or_saveexec_b64 s[44:45], s[44:45]
	v_bfrev_b32_e32 v0, 1
	s_xor_b64 exec, exec, s[44:45]
	s_cbranch_execz .LBB4_1792
.LBB4_2426:                             ;   in Loop: Header=BB4_1767 Depth=4
	v_cmp_ne_u16_sdwa s[46:47], v12, v3 src0_sel:BYTE_0 src1_sel:DWORD
	s_andn2_b64 s[42:43], s[42:43], exec
	s_and_b64 s[46:47], s[46:47], exec
	v_mov_b32_e32 v0, 0
	s_or_b64 s[42:43], s[42:43], s[46:47]
	s_or_b64 exec, exec, s[44:45]
	s_and_saveexec_b64 s[44:45], s[42:43]
	s_cbranch_execnz .LBB4_1793
	s_branch .LBB4_1794
.LBB4_2427:                             ;   in Loop: Header=BB4_1767 Depth=4
	s_or_saveexec_b64 s[46:47], s[46:47]
	v_bfrev_b32_e32 v0, 1
	s_xor_b64 exec, exec, s[46:47]
	s_cbranch_execz .LBB4_1822
.LBB4_2428:                             ;   in Loop: Header=BB4_1767 Depth=4
	v_cmp_ne_u16_e32 vcc, 0, v2
	s_andn2_b64 s[44:45], s[44:45], exec
	s_and_b64 vcc, vcc, exec
	v_mov_b32_e32 v0, 0
	s_or_b64 s[44:45], s[44:45], vcc
	s_or_b64 exec, exec, s[46:47]
	s_and_saveexec_b64 s[46:47], s[44:45]
	s_cbranch_execnz .LBB4_1823
	s_branch .LBB4_1824
.LBB4_2429:                             ;   in Loop: Header=BB4_1767 Depth=4
	s_or_saveexec_b64 s[44:45], s[44:45]
	v_bfrev_b32_e32 v0, 1
	s_xor_b64 exec, exec, s[44:45]
	s_cbranch_execz .LBB4_1836
.LBB4_2430:                             ;   in Loop: Header=BB4_1767 Depth=4
	v_cmp_ne_u16_e32 vcc, 0, v2
	s_andn2_b64 s[42:43], s[42:43], exec
	s_and_b64 s[46:47], vcc, exec
	v_mov_b32_e32 v0, 0
	s_or_b64 s[42:43], s[42:43], s[46:47]
	s_or_b64 exec, exec, s[44:45]
	s_and_saveexec_b64 s[44:45], s[42:43]
	s_cbranch_execnz .LBB4_1837
	s_branch .LBB4_1838
.LBB4_2431:                             ;   in Loop: Header=BB4_1767 Depth=4
	s_or_saveexec_b64 s[46:47], s[46:47]
	v_bfrev_b32_e32 v0, 1
	s_xor_b64 exec, exec, s[46:47]
	s_cbranch_execz .LBB4_1866
.LBB4_2432:                             ;   in Loop: Header=BB4_1767 Depth=4
	v_cmp_ne_u16_sdwa vcc, v2, v3 src0_sel:BYTE_0 src1_sel:DWORD
	s_andn2_b64 s[44:45], s[44:45], exec
	s_and_b64 vcc, vcc, exec
	v_mov_b32_e32 v0, 0
	s_or_b64 s[44:45], s[44:45], vcc
	s_or_b64 exec, exec, s[46:47]
	s_and_saveexec_b64 s[46:47], s[44:45]
	s_cbranch_execnz .LBB4_1867
	s_branch .LBB4_1868
.LBB4_2433:                             ;   in Loop: Header=BB4_1767 Depth=4
	s_or_saveexec_b64 s[44:45], s[44:45]
	v_bfrev_b32_e32 v0, 1
	s_xor_b64 exec, exec, s[44:45]
	s_cbranch_execz .LBB4_1880
.LBB4_2434:                             ;   in Loop: Header=BB4_1767 Depth=4
	v_cmp_ne_u16_sdwa s[46:47], v2, v3 src0_sel:BYTE_0 src1_sel:DWORD
	s_andn2_b64 s[42:43], s[42:43], exec
	s_and_b64 s[46:47], s[46:47], exec
	v_mov_b32_e32 v0, 0
	s_or_b64 s[42:43], s[42:43], s[46:47]
	s_or_b64 exec, exec, s[44:45]
	s_and_saveexec_b64 s[44:45], s[42:43]
	s_cbranch_execnz .LBB4_1881
	s_branch .LBB4_1882
.LBB4_2435:                             ;   in Loop: Header=BB4_1767 Depth=4
	s_or_saveexec_b64 s[46:47], s[46:47]
	v_bfrev_b32_e32 v0, 1
	s_xor_b64 exec, exec, s[46:47]
	s_cbranch_execz .LBB4_1942
.LBB4_2436:                             ;   in Loop: Header=BB4_1767 Depth=4
	v_cmp_ne_u16_sdwa vcc, v13, v3 src0_sel:BYTE_0 src1_sel:DWORD
	s_andn2_b64 s[44:45], s[44:45], exec
	s_and_b64 vcc, vcc, exec
	v_mov_b32_e32 v0, 0
	s_or_b64 s[44:45], s[44:45], vcc
	s_or_b64 exec, exec, s[46:47]
	s_and_saveexec_b64 s[46:47], s[44:45]
	s_cbranch_execnz .LBB4_1943
	s_branch .LBB4_1944
.LBB4_2437:                             ;   in Loop: Header=BB4_1767 Depth=4
	s_or_saveexec_b64 s[44:45], s[44:45]
	v_bfrev_b32_e32 v0, 1
	s_xor_b64 exec, exec, s[44:45]
	s_cbranch_execz .LBB4_1956
.LBB4_2438:                             ;   in Loop: Header=BB4_1767 Depth=4
	v_cmp_ne_u16_sdwa s[46:47], v13, v3 src0_sel:BYTE_0 src1_sel:DWORD
	s_andn2_b64 s[42:43], s[42:43], exec
	s_and_b64 s[46:47], s[46:47], exec
	v_mov_b32_e32 v0, 0
	s_or_b64 s[42:43], s[42:43], s[46:47]
	s_or_b64 exec, exec, s[44:45]
	s_and_saveexec_b64 s[44:45], s[42:43]
	s_cbranch_execnz .LBB4_1957
	s_branch .LBB4_1958
.LBB4_2439:                             ;   in Loop: Header=BB4_1767 Depth=4
	s_or_saveexec_b64 s[46:47], s[46:47]
	v_bfrev_b32_e32 v0, 1
	s_xor_b64 exec, exec, s[46:47]
	s_cbranch_execz .LBB4_1986
.LBB4_2440:                             ;   in Loop: Header=BB4_1767 Depth=4
	v_cmp_ne_u16_e32 vcc, 0, v2
	s_andn2_b64 s[44:45], s[44:45], exec
	s_and_b64 vcc, vcc, exec
	v_mov_b32_e32 v0, 0
	s_or_b64 s[44:45], s[44:45], vcc
	s_or_b64 exec, exec, s[46:47]
	s_and_saveexec_b64 s[46:47], s[44:45]
	s_cbranch_execnz .LBB4_1987
	s_branch .LBB4_1988
.LBB4_2441:                             ;   in Loop: Header=BB4_1767 Depth=4
	s_or_saveexec_b64 s[44:45], s[44:45]
	v_bfrev_b32_e32 v0, 1
	s_xor_b64 exec, exec, s[44:45]
	s_cbranch_execz .LBB4_2000
.LBB4_2442:                             ;   in Loop: Header=BB4_1767 Depth=4
	v_cmp_ne_u16_e32 vcc, 0, v2
	s_andn2_b64 s[42:43], s[42:43], exec
	s_and_b64 s[46:47], vcc, exec
	v_mov_b32_e32 v0, 0
	s_or_b64 s[42:43], s[42:43], s[46:47]
	s_or_b64 exec, exec, s[44:45]
	s_and_saveexec_b64 s[44:45], s[42:43]
	s_cbranch_execnz .LBB4_2001
	s_branch .LBB4_2002
.LBB4_2443:                             ;   in Loop: Header=BB4_1767 Depth=4
	s_or_saveexec_b64 s[46:47], s[46:47]
	v_bfrev_b32_e32 v0, 1
	s_xor_b64 exec, exec, s[46:47]
	s_cbranch_execz .LBB4_2030
.LBB4_2444:                             ;   in Loop: Header=BB4_1767 Depth=4
	v_cmp_ne_u16_sdwa vcc, v2, v3 src0_sel:BYTE_0 src1_sel:DWORD
	s_andn2_b64 s[44:45], s[44:45], exec
	s_and_b64 vcc, vcc, exec
	v_mov_b32_e32 v0, 0
	s_or_b64 s[44:45], s[44:45], vcc
	s_or_b64 exec, exec, s[46:47]
	s_and_saveexec_b64 s[46:47], s[44:45]
	s_cbranch_execnz .LBB4_2031
	s_branch .LBB4_2032
.LBB4_2445:                             ;   in Loop: Header=BB4_1767 Depth=4
	s_or_saveexec_b64 s[44:45], s[44:45]
	v_bfrev_b32_e32 v0, 1
	s_xor_b64 exec, exec, s[44:45]
	s_cbranch_execz .LBB4_2044
.LBB4_2446:                             ;   in Loop: Header=BB4_1767 Depth=4
	v_cmp_ne_u16_sdwa s[46:47], v2, v3 src0_sel:BYTE_0 src1_sel:DWORD
	s_andn2_b64 s[42:43], s[42:43], exec
	s_and_b64 s[46:47], s[46:47], exec
	v_mov_b32_e32 v0, 0
	s_or_b64 s[42:43], s[42:43], s[46:47]
	s_or_b64 exec, exec, s[44:45]
	s_and_saveexec_b64 s[44:45], s[42:43]
	s_cbranch_execnz .LBB4_2045
	s_branch .LBB4_2046
.LBB4_2447:                             ;   in Loop: Header=BB4_1767 Depth=4
	s_or_saveexec_b64 s[46:47], s[46:47]
	v_bfrev_b32_e32 v0, 1
	s_xor_b64 exec, exec, s[46:47]
	s_cbranch_execz .LBB4_2106
.LBB4_2448:                             ;   in Loop: Header=BB4_1767 Depth=4
	v_cmp_ne_u16_sdwa vcc, v14, v3 src0_sel:BYTE_0 src1_sel:DWORD
	s_andn2_b64 s[44:45], s[44:45], exec
	s_and_b64 vcc, vcc, exec
	v_mov_b32_e32 v0, 0
	s_or_b64 s[44:45], s[44:45], vcc
	s_or_b64 exec, exec, s[46:47]
	s_and_saveexec_b64 s[46:47], s[44:45]
	s_cbranch_execnz .LBB4_2107
	s_branch .LBB4_2108
.LBB4_2449:                             ;   in Loop: Header=BB4_1767 Depth=4
	s_or_saveexec_b64 s[44:45], s[44:45]
	v_bfrev_b32_e32 v0, 1
	s_xor_b64 exec, exec, s[44:45]
	s_cbranch_execz .LBB4_2120
.LBB4_2450:                             ;   in Loop: Header=BB4_1767 Depth=4
	v_cmp_ne_u16_sdwa s[46:47], v14, v3 src0_sel:BYTE_0 src1_sel:DWORD
	s_andn2_b64 s[42:43], s[42:43], exec
	s_and_b64 s[46:47], s[46:47], exec
	v_mov_b32_e32 v0, 0
	s_or_b64 s[42:43], s[42:43], s[46:47]
	s_or_b64 exec, exec, s[44:45]
	s_and_saveexec_b64 s[44:45], s[42:43]
	s_cbranch_execnz .LBB4_2121
	s_branch .LBB4_2122
.LBB4_2451:                             ;   in Loop: Header=BB4_1767 Depth=4
	s_or_saveexec_b64 s[46:47], s[46:47]
	v_bfrev_b32_e32 v0, 1
	s_xor_b64 exec, exec, s[46:47]
	s_cbranch_execz .LBB4_2150
.LBB4_2452:                             ;   in Loop: Header=BB4_1767 Depth=4
	v_cmp_ne_u16_e32 vcc, 0, v2
	s_andn2_b64 s[44:45], s[44:45], exec
	s_and_b64 vcc, vcc, exec
	v_mov_b32_e32 v0, 0
	s_or_b64 s[44:45], s[44:45], vcc
	s_or_b64 exec, exec, s[46:47]
	s_and_saveexec_b64 s[46:47], s[44:45]
	s_cbranch_execnz .LBB4_2151
	s_branch .LBB4_2152
.LBB4_2453:                             ;   in Loop: Header=BB4_1767 Depth=4
	s_or_saveexec_b64 s[44:45], s[44:45]
	v_bfrev_b32_e32 v0, 1
	s_xor_b64 exec, exec, s[44:45]
	s_cbranch_execz .LBB4_2164
.LBB4_2454:                             ;   in Loop: Header=BB4_1767 Depth=4
	v_cmp_ne_u16_e32 vcc, 0, v2
	s_andn2_b64 s[42:43], s[42:43], exec
	s_and_b64 s[46:47], vcc, exec
	v_mov_b32_e32 v0, 0
	s_or_b64 s[42:43], s[42:43], s[46:47]
	s_or_b64 exec, exec, s[44:45]
	s_and_saveexec_b64 s[44:45], s[42:43]
	s_cbranch_execnz .LBB4_2165
	s_branch .LBB4_2166
.LBB4_2455:                             ;   in Loop: Header=BB4_1767 Depth=4
	s_or_saveexec_b64 s[46:47], s[46:47]
	v_bfrev_b32_e32 v0, 1
	s_xor_b64 exec, exec, s[46:47]
	s_cbranch_execz .LBB4_2194
.LBB4_2456:                             ;   in Loop: Header=BB4_1767 Depth=4
	v_cmp_ne_u16_sdwa vcc, v2, v3 src0_sel:BYTE_0 src1_sel:DWORD
	s_andn2_b64 s[44:45], s[44:45], exec
	s_and_b64 vcc, vcc, exec
	v_mov_b32_e32 v0, 0
	s_or_b64 s[44:45], s[44:45], vcc
	s_or_b64 exec, exec, s[46:47]
	s_and_saveexec_b64 s[46:47], s[44:45]
	s_cbranch_execnz .LBB4_2195
	s_branch .LBB4_2196
.LBB4_2457:                             ;   in Loop: Header=BB4_1767 Depth=4
	s_or_saveexec_b64 s[44:45], s[44:45]
	v_bfrev_b32_e32 v0, 1
	s_xor_b64 exec, exec, s[44:45]
	s_cbranch_execz .LBB4_2208
.LBB4_2458:                             ;   in Loop: Header=BB4_1767 Depth=4
	v_cmp_ne_u16_sdwa s[46:47], v2, v3 src0_sel:BYTE_0 src1_sel:DWORD
	s_andn2_b64 s[42:43], s[42:43], exec
	s_and_b64 s[46:47], s[46:47], exec
	v_mov_b32_e32 v0, 0
	s_or_b64 s[42:43], s[42:43], s[46:47]
	s_or_b64 exec, exec, s[44:45]
	s_and_saveexec_b64 s[44:45], s[42:43]
	s_cbranch_execnz .LBB4_2209
	s_branch .LBB4_2210
.LBB4_2459:                             ;   in Loop: Header=BB4_1767 Depth=4
	s_or_saveexec_b64 s[46:47], s[46:47]
	v_bfrev_b32_e32 v0, 1
	s_xor_b64 exec, exec, s[46:47]
	s_cbranch_execz .LBB4_2270
.LBB4_2460:                             ;   in Loop: Header=BB4_1767 Depth=4
	v_cmp_ne_u16_sdwa vcc, v15, v3 src0_sel:BYTE_0 src1_sel:DWORD
	s_andn2_b64 s[44:45], s[44:45], exec
	s_and_b64 vcc, vcc, exec
	v_mov_b32_e32 v0, 0
	s_or_b64 s[44:45], s[44:45], vcc
	s_or_b64 exec, exec, s[46:47]
	s_and_saveexec_b64 s[46:47], s[44:45]
	s_cbranch_execnz .LBB4_2271
	s_branch .LBB4_2272
.LBB4_2461:                             ;   in Loop: Header=BB4_1767 Depth=4
	s_or_saveexec_b64 s[44:45], s[44:45]
	v_bfrev_b32_e32 v0, 1
	s_xor_b64 exec, exec, s[44:45]
	s_cbranch_execz .LBB4_2284
.LBB4_2462:                             ;   in Loop: Header=BB4_1767 Depth=4
	v_cmp_ne_u16_sdwa s[46:47], v15, v3 src0_sel:BYTE_0 src1_sel:DWORD
	s_andn2_b64 s[42:43], s[42:43], exec
	s_and_b64 s[46:47], s[46:47], exec
	v_mov_b32_e32 v0, 0
	s_or_b64 s[42:43], s[42:43], s[46:47]
	s_or_b64 exec, exec, s[44:45]
	s_and_saveexec_b64 s[44:45], s[42:43]
	s_cbranch_execnz .LBB4_2285
	s_branch .LBB4_2286
.LBB4_2463:                             ;   in Loop: Header=BB4_1767 Depth=4
	s_or_saveexec_b64 s[46:47], s[46:47]
	v_bfrev_b32_e32 v0, 1
	s_xor_b64 exec, exec, s[46:47]
	s_cbranch_execz .LBB4_2314
.LBB4_2464:                             ;   in Loop: Header=BB4_1767 Depth=4
	v_cmp_ne_u16_e32 vcc, 0, v8
	s_andn2_b64 s[44:45], s[44:45], exec
	s_and_b64 vcc, vcc, exec
	v_mov_b32_e32 v0, 0
	s_or_b64 s[44:45], s[44:45], vcc
	s_or_b64 exec, exec, s[46:47]
	s_and_saveexec_b64 s[46:47], s[44:45]
	s_cbranch_execnz .LBB4_2315
	s_branch .LBB4_2316
.LBB4_2465:                             ;   in Loop: Header=BB4_1767 Depth=4
	s_or_saveexec_b64 s[44:45], s[44:45]
	v_bfrev_b32_e32 v0, 1
	s_xor_b64 exec, exec, s[44:45]
	s_cbranch_execz .LBB4_2328
.LBB4_2466:                             ;   in Loop: Header=BB4_1767 Depth=4
	v_cmp_ne_u16_e32 vcc, 0, v8
	s_andn2_b64 s[42:43], s[42:43], exec
	s_and_b64 s[46:47], vcc, exec
	v_mov_b32_e32 v0, 0
	s_or_b64 s[42:43], s[42:43], s[46:47]
	s_or_b64 exec, exec, s[44:45]
	s_and_saveexec_b64 s[44:45], s[42:43]
	s_cbranch_execnz .LBB4_2329
	s_branch .LBB4_2330
.LBB4_2467:                             ;   in Loop: Header=BB4_1767 Depth=4
	s_or_saveexec_b64 s[46:47], s[46:47]
	v_bfrev_b32_e32 v0, 1
	s_xor_b64 exec, exec, s[46:47]
	s_cbranch_execz .LBB4_2358
.LBB4_2468:                             ;   in Loop: Header=BB4_1767 Depth=4
	v_cmp_ne_u16_sdwa vcc, v2, v3 src0_sel:BYTE_0 src1_sel:DWORD
	s_andn2_b64 s[44:45], s[44:45], exec
	s_and_b64 vcc, vcc, exec
	v_mov_b32_e32 v0, 0
	s_or_b64 s[44:45], s[44:45], vcc
	s_or_b64 exec, exec, s[46:47]
	s_and_saveexec_b64 s[46:47], s[44:45]
	s_cbranch_execnz .LBB4_2359
	s_branch .LBB4_2360
.LBB4_2469:                             ;   in Loop: Header=BB4_1767 Depth=4
	s_or_saveexec_b64 s[44:45], s[44:45]
	v_bfrev_b32_e32 v0, 1
	s_xor_b64 exec, exec, s[44:45]
	s_cbranch_execz .LBB4_2372
.LBB4_2470:                             ;   in Loop: Header=BB4_1767 Depth=4
	v_cmp_ne_u16_sdwa s[46:47], v2, v3 src0_sel:BYTE_0 src1_sel:DWORD
	s_andn2_b64 s[42:43], s[42:43], exec
	s_and_b64 s[46:47], s[46:47], exec
	v_mov_b32_e32 v0, 0
	s_or_b64 s[42:43], s[42:43], s[46:47]
	s_or_b64 exec, exec, s[44:45]
	s_and_saveexec_b64 s[44:45], s[42:43]
	s_cbranch_execnz .LBB4_2373
	s_branch .LBB4_2374
.LBB4_2471:                             ;   in Loop: Header=BB4_272 Depth=3
	s_or_b64 exec, exec, s[50:51]
.LBB4_2472:                             ;   in Loop: Header=BB4_272 Depth=3
	s_or_b64 exec, exec, s[48:49]
	buffer_load_dword v20, off, s[0:3], s33 offset:188 ; 4-byte Folded Reload
	v_mov_b32_e32 v21, v42
	v_and_b32_e32 v0, 15, v21
	v_cmp_lt_i32_e32 vcc, 0, v27
	v_sub_u32_e32 v2, v7, v0
	v_cndmask_b32_e64 v7, v7, v0, s[28:29]
	v_cndmask_b32_e32 v0, 0, v57, vcc
	v_cndmask_b32_e64 v2, 0, v2, s[28:29]
	v_sub_u32_e32 v0, v0, v27
	v_cmp_ne_u32_e32 vcc, 0, v7
	v_add3_u32 v1, v1, v25, v2
	v_lshl_add_u32 v16, v0, 6, v26
	s_and_b64 s[28:29], vcc, exec
.LBB4_2473:                             ;   in Loop: Header=BB4_272 Depth=3
	s_or_b64 exec, exec, s[38:39]
	buffer_load_dword v12, off, s[0:3], s33 offset:172 ; 4-byte Folded Reload
	buffer_load_dword v13, off, s[0:3], s33 offset:176 ; 4-byte Folded Reload
	s_and_saveexec_b64 s[44:45], s[28:29]
	s_cbranch_execz .LBB4_3298
.LBB4_2474:                             ;   in Loop: Header=BB4_272 Depth=3
	s_waitcnt vmcnt(0)
	v_ashrrev_i32_e32 v0, 31, v16
	v_ashrrev_i32_e32 v2, 31, v7
	v_lshrrev_b32_e32 v0, 26, v0
	v_lshrrev_b32_e32 v2, 22, v2
	v_add_u32_e32 v0, v16, v0
	v_add_u32_e32 v2, v7, v2
	v_ashrrev_i32_e32 v4, 6, v0
	v_ashrrev_i32_e32 v19, 10, v2
	v_sub_u32_e32 v18, v19, v4
	v_cmp_lt_i32_e32 vcc, 0, v18
	s_and_saveexec_b64 s[42:43], vcc
	s_cbranch_execz .LBB4_3246
; %bb.2475:                             ;   in Loop: Header=BB4_272 Depth=3
	v_and_b32_e32 v0, 0xffffffc0, v0
	v_sub_u32_e32 v0, v16, v0
	v_lshlrev_b32_e32 v2, 10, v4
	v_add3_u32 v0, v1, v0, v2
	buffer_store_dword v21, off, s[0:3], s33 offset:180 ; 4-byte Folded Spill
	buffer_store_dword v4, off, s[0:3], s33 offset:172 ; 4-byte Folded Spill
	s_trap 2
	ds_read_b64 v[4:5], v0
	v_ashrrev_i32_e32 v2, 31, v0
	v_add_co_u32_e32 v8, vcc, v0, v58
	v_addc_co_u32_e32 v9, vcc, v2, v59, vcc
	s_waitcnt lgkmcnt(0)
	v_add_co_u32_e32 v10, vcc, v4, v0
	v_addc_co_u32_e32 v11, vcc, v5, v2, vcc
	v_add_co_u32_e32 v4, vcc, 0x3c0, v12
	v_addc_co_u32_e32 v5, vcc, 0, v13, vcc
	s_bitcmp1_b32 s84, 0
	v_add_co_u32_e32 v12, vcc, v4, v0
	s_cselect_b64 s[46:47], -1, 0
	v_addc_co_u32_e32 v13, vcc, v5, v2, vcc
	s_mov_b64 s[38:39], 0
	s_branch .LBB4_2477
.LBB4_2476:                             ;   in Loop: Header=BB4_2477 Depth=4
	s_or_b64 exec, exec, s[28:29]
	v_add_co_u32_e32 v4, vcc, 0xfffffc40, v12
	v_addc_co_u32_e32 v5, vcc, -1, v13, vcc
	flat_store_byte v[4:5], v17 glc slc
	v_add_co_u32_e32 v4, vcc, 0xfffffc80, v12
	v_addc_co_u32_e32 v5, vcc, -1, v13, vcc
	flat_store_byte v[4:5], v25 glc slc
	;; [unrolled: 3-line block ×15, first 2 shown]
	flat_store_byte v[12:13], v2 glc slc
	buffer_load_dword v30, off, s[0:3], s33 offset:64 ; 4-byte Folded Reload
	s_waitcnt vmcnt(0)
	v_sub_u32_e32 v18, v18, v57
	v_add_co_u32_e32 v8, vcc, v8, v30
	v_addc_co_u32_e32 v9, vcc, 0, v9, vcc
	v_add_co_u32_e32 v10, vcc, v10, v30
	v_addc_co_u32_e32 v11, vcc, 0, v11, vcc
	v_cmp_gt_i32_e32 vcc, 1, v18
	s_or_b64 s[38:39], vcc, s[38:39]
	v_add_co_u32_e32 v12, vcc, v12, v30
	v_addc_co_u32_e32 v13, vcc, 0, v13, vcc
	s_andn2_b64 exec, exec, s[38:39]
	s_cbranch_execz .LBB4_3245
.LBB4_2477:                             ;   Parent Loop BB4_47 Depth=1
                                        ;     Parent Loop BB4_269 Depth=2
                                        ;       Parent Loop BB4_272 Depth=3
                                        ; =>      This Inner Loop Header: Depth=4
	flat_load_ubyte v5, v[8:9] glc slc
	flat_load_ubyte v61, v[8:9] offset:64 glc slc
	flat_load_ubyte v60, v[8:9] offset:128 glc slc
	flat_load_ubyte v50, v[8:9] offset:192 glc slc
	flat_load_ubyte v42, v[8:9] offset:256 glc slc
	flat_load_ubyte v55, v[8:9] offset:320 glc slc
	flat_load_ubyte v47, v[8:9] offset:384 glc slc
	flat_load_ubyte v59, v[8:9] offset:448 glc slc
	flat_load_ubyte v57, v[8:9] offset:512 glc slc
	flat_load_ubyte v46, v[8:9] offset:576 glc slc
	flat_load_ubyte v37, v[8:9] offset:640 glc slc
	flat_load_ubyte v34, v[8:9] offset:704 glc slc
	flat_load_ubyte v29, v[8:9] offset:768 glc slc
	flat_load_ubyte v27, v[8:9] offset:832 glc slc
	flat_load_ubyte v24, v[8:9] offset:896 glc slc
	flat_load_ubyte v21, v[8:9] offset:960 glc slc
	flat_load_ubyte v4, v[10:11] glc slc
	flat_load_ubyte v25, v[10:11] offset:64 glc slc
	flat_load_ubyte v28, v[10:11] offset:128 glc slc
	;; [unrolled: 1-line block ×15, first 2 shown]
	s_mov_b64 s[40:41], -1
	s_and_b64 vcc, exec, s[46:47]
                                        ; implicit-def: $vgpr14
	s_waitcnt vmcnt(0) lgkmcnt(0)
	v_cmp_ne_u16_e64 s[28:29], 0, v5
	s_cbranch_vccz .LBB4_2491
; %bb.2478:                             ;   in Loop: Header=BB4_2477 Depth=4
	v_mov_b32_e32 v14, 0
	v_mov_b32_e32 v15, 0
	s_and_saveexec_b64 s[40:41], s[28:29]
	s_cbranch_execz .LBB4_2484
; %bb.2479:                             ;   in Loop: Header=BB4_2477 Depth=4
	v_cmp_ne_u16_e32 vcc, s80, v5
	v_bfrev_b32_e32 v15, 1
	s_and_saveexec_b64 s[48:49], vcc
	s_cbranch_execz .LBB4_2483
; %bb.2480:                             ;   in Loop: Header=BB4_2477 Depth=4
	v_and_b32_e32 v2, 0xffff, v5
	v_and_b32_e32 v0, 0x7f, v2
	v_cmp_ne_u32_e32 vcc, s81, v0
	v_mov_b32_e32 v15, 0x7f800001
	s_and_saveexec_b64 s[50:51], vcc
	s_cbranch_execz .LBB4_2482
; %bb.2481:                             ;   in Loop: Header=BB4_2477 Depth=4
	v_and_b32_e32 v15, 7, v2
	v_lshrrev_b32_e32 v17, 3, v0
	v_cmp_gt_u32_e32 vcc, 8, v0
	v_ffbh_u32_e32 v0, v15
	v_min_u32_e32 v0, 32, v0
	v_subrev_u32_e32 v22, 28, v0
	v_lshlrev_b64 v[40:41], v22, v[2:3]
	v_sub_u32_e32 v0, 29, v0
	v_and_b32_e32 v2, 7, v40
	v_cndmask_b32_e32 v0, v17, v0, vcc
	v_cndmask_b32_e32 v2, v15, v2, vcc
	v_lshlrev_b32_e32 v15, 24, v5
	v_lshlrev_b32_e32 v2, 20, v2
	v_and_b32_e32 v15, 0x80000000, v15
	v_lshl_add_u32 v0, v0, 23, v54
	v_or3_b32 v15, v15, v0, v2
.LBB4_2482:                             ;   in Loop: Header=BB4_2477 Depth=4
	s_or_b64 exec, exec, s[50:51]
.LBB4_2483:                             ;   in Loop: Header=BB4_2477 Depth=4
	s_or_b64 exec, exec, s[48:49]
.LBB4_2484:                             ;   in Loop: Header=BB4_2477 Depth=4
	s_or_b64 exec, exec, s[40:41]
	v_and_b32_e32 v2, 0xff, v4
	v_cmp_ne_u16_e32 vcc, 0, v2
	s_and_saveexec_b64 s[40:41], vcc
	s_cbranch_execz .LBB4_2490
; %bb.2485:                             ;   in Loop: Header=BB4_2477 Depth=4
	v_cmp_ne_u16_e32 vcc, s80, v2
	v_bfrev_b32_e32 v14, 1
	s_and_saveexec_b64 s[48:49], vcc
	s_cbranch_execz .LBB4_2489
; %bb.2486:                             ;   in Loop: Header=BB4_2477 Depth=4
	v_and_b32_e32 v0, 0x7f, v4
	v_cmp_ne_u32_e32 vcc, s81, v0
	v_mov_b32_e32 v14, 0x7f800001
	s_and_saveexec_b64 s[50:51], vcc
	s_cbranch_execz .LBB4_2488
; %bb.2487:                             ;   in Loop: Header=BB4_2477 Depth=4
	v_and_b32_e32 v14, 7, v2
	v_lshrrev_b32_e32 v17, 3, v0
	v_cmp_gt_u32_e32 vcc, 8, v0
	v_ffbh_u32_e32 v0, v14
	v_min_u32_e32 v0, 32, v0
	v_subrev_u32_e32 v22, 28, v0
	v_lshlrev_b64 v[40:41], v22, v[2:3]
	v_sub_u32_e32 v0, 29, v0
	v_and_b32_e32 v2, 7, v40
	v_cndmask_b32_e32 v0, v17, v0, vcc
	v_cndmask_b32_e32 v2, v14, v2, vcc
	v_lshlrev_b32_e32 v14, 24, v4
	v_lshlrev_b32_e32 v2, 20, v2
	v_and_b32_e32 v14, 0x80000000, v14
	v_lshl_add_u32 v0, v0, 23, v54
	v_or3_b32 v14, v14, v0, v2
.LBB4_2488:                             ;   in Loop: Header=BB4_2477 Depth=4
	s_or_b64 exec, exec, s[50:51]
.LBB4_2489:                             ;   in Loop: Header=BB4_2477 Depth=4
	s_or_b64 exec, exec, s[48:49]
.LBB4_2490:                             ;   in Loop: Header=BB4_2477 Depth=4
	s_or_b64 exec, exec, s[40:41]
	v_max_f32_e32 v0, v14, v14
	v_max_f32_e32 v2, v15, v15
	;; [unrolled: 1-line block ×3, first 2 shown]
	s_mov_b64 s[40:41], 0
.LBB4_2491:                             ;   in Loop: Header=BB4_2477 Depth=4
	s_and_b64 vcc, exec, s[40:41]
	s_cbranch_vccz .LBB4_2505
; %bb.2492:                             ;   in Loop: Header=BB4_2477 Depth=4
	v_mov_b32_e32 v14, 0
	v_mov_b32_e32 v15, 0
	s_and_saveexec_b64 s[40:41], s[28:29]
	s_cbranch_execz .LBB4_2498
; %bb.2493:                             ;   in Loop: Header=BB4_2477 Depth=4
	v_cmp_ne_u16_e32 vcc, s80, v5
	v_bfrev_b32_e32 v15, 1
	s_and_saveexec_b64 s[28:29], vcc
	s_cbranch_execz .LBB4_2497
; %bb.2494:                             ;   in Loop: Header=BB4_2477 Depth=4
	v_and_b32_e32 v2, 0xffff, v5
	v_and_b32_e32 v0, 0x7f, v2
	v_cmp_ne_u32_e32 vcc, s81, v0
	v_mov_b32_e32 v15, 0x7f800001
	s_and_saveexec_b64 s[48:49], vcc
	s_cbranch_execz .LBB4_2496
; %bb.2495:                             ;   in Loop: Header=BB4_2477 Depth=4
	v_and_b32_e32 v15, 7, v2
	v_lshrrev_b32_e32 v17, 3, v0
	v_cmp_gt_u32_e32 vcc, 8, v0
	v_ffbh_u32_e32 v0, v15
	v_min_u32_e32 v0, 32, v0
	v_subrev_u32_e32 v22, 28, v0
	v_lshlrev_b64 v[40:41], v22, v[2:3]
	v_sub_u32_e32 v0, 29, v0
	v_and_b32_e32 v2, 7, v40
	v_cndmask_b32_e32 v0, v17, v0, vcc
	v_cndmask_b32_e32 v2, v15, v2, vcc
	v_lshlrev_b32_e32 v5, 24, v5
	v_lshlrev_b32_e32 v2, 20, v2
	v_and_b32_e32 v5, 0x80000000, v5
	v_lshl_add_u32 v0, v0, 23, v54
	v_or3_b32 v15, v5, v0, v2
.LBB4_2496:                             ;   in Loop: Header=BB4_2477 Depth=4
	s_or_b64 exec, exec, s[48:49]
.LBB4_2497:                             ;   in Loop: Header=BB4_2477 Depth=4
	s_or_b64 exec, exec, s[28:29]
.LBB4_2498:                             ;   in Loop: Header=BB4_2477 Depth=4
	s_or_b64 exec, exec, s[40:41]
	v_and_b32_e32 v2, 0xff, v4
	v_cmp_ne_u16_e32 vcc, 0, v2
	s_and_saveexec_b64 s[28:29], vcc
	s_cbranch_execz .LBB4_2504
; %bb.2499:                             ;   in Loop: Header=BB4_2477 Depth=4
	v_cmp_ne_u16_e32 vcc, s80, v2
	v_bfrev_b32_e32 v14, 1
	s_and_saveexec_b64 s[40:41], vcc
	s_cbranch_execz .LBB4_2503
; %bb.2500:                             ;   in Loop: Header=BB4_2477 Depth=4
	v_and_b32_e32 v0, 0x7f, v4
	v_cmp_ne_u32_e32 vcc, s81, v0
	v_mov_b32_e32 v14, 0x7f800001
	s_and_saveexec_b64 s[48:49], vcc
	s_cbranch_execz .LBB4_2502
; %bb.2501:                             ;   in Loop: Header=BB4_2477 Depth=4
	v_and_b32_e32 v5, 7, v2
	v_lshrrev_b32_e32 v14, 3, v0
	v_cmp_gt_u32_e32 vcc, 8, v0
	v_ffbh_u32_e32 v0, v5
	v_min_u32_e32 v0, 32, v0
	v_subrev_u32_e32 v17, 28, v0
	v_lshlrev_b64 v[40:41], v17, v[2:3]
	v_sub_u32_e32 v0, 29, v0
	v_and_b32_e32 v2, 7, v40
	v_cndmask_b32_e32 v0, v14, v0, vcc
	v_cndmask_b32_e32 v2, v5, v2, vcc
	v_lshlrev_b32_e32 v4, 24, v4
	v_lshlrev_b32_e32 v2, 20, v2
	v_and_b32_e32 v4, 0x80000000, v4
	v_lshl_add_u32 v0, v0, 23, v54
	v_or3_b32 v14, v4, v0, v2
.LBB4_2502:                             ;   in Loop: Header=BB4_2477 Depth=4
	s_or_b64 exec, exec, s[48:49]
.LBB4_2503:                             ;   in Loop: Header=BB4_2477 Depth=4
	s_or_b64 exec, exec, s[40:41]
.LBB4_2504:                             ;   in Loop: Header=BB4_2477 Depth=4
	s_or_b64 exec, exec, s[28:29]
	v_max_f32_e32 v0, v14, v14
	v_max_f32_e32 v2, v15, v15
	v_min_f32_e32 v14, v2, v0
.LBB4_2505:                             ;   in Loop: Header=BB4_2477 Depth=4
	v_and_b32_e32 v2, 0x7f800000, v14
	v_cmp_ne_u64_e32 vcc, s[76:77], v[2:3]
                                        ; implicit-def: $vgpr17
	s_and_saveexec_b64 s[28:29], vcc
	s_xor_b64 s[40:41], exec, s[28:29]
	s_cbranch_execz .LBB4_2523
; %bb.2506:                             ;   in Loop: Header=BB4_2477 Depth=4
	v_and_b32_e32 v2, 0x7fffffff, v14
	v_cmp_gt_u64_e32 vcc, s[78:79], v[2:3]
	v_and_b32_sdwa v22, v14, s80 dst_sel:DWORD dst_unused:UNUSED_PAD src0_sel:BYTE_3 src1_sel:DWORD
                                        ; implicit-def: $vgpr17
	s_and_saveexec_b64 s[28:29], vcc
	s_xor_b64 s[48:49], exec, s[28:29]
	s_cbranch_execz .LBB4_2520
; %bb.2507:                             ;   in Loop: Header=BB4_2477 Depth=4
	v_cmp_ne_u32_e32 vcc, 0, v14
	v_mov_b32_e32 v17, 0
	s_and_saveexec_b64 s[50:51], vcc
	s_cbranch_execz .LBB4_2519
; %bb.2508:                             ;   in Loop: Header=BB4_2477 Depth=4
	v_bfe_u32 v17, v14, 23, 8
	v_cmp_gt_u32_e64 s[28:29], s83, v17
	v_sub_u32_e32 v0, 0x79, v17
	v_and_b32_e32 v2, 0x7fffff, v14
	v_cmp_eq_u32_e32 vcc, 0, v17
	v_cndmask_b32_e64 v0, 0, v0, s[28:29]
	v_mov_b32_e32 v5, 0x78
	v_or_b32_e32 v4, 0x800000, v2
	v_cndmask_b32_e32 v0, v0, v5, vcc
	v_cndmask_b32_e32 v2, v4, v2, vcc
	v_add_u32_e32 v4, 20, v0
	v_lshlrev_b64 v[4:5], v4, -1
	v_add_u32_e32 v14, 19, v0
	v_lshlrev_b64 v[14:15], v14, 1
	v_bfi_b32 v5, v5, 0, 0
	v_bfi_b32 v4, v4, 0, v2
	v_cmp_eq_u64_e64 s[28:29], v[4:5], v[14:15]
	v_lshrrev_b64 v[14:15], v0, v[2:3]
	v_mov_b32_e32 v4, v14
	v_mov_b32_e32 v5, v15
	s_and_saveexec_b64 s[52:53], s[28:29]
; %bb.2509:                             ;   in Loop: Header=BB4_2477 Depth=4
	v_bfe_u32 v2, v14, 20, 1
	v_add_co_u32_e64 v2, s[28:29], v14, v2
	v_add_co_u32_e64 v4, s[28:29], -1, v2
; %bb.2510:                             ;   in Loop: Header=BB4_2477 Depth=4
	s_or_b64 exec, exec, s[52:53]
	v_add_u32_e32 v2, 0xffffff81, v17
	v_mov_b32_e32 v5, 0xffffff82
	v_cndmask_b32_e32 v2, v2, v5, vcc
	v_lshrrev_b32_e32 v5, 23, v14
	v_add3_u32 v5, v0, v2, v5
	v_add_u32_e32 v0, 6, v5
	v_and_b32_e32 v2, 0xfffff, v4
	v_add_u32_e32 v2, v2, v14
	v_cmp_ne_u32_e32 vcc, 0, v0
                                        ; implicit-def: $vgpr14_vgpr15
                                        ; implicit-def: $vgpr4
	s_and_saveexec_b64 s[28:29], vcc
	s_xor_b64 s[28:29], exec, s[28:29]
; %bb.2511:                             ;   in Loop: Header=BB4_2477 Depth=4
	v_cmp_lt_u64_e32 vcc, s[88:89], v[2:3]
	v_add_u32_e32 v4, 7, v5
	v_cndmask_b32_e32 v4, v0, v4, vcc
	v_cndmask_b32_e64 v0, 0, 1, vcc
	v_lshrrev_b64 v[14:15], v0, v[2:3]
; %bb.2512:                             ;   in Loop: Header=BB4_2477 Depth=4
	s_andn2_saveexec_b64 s[28:29], s[28:29]
; %bb.2513:                             ;   in Loop: Header=BB4_2477 Depth=4
	v_mov_b32_e32 v15, v3
	v_bfe_u32 v4, v2, 23, 1
	v_mov_b32_e32 v14, v2
; %bb.2514:                             ;   in Loop: Header=BB4_2477 Depth=4
	s_or_b64 exec, exec, s[28:29]
	v_lshrrev_b64 v[14:15], 20, v[14:15]
	v_cmp_gt_i32_e32 vcc, 16, v4
	v_cndmask_b32_e32 v15, 0, v15, vcc
	v_cndmask_b32_e32 v14, 7, v14, vcc
	v_cmp_ne_u64_e32 vcc, 0, v[14:15]
	v_cmp_ne_u32_e64 s[28:29], 0, v4
	s_or_b64 s[28:29], s[28:29], vcc
                                        ; implicit-def: $vgpr17
	s_and_saveexec_b64 vcc, s[28:29]
	s_xor_b64 s[28:29], exec, vcc
; %bb.2515:                             ;   in Loop: Header=BB4_2477 Depth=4
	v_min_i32_e32 v0, 15, v4
	v_lshl_or_b32 v0, v0, 3, v22
	v_and_or_b32 v17, v14, 7, v0
                                        ; implicit-def: $vgpr22
; %bb.2516:                             ;   in Loop: Header=BB4_2477 Depth=4
	s_andn2_saveexec_b64 s[28:29], s[28:29]
; %bb.2517:                             ;   in Loop: Header=BB4_2477 Depth=4
	v_mov_b32_e32 v17, v22
; %bb.2518:                             ;   in Loop: Header=BB4_2477 Depth=4
	s_or_b64 exec, exec, s[28:29]
.LBB4_2519:                             ;   in Loop: Header=BB4_2477 Depth=4
	s_or_b64 exec, exec, s[50:51]
                                        ; implicit-def: $vgpr22
.LBB4_2520:                             ;   in Loop: Header=BB4_2477 Depth=4
	s_andn2_saveexec_b64 s[28:29], s[48:49]
; %bb.2521:                             ;   in Loop: Header=BB4_2477 Depth=4
	v_or_b32_e32 v17, 0x7e, v22
; %bb.2522:                             ;   in Loop: Header=BB4_2477 Depth=4
	s_or_b64 exec, exec, s[28:29]
                                        ; implicit-def: $vgpr14
.LBB4_2523:                             ;   in Loop: Header=BB4_2477 Depth=4
	s_andn2_saveexec_b64 s[28:29], s[40:41]
; %bb.2524:                             ;   in Loop: Header=BB4_2477 Depth=4
	v_or_b32_sdwa v17, v14, s81 dst_sel:DWORD dst_unused:UNUSED_PAD src0_sel:BYTE_3 src1_sel:DWORD
; %bb.2525:                             ;   in Loop: Header=BB4_2477 Depth=4
	s_or_b64 exec, exec, s[28:29]
	v_and_b32_e32 v2, 0xff, v61
	v_cndmask_b32_e64 v0, 0, 1, s[46:47]
	v_cmp_ne_u16_e64 s[40:41], 0, v2
	v_cmp_ne_u32_e64 s[28:29], 1, v0
	s_andn2_b64 vcc, exec, s[46:47]
	s_mov_b64 s[48:49], -1
                                        ; implicit-def: $vgpr4
	s_cbranch_vccnz .LBB4_2539
; %bb.2526:                             ;   in Loop: Header=BB4_2477 Depth=4
	v_mov_b32_e32 v5, 0
	v_mov_b32_e32 v4, 0
	s_and_saveexec_b64 s[48:49], s[40:41]
	s_cbranch_execz .LBB4_2532
; %bb.2527:                             ;   in Loop: Header=BB4_2477 Depth=4
	v_cmp_ne_u16_e32 vcc, s80, v2
	v_bfrev_b32_e32 v4, 1
	s_and_saveexec_b64 s[50:51], vcc
	s_cbranch_execz .LBB4_2531
; %bb.2528:                             ;   in Loop: Header=BB4_2477 Depth=4
	v_and_b32_e32 v0, 0x7f, v61
	v_cmp_ne_u32_e32 vcc, s81, v0
	v_mov_b32_e32 v4, 0x7f800001
	s_and_saveexec_b64 s[52:53], vcc
	s_cbranch_execz .LBB4_2530
; %bb.2529:                             ;   in Loop: Header=BB4_2477 Depth=4
	v_and_b32_e32 v4, 7, v2
	v_lshrrev_b32_e32 v22, 3, v0
	v_cmp_gt_u32_e32 vcc, 8, v0
	v_ffbh_u32_e32 v0, v4
	v_min_u32_e32 v0, 32, v0
	v_subrev_u32_e32 v14, 28, v0
	v_lshlrev_b64 v[14:15], v14, v[2:3]
	v_sub_u32_e32 v0, 29, v0
	v_and_b32_e32 v14, 7, v14
	v_cndmask_b32_e32 v0, v22, v0, vcc
	v_cndmask_b32_e32 v4, v4, v14, vcc
	v_lshlrev_b32_e32 v14, 24, v61
	v_lshlrev_b32_e32 v4, 20, v4
	v_and_b32_e32 v14, 0x80000000, v14
	v_lshl_add_u32 v0, v0, 23, v54
	v_or3_b32 v4, v14, v0, v4
.LBB4_2530:                             ;   in Loop: Header=BB4_2477 Depth=4
	s_or_b64 exec, exec, s[52:53]
.LBB4_2531:                             ;   in Loop: Header=BB4_2477 Depth=4
	s_or_b64 exec, exec, s[50:51]
.LBB4_2532:                             ;   in Loop: Header=BB4_2477 Depth=4
	s_or_b64 exec, exec, s[48:49]
	v_and_b32_e32 v14, 0xff, v25
	v_cmp_ne_u16_e32 vcc, 0, v14
	s_and_saveexec_b64 s[48:49], vcc
	s_cbranch_execz .LBB4_2538
; %bb.2533:                             ;   in Loop: Header=BB4_2477 Depth=4
	v_cmp_ne_u16_e32 vcc, s80, v14
	v_bfrev_b32_e32 v5, 1
	s_and_saveexec_b64 s[50:51], vcc
	s_cbranch_execz .LBB4_2537
; %bb.2534:                             ;   in Loop: Header=BB4_2477 Depth=4
	v_and_b32_e32 v0, 0x7f, v25
	v_cmp_ne_u32_e32 vcc, s81, v0
	v_mov_b32_e32 v5, 0x7f800001
	s_and_saveexec_b64 s[52:53], vcc
	s_cbranch_execz .LBB4_2536
; %bb.2535:                             ;   in Loop: Header=BB4_2477 Depth=4
	v_and_b32_e32 v5, 7, v14
	v_lshrrev_b32_e32 v22, 3, v0
	v_cmp_gt_u32_e32 vcc, 8, v0
	v_ffbh_u32_e32 v0, v5
	v_min_u32_e32 v0, 32, v0
	v_subrev_u32_e32 v15, 28, v0
	v_lshlrev_b64 v[14:15], v15, v[14:15]
	v_sub_u32_e32 v0, 29, v0
	v_and_b32_e32 v14, 7, v14
	v_cndmask_b32_e32 v0, v22, v0, vcc
	v_cndmask_b32_e32 v5, v5, v14, vcc
	v_lshlrev_b32_e32 v14, 24, v25
	v_lshlrev_b32_e32 v5, 20, v5
	v_and_b32_e32 v14, 0x80000000, v14
	v_lshl_add_u32 v0, v0, 23, v54
	v_or3_b32 v5, v14, v0, v5
.LBB4_2536:                             ;   in Loop: Header=BB4_2477 Depth=4
	s_or_b64 exec, exec, s[52:53]
.LBB4_2537:                             ;   in Loop: Header=BB4_2477 Depth=4
	s_or_b64 exec, exec, s[50:51]
.LBB4_2538:                             ;   in Loop: Header=BB4_2477 Depth=4
	s_or_b64 exec, exec, s[48:49]
	v_max_f32_e32 v0, v5, v5
	v_max_f32_e32 v4, v4, v4
	;; [unrolled: 1-line block ×3, first 2 shown]
	s_mov_b64 s[48:49], 0
.LBB4_2539:                             ;   in Loop: Header=BB4_2477 Depth=4
	s_and_b64 vcc, exec, s[48:49]
	s_cbranch_vccz .LBB4_2553
; %bb.2540:                             ;   in Loop: Header=BB4_2477 Depth=4
	v_mov_b32_e32 v5, 0
	v_mov_b32_e32 v4, 0
	s_and_saveexec_b64 s[48:49], s[40:41]
	s_cbranch_execz .LBB4_2546
; %bb.2541:                             ;   in Loop: Header=BB4_2477 Depth=4
	v_cmp_ne_u16_e32 vcc, s80, v2
	v_bfrev_b32_e32 v4, 1
	s_and_saveexec_b64 s[40:41], vcc
	s_cbranch_execz .LBB4_2545
; %bb.2542:                             ;   in Loop: Header=BB4_2477 Depth=4
	v_and_b32_e32 v0, 0x7f, v61
	v_cmp_ne_u32_e32 vcc, s81, v0
	v_mov_b32_e32 v4, 0x7f800001
	s_and_saveexec_b64 s[50:51], vcc
	s_cbranch_execz .LBB4_2544
; %bb.2543:                             ;   in Loop: Header=BB4_2477 Depth=4
	v_and_b32_e32 v4, 7, v2
	v_lshrrev_b32_e32 v22, 3, v0
	v_cmp_gt_u32_e32 vcc, 8, v0
	v_ffbh_u32_e32 v0, v4
	v_min_u32_e32 v0, 32, v0
	v_subrev_u32_e32 v14, 28, v0
	v_lshlrev_b64 v[14:15], v14, v[2:3]
	v_sub_u32_e32 v0, 29, v0
	v_and_b32_e32 v2, 7, v14
	v_cndmask_b32_e32 v0, v22, v0, vcc
	v_cndmask_b32_e32 v2, v4, v2, vcc
	v_lshlrev_b32_e32 v4, 24, v61
	v_lshlrev_b32_e32 v2, 20, v2
	v_and_b32_e32 v4, 0x80000000, v4
	v_lshl_add_u32 v0, v0, 23, v54
	v_or3_b32 v4, v4, v0, v2
.LBB4_2544:                             ;   in Loop: Header=BB4_2477 Depth=4
	s_or_b64 exec, exec, s[50:51]
.LBB4_2545:                             ;   in Loop: Header=BB4_2477 Depth=4
	s_or_b64 exec, exec, s[40:41]
.LBB4_2546:                             ;   in Loop: Header=BB4_2477 Depth=4
	s_or_b64 exec, exec, s[48:49]
	v_and_b32_e32 v2, 0xff, v25
	v_cmp_ne_u16_e32 vcc, 0, v2
	s_and_saveexec_b64 s[40:41], vcc
	s_cbranch_execz .LBB4_2552
; %bb.2547:                             ;   in Loop: Header=BB4_2477 Depth=4
	v_cmp_ne_u16_e32 vcc, s80, v2
	v_bfrev_b32_e32 v5, 1
	s_and_saveexec_b64 s[48:49], vcc
	s_cbranch_execz .LBB4_2551
; %bb.2548:                             ;   in Loop: Header=BB4_2477 Depth=4
	v_and_b32_e32 v0, 0x7f, v25
	v_cmp_ne_u32_e32 vcc, s81, v0
	v_mov_b32_e32 v5, 0x7f800001
	s_and_saveexec_b64 s[50:51], vcc
	s_cbranch_execz .LBB4_2550
; %bb.2549:                             ;   in Loop: Header=BB4_2477 Depth=4
	v_and_b32_e32 v5, 7, v2
	v_lshrrev_b32_e32 v22, 3, v0
	v_cmp_gt_u32_e32 vcc, 8, v0
	v_ffbh_u32_e32 v0, v5
	v_min_u32_e32 v0, 32, v0
	v_subrev_u32_e32 v14, 28, v0
	v_lshlrev_b64 v[14:15], v14, v[2:3]
	v_sub_u32_e32 v0, 29, v0
	v_and_b32_e32 v2, 7, v14
	v_cndmask_b32_e32 v0, v22, v0, vcc
	v_cndmask_b32_e32 v2, v5, v2, vcc
	v_lshlrev_b32_e32 v5, 24, v25
	v_lshlrev_b32_e32 v2, 20, v2
	v_and_b32_e32 v5, 0x80000000, v5
	v_lshl_add_u32 v0, v0, 23, v54
	v_or3_b32 v5, v5, v0, v2
.LBB4_2550:                             ;   in Loop: Header=BB4_2477 Depth=4
	s_or_b64 exec, exec, s[50:51]
.LBB4_2551:                             ;   in Loop: Header=BB4_2477 Depth=4
	s_or_b64 exec, exec, s[48:49]
.LBB4_2552:                             ;   in Loop: Header=BB4_2477 Depth=4
	s_or_b64 exec, exec, s[40:41]
	v_max_f32_e32 v0, v5, v5
	v_max_f32_e32 v2, v4, v4
	v_min_f32_e32 v4, v2, v0
.LBB4_2553:                             ;   in Loop: Header=BB4_2477 Depth=4
	v_and_b32_e32 v2, 0x7f800000, v4
	v_cmp_ne_u64_e32 vcc, s[76:77], v[2:3]
                                        ; implicit-def: $vgpr25
	s_and_saveexec_b64 s[40:41], vcc
	s_xor_b64 s[48:49], exec, s[40:41]
	s_cbranch_execz .LBB4_2571
; %bb.2554:                             ;   in Loop: Header=BB4_2477 Depth=4
	v_and_b32_e32 v2, 0x7fffffff, v4
	v_cmp_gt_u64_e32 vcc, s[78:79], v[2:3]
	v_and_b32_sdwa v22, v4, s80 dst_sel:DWORD dst_unused:UNUSED_PAD src0_sel:BYTE_3 src1_sel:DWORD
                                        ; implicit-def: $vgpr25
	s_and_saveexec_b64 s[40:41], vcc
	s_xor_b64 s[50:51], exec, s[40:41]
	s_cbranch_execz .LBB4_2568
; %bb.2555:                             ;   in Loop: Header=BB4_2477 Depth=4
	v_cmp_ne_u32_e32 vcc, 0, v4
	v_mov_b32_e32 v25, 0
	s_and_saveexec_b64 s[52:53], vcc
	s_cbranch_execz .LBB4_2567
; %bb.2556:                             ;   in Loop: Header=BB4_2477 Depth=4
	v_bfe_u32 v25, v4, 23, 8
	v_cmp_gt_u32_e64 s[40:41], s83, v25
	v_sub_u32_e32 v0, 0x79, v25
	v_and_b32_e32 v2, 0x7fffff, v4
	v_cmp_eq_u32_e32 vcc, 0, v25
	v_cndmask_b32_e64 v0, 0, v0, s[40:41]
	v_mov_b32_e32 v5, 0x78
	v_or_b32_e32 v4, 0x800000, v2
	v_cndmask_b32_e32 v0, v0, v5, vcc
	v_cndmask_b32_e32 v2, v4, v2, vcc
	v_add_u32_e32 v4, 20, v0
	v_lshlrev_b64 v[4:5], v4, -1
	v_add_u32_e32 v14, 19, v0
	v_lshlrev_b64 v[14:15], v14, 1
	v_bfi_b32 v5, v5, 0, 0
	v_bfi_b32 v4, v4, 0, v2
	v_cmp_eq_u64_e64 s[40:41], v[4:5], v[14:15]
	v_lshrrev_b64 v[14:15], v0, v[2:3]
	v_mov_b32_e32 v4, v14
	v_mov_b32_e32 v5, v15
	s_and_saveexec_b64 s[54:55], s[40:41]
; %bb.2557:                             ;   in Loop: Header=BB4_2477 Depth=4
	v_bfe_u32 v2, v14, 20, 1
	v_add_co_u32_e64 v2, s[40:41], v14, v2
	v_add_co_u32_e64 v4, s[40:41], -1, v2
; %bb.2558:                             ;   in Loop: Header=BB4_2477 Depth=4
	s_or_b64 exec, exec, s[54:55]
	v_add_u32_e32 v2, 0xffffff81, v25
	v_mov_b32_e32 v5, 0xffffff82
	v_cndmask_b32_e32 v2, v2, v5, vcc
	v_lshrrev_b32_e32 v5, 23, v14
	v_add3_u32 v5, v0, v2, v5
	v_add_u32_e32 v0, 6, v5
	v_and_b32_e32 v2, 0xfffff, v4
	v_add_u32_e32 v2, v2, v14
	v_cmp_ne_u32_e32 vcc, 0, v0
                                        ; implicit-def: $vgpr14_vgpr15
                                        ; implicit-def: $vgpr4
	s_and_saveexec_b64 s[40:41], vcc
	s_xor_b64 s[40:41], exec, s[40:41]
; %bb.2559:                             ;   in Loop: Header=BB4_2477 Depth=4
	v_cmp_lt_u64_e32 vcc, s[88:89], v[2:3]
	v_add_u32_e32 v4, 7, v5
	v_cndmask_b32_e32 v4, v0, v4, vcc
	v_cndmask_b32_e64 v0, 0, 1, vcc
	v_lshrrev_b64 v[14:15], v0, v[2:3]
; %bb.2560:                             ;   in Loop: Header=BB4_2477 Depth=4
	s_andn2_saveexec_b64 s[40:41], s[40:41]
; %bb.2561:                             ;   in Loop: Header=BB4_2477 Depth=4
	v_mov_b32_e32 v15, v3
	v_bfe_u32 v4, v2, 23, 1
	v_mov_b32_e32 v14, v2
; %bb.2562:                             ;   in Loop: Header=BB4_2477 Depth=4
	s_or_b64 exec, exec, s[40:41]
	v_lshrrev_b64 v[14:15], 20, v[14:15]
	v_cmp_gt_i32_e32 vcc, 16, v4
	v_cndmask_b32_e32 v15, 0, v15, vcc
	v_cndmask_b32_e32 v14, 7, v14, vcc
	v_cmp_ne_u64_e32 vcc, 0, v[14:15]
	v_cmp_ne_u32_e64 s[40:41], 0, v4
	s_or_b64 s[40:41], s[40:41], vcc
                                        ; implicit-def: $vgpr25
	s_and_saveexec_b64 vcc, s[40:41]
	s_xor_b64 s[40:41], exec, vcc
; %bb.2563:                             ;   in Loop: Header=BB4_2477 Depth=4
	v_min_i32_e32 v0, 15, v4
	v_lshl_or_b32 v0, v0, 3, v22
	v_and_or_b32 v25, v14, 7, v0
                                        ; implicit-def: $vgpr22
; %bb.2564:                             ;   in Loop: Header=BB4_2477 Depth=4
	s_andn2_saveexec_b64 s[40:41], s[40:41]
; %bb.2565:                             ;   in Loop: Header=BB4_2477 Depth=4
	v_mov_b32_e32 v25, v22
; %bb.2566:                             ;   in Loop: Header=BB4_2477 Depth=4
	s_or_b64 exec, exec, s[40:41]
.LBB4_2567:                             ;   in Loop: Header=BB4_2477 Depth=4
	s_or_b64 exec, exec, s[52:53]
                                        ; implicit-def: $vgpr22
.LBB4_2568:                             ;   in Loop: Header=BB4_2477 Depth=4
	s_andn2_saveexec_b64 s[40:41], s[50:51]
; %bb.2569:                             ;   in Loop: Header=BB4_2477 Depth=4
	v_or_b32_e32 v25, 0x7e, v22
; %bb.2570:                             ;   in Loop: Header=BB4_2477 Depth=4
	s_or_b64 exec, exec, s[40:41]
                                        ; implicit-def: $vgpr4
.LBB4_2571:                             ;   in Loop: Header=BB4_2477 Depth=4
	s_andn2_saveexec_b64 s[40:41], s[48:49]
; %bb.2572:                             ;   in Loop: Header=BB4_2477 Depth=4
	v_or_b32_sdwa v25, v4, s81 dst_sel:DWORD dst_unused:UNUSED_PAD src0_sel:BYTE_3 src1_sel:DWORD
; %bb.2573:                             ;   in Loop: Header=BB4_2477 Depth=4
	s_or_b64 exec, exec, s[40:41]
	v_and_b32_e32 v2, 0xff, v60
	v_cmp_ne_u16_e64 s[40:41], 0, v2
	s_and_b64 vcc, exec, s[28:29]
	s_mov_b64 s[48:49], -1
                                        ; implicit-def: $vgpr4
	s_cbranch_vccnz .LBB4_2587
; %bb.2574:                             ;   in Loop: Header=BB4_2477 Depth=4
	v_mov_b32_e32 v5, 0
	v_mov_b32_e32 v4, 0
	s_and_saveexec_b64 s[48:49], s[40:41]
	s_cbranch_execz .LBB4_2580
; %bb.2575:                             ;   in Loop: Header=BB4_2477 Depth=4
	v_cmp_ne_u16_e32 vcc, s80, v2
	v_bfrev_b32_e32 v4, 1
	s_and_saveexec_b64 s[50:51], vcc
	s_cbranch_execz .LBB4_2579
; %bb.2576:                             ;   in Loop: Header=BB4_2477 Depth=4
	v_and_b32_e32 v0, 0x7f, v60
	v_cmp_ne_u32_e32 vcc, s81, v0
	v_mov_b32_e32 v4, 0x7f800001
	s_and_saveexec_b64 s[52:53], vcc
	s_cbranch_execz .LBB4_2578
; %bb.2577:                             ;   in Loop: Header=BB4_2477 Depth=4
	v_and_b32_e32 v4, 7, v2
	v_lshrrev_b32_e32 v22, 3, v0
	v_cmp_gt_u32_e32 vcc, 8, v0
	v_ffbh_u32_e32 v0, v4
	v_min_u32_e32 v0, 32, v0
	v_subrev_u32_e32 v14, 28, v0
	v_lshlrev_b64 v[14:15], v14, v[2:3]
	v_sub_u32_e32 v0, 29, v0
	v_and_b32_e32 v14, 7, v14
	v_cndmask_b32_e32 v0, v22, v0, vcc
	v_cndmask_b32_e32 v4, v4, v14, vcc
	v_lshlrev_b32_e32 v14, 24, v60
	v_lshlrev_b32_e32 v4, 20, v4
	v_and_b32_e32 v14, 0x80000000, v14
	v_lshl_add_u32 v0, v0, 23, v54
	v_or3_b32 v4, v14, v0, v4
.LBB4_2578:                             ;   in Loop: Header=BB4_2477 Depth=4
	s_or_b64 exec, exec, s[52:53]
.LBB4_2579:                             ;   in Loop: Header=BB4_2477 Depth=4
	s_or_b64 exec, exec, s[50:51]
.LBB4_2580:                             ;   in Loop: Header=BB4_2477 Depth=4
	s_or_b64 exec, exec, s[48:49]
	v_and_b32_e32 v14, 0xff, v28
	v_cmp_ne_u16_e32 vcc, 0, v14
	s_and_saveexec_b64 s[48:49], vcc
	s_cbranch_execz .LBB4_2586
; %bb.2581:                             ;   in Loop: Header=BB4_2477 Depth=4
	v_cmp_ne_u16_e32 vcc, s80, v14
	v_bfrev_b32_e32 v5, 1
	s_and_saveexec_b64 s[50:51], vcc
	s_cbranch_execz .LBB4_2585
; %bb.2582:                             ;   in Loop: Header=BB4_2477 Depth=4
	v_and_b32_e32 v0, 0x7f, v28
	v_cmp_ne_u32_e32 vcc, s81, v0
	v_mov_b32_e32 v5, 0x7f800001
	s_and_saveexec_b64 s[52:53], vcc
	s_cbranch_execz .LBB4_2584
; %bb.2583:                             ;   in Loop: Header=BB4_2477 Depth=4
	v_and_b32_e32 v5, 7, v14
	v_lshrrev_b32_e32 v22, 3, v0
	v_cmp_gt_u32_e32 vcc, 8, v0
	v_ffbh_u32_e32 v0, v5
	v_min_u32_e32 v0, 32, v0
	v_subrev_u32_e32 v15, 28, v0
	v_lshlrev_b64 v[14:15], v15, v[14:15]
	v_sub_u32_e32 v0, 29, v0
	v_and_b32_e32 v14, 7, v14
	v_cndmask_b32_e32 v0, v22, v0, vcc
	v_cndmask_b32_e32 v5, v5, v14, vcc
	v_lshlrev_b32_e32 v14, 24, v28
	v_lshlrev_b32_e32 v5, 20, v5
	v_and_b32_e32 v14, 0x80000000, v14
	v_lshl_add_u32 v0, v0, 23, v54
	v_or3_b32 v5, v14, v0, v5
.LBB4_2584:                             ;   in Loop: Header=BB4_2477 Depth=4
	s_or_b64 exec, exec, s[52:53]
.LBB4_2585:                             ;   in Loop: Header=BB4_2477 Depth=4
	s_or_b64 exec, exec, s[50:51]
.LBB4_2586:                             ;   in Loop: Header=BB4_2477 Depth=4
	s_or_b64 exec, exec, s[48:49]
	v_max_f32_e32 v0, v5, v5
	v_max_f32_e32 v4, v4, v4
	;; [unrolled: 1-line block ×3, first 2 shown]
	s_mov_b64 s[48:49], 0
.LBB4_2587:                             ;   in Loop: Header=BB4_2477 Depth=4
	s_and_b64 vcc, exec, s[48:49]
	s_cbranch_vccz .LBB4_2601
; %bb.2588:                             ;   in Loop: Header=BB4_2477 Depth=4
	v_mov_b32_e32 v5, 0
	v_mov_b32_e32 v4, 0
	s_and_saveexec_b64 s[48:49], s[40:41]
	s_cbranch_execz .LBB4_2594
; %bb.2589:                             ;   in Loop: Header=BB4_2477 Depth=4
	v_cmp_ne_u16_e32 vcc, s80, v2
	v_bfrev_b32_e32 v4, 1
	s_and_saveexec_b64 s[40:41], vcc
	s_cbranch_execz .LBB4_2593
; %bb.2590:                             ;   in Loop: Header=BB4_2477 Depth=4
	v_and_b32_e32 v0, 0x7f, v60
	v_cmp_ne_u32_e32 vcc, s81, v0
	v_mov_b32_e32 v4, 0x7f800001
	s_and_saveexec_b64 s[50:51], vcc
	s_cbranch_execz .LBB4_2592
; %bb.2591:                             ;   in Loop: Header=BB4_2477 Depth=4
	v_and_b32_e32 v4, 7, v2
	v_lshrrev_b32_e32 v22, 3, v0
	v_cmp_gt_u32_e32 vcc, 8, v0
	v_ffbh_u32_e32 v0, v4
	v_min_u32_e32 v0, 32, v0
	v_subrev_u32_e32 v14, 28, v0
	v_lshlrev_b64 v[14:15], v14, v[2:3]
	v_sub_u32_e32 v0, 29, v0
	v_and_b32_e32 v2, 7, v14
	v_cndmask_b32_e32 v0, v22, v0, vcc
	v_cndmask_b32_e32 v2, v4, v2, vcc
	v_lshlrev_b32_e32 v4, 24, v60
	v_lshlrev_b32_e32 v2, 20, v2
	v_and_b32_e32 v4, 0x80000000, v4
	v_lshl_add_u32 v0, v0, 23, v54
	v_or3_b32 v4, v4, v0, v2
.LBB4_2592:                             ;   in Loop: Header=BB4_2477 Depth=4
	s_or_b64 exec, exec, s[50:51]
.LBB4_2593:                             ;   in Loop: Header=BB4_2477 Depth=4
	s_or_b64 exec, exec, s[40:41]
.LBB4_2594:                             ;   in Loop: Header=BB4_2477 Depth=4
	s_or_b64 exec, exec, s[48:49]
	v_and_b32_e32 v2, 0xff, v28
	v_cmp_ne_u16_e32 vcc, 0, v2
	s_and_saveexec_b64 s[40:41], vcc
	s_cbranch_execz .LBB4_2600
; %bb.2595:                             ;   in Loop: Header=BB4_2477 Depth=4
	v_cmp_ne_u16_e32 vcc, s80, v2
	v_bfrev_b32_e32 v5, 1
	s_and_saveexec_b64 s[48:49], vcc
	s_cbranch_execz .LBB4_2599
; %bb.2596:                             ;   in Loop: Header=BB4_2477 Depth=4
	v_and_b32_e32 v0, 0x7f, v28
	v_cmp_ne_u32_e32 vcc, s81, v0
	v_mov_b32_e32 v5, 0x7f800001
	s_and_saveexec_b64 s[50:51], vcc
	s_cbranch_execz .LBB4_2598
; %bb.2597:                             ;   in Loop: Header=BB4_2477 Depth=4
	v_and_b32_e32 v5, 7, v2
	v_lshrrev_b32_e32 v22, 3, v0
	v_cmp_gt_u32_e32 vcc, 8, v0
	v_ffbh_u32_e32 v0, v5
	v_min_u32_e32 v0, 32, v0
	v_subrev_u32_e32 v14, 28, v0
	v_lshlrev_b64 v[14:15], v14, v[2:3]
	v_sub_u32_e32 v0, 29, v0
	v_and_b32_e32 v2, 7, v14
	v_cndmask_b32_e32 v0, v22, v0, vcc
	v_cndmask_b32_e32 v2, v5, v2, vcc
	v_lshlrev_b32_e32 v5, 24, v28
	v_lshlrev_b32_e32 v2, 20, v2
	v_and_b32_e32 v5, 0x80000000, v5
	v_lshl_add_u32 v0, v0, 23, v54
	v_or3_b32 v5, v5, v0, v2
.LBB4_2598:                             ;   in Loop: Header=BB4_2477 Depth=4
	s_or_b64 exec, exec, s[50:51]
.LBB4_2599:                             ;   in Loop: Header=BB4_2477 Depth=4
	s_or_b64 exec, exec, s[48:49]
.LBB4_2600:                             ;   in Loop: Header=BB4_2477 Depth=4
	s_or_b64 exec, exec, s[40:41]
	v_max_f32_e32 v0, v5, v5
	v_max_f32_e32 v2, v4, v4
	v_min_f32_e32 v4, v2, v0
.LBB4_2601:                             ;   in Loop: Header=BB4_2477 Depth=4
	v_and_b32_e32 v2, 0x7f800000, v4
	v_cmp_ne_u64_e32 vcc, s[76:77], v[2:3]
                                        ; implicit-def: $vgpr28
	s_and_saveexec_b64 s[40:41], vcc
	s_xor_b64 s[48:49], exec, s[40:41]
	s_cbranch_execz .LBB4_2619
; %bb.2602:                             ;   in Loop: Header=BB4_2477 Depth=4
	v_and_b32_e32 v2, 0x7fffffff, v4
	v_cmp_gt_u64_e32 vcc, s[78:79], v[2:3]
	v_and_b32_sdwa v22, v4, s80 dst_sel:DWORD dst_unused:UNUSED_PAD src0_sel:BYTE_3 src1_sel:DWORD
                                        ; implicit-def: $vgpr28
	s_and_saveexec_b64 s[40:41], vcc
	s_xor_b64 s[50:51], exec, s[40:41]
	s_cbranch_execz .LBB4_2616
; %bb.2603:                             ;   in Loop: Header=BB4_2477 Depth=4
	v_cmp_ne_u32_e32 vcc, 0, v4
	v_mov_b32_e32 v28, 0
	s_and_saveexec_b64 s[52:53], vcc
	s_cbranch_execz .LBB4_2615
; %bb.2604:                             ;   in Loop: Header=BB4_2477 Depth=4
	v_bfe_u32 v28, v4, 23, 8
	v_cmp_gt_u32_e64 s[40:41], s83, v28
	v_sub_u32_e32 v0, 0x79, v28
	v_and_b32_e32 v2, 0x7fffff, v4
	v_cmp_eq_u32_e32 vcc, 0, v28
	v_cndmask_b32_e64 v0, 0, v0, s[40:41]
	v_mov_b32_e32 v5, 0x78
	v_or_b32_e32 v4, 0x800000, v2
	v_cndmask_b32_e32 v0, v0, v5, vcc
	v_cndmask_b32_e32 v2, v4, v2, vcc
	v_add_u32_e32 v4, 20, v0
	v_lshlrev_b64 v[4:5], v4, -1
	v_add_u32_e32 v14, 19, v0
	v_lshlrev_b64 v[14:15], v14, 1
	v_bfi_b32 v5, v5, 0, 0
	v_bfi_b32 v4, v4, 0, v2
	v_cmp_eq_u64_e64 s[40:41], v[4:5], v[14:15]
	v_lshrrev_b64 v[14:15], v0, v[2:3]
	v_mov_b32_e32 v4, v14
	v_mov_b32_e32 v5, v15
	s_and_saveexec_b64 s[54:55], s[40:41]
; %bb.2605:                             ;   in Loop: Header=BB4_2477 Depth=4
	v_bfe_u32 v2, v14, 20, 1
	v_add_co_u32_e64 v2, s[40:41], v14, v2
	v_add_co_u32_e64 v4, s[40:41], -1, v2
; %bb.2606:                             ;   in Loop: Header=BB4_2477 Depth=4
	s_or_b64 exec, exec, s[54:55]
	v_add_u32_e32 v2, 0xffffff81, v28
	v_mov_b32_e32 v5, 0xffffff82
	v_cndmask_b32_e32 v2, v2, v5, vcc
	v_lshrrev_b32_e32 v5, 23, v14
	v_add3_u32 v5, v0, v2, v5
	v_add_u32_e32 v0, 6, v5
	v_and_b32_e32 v2, 0xfffff, v4
	v_add_u32_e32 v2, v2, v14
	v_cmp_ne_u32_e32 vcc, 0, v0
                                        ; implicit-def: $vgpr14_vgpr15
                                        ; implicit-def: $vgpr4
	s_and_saveexec_b64 s[40:41], vcc
	s_xor_b64 s[40:41], exec, s[40:41]
; %bb.2607:                             ;   in Loop: Header=BB4_2477 Depth=4
	v_cmp_lt_u64_e32 vcc, s[88:89], v[2:3]
	v_add_u32_e32 v4, 7, v5
	v_cndmask_b32_e32 v4, v0, v4, vcc
	v_cndmask_b32_e64 v0, 0, 1, vcc
	v_lshrrev_b64 v[14:15], v0, v[2:3]
; %bb.2608:                             ;   in Loop: Header=BB4_2477 Depth=4
	s_andn2_saveexec_b64 s[40:41], s[40:41]
; %bb.2609:                             ;   in Loop: Header=BB4_2477 Depth=4
	v_mov_b32_e32 v15, v3
	v_bfe_u32 v4, v2, 23, 1
	v_mov_b32_e32 v14, v2
; %bb.2610:                             ;   in Loop: Header=BB4_2477 Depth=4
	s_or_b64 exec, exec, s[40:41]
	v_lshrrev_b64 v[14:15], 20, v[14:15]
	v_cmp_gt_i32_e32 vcc, 16, v4
	v_cndmask_b32_e32 v15, 0, v15, vcc
	v_cndmask_b32_e32 v14, 7, v14, vcc
	v_cmp_ne_u64_e32 vcc, 0, v[14:15]
	v_cmp_ne_u32_e64 s[40:41], 0, v4
	s_or_b64 s[40:41], s[40:41], vcc
                                        ; implicit-def: $vgpr28
	s_and_saveexec_b64 vcc, s[40:41]
	s_xor_b64 s[40:41], exec, vcc
; %bb.2611:                             ;   in Loop: Header=BB4_2477 Depth=4
	v_min_i32_e32 v0, 15, v4
	v_lshl_or_b32 v0, v0, 3, v22
	v_and_or_b32 v28, v14, 7, v0
                                        ; implicit-def: $vgpr22
; %bb.2612:                             ;   in Loop: Header=BB4_2477 Depth=4
	s_andn2_saveexec_b64 s[40:41], s[40:41]
; %bb.2613:                             ;   in Loop: Header=BB4_2477 Depth=4
	v_mov_b32_e32 v28, v22
; %bb.2614:                             ;   in Loop: Header=BB4_2477 Depth=4
	s_or_b64 exec, exec, s[40:41]
.LBB4_2615:                             ;   in Loop: Header=BB4_2477 Depth=4
	s_or_b64 exec, exec, s[52:53]
                                        ; implicit-def: $vgpr22
.LBB4_2616:                             ;   in Loop: Header=BB4_2477 Depth=4
	s_andn2_saveexec_b64 s[40:41], s[50:51]
; %bb.2617:                             ;   in Loop: Header=BB4_2477 Depth=4
	v_or_b32_e32 v28, 0x7e, v22
; %bb.2618:                             ;   in Loop: Header=BB4_2477 Depth=4
	s_or_b64 exec, exec, s[40:41]
                                        ; implicit-def: $vgpr4
.LBB4_2619:                             ;   in Loop: Header=BB4_2477 Depth=4
	s_andn2_saveexec_b64 s[40:41], s[48:49]
; %bb.2620:                             ;   in Loop: Header=BB4_2477 Depth=4
	v_or_b32_sdwa v28, v4, s81 dst_sel:DWORD dst_unused:UNUSED_PAD src0_sel:BYTE_3 src1_sel:DWORD
; %bb.2621:                             ;   in Loop: Header=BB4_2477 Depth=4
	s_or_b64 exec, exec, s[40:41]
	v_and_b32_e32 v2, 0xff, v50
	v_cmp_ne_u16_e64 s[40:41], 0, v2
	s_and_b64 vcc, exec, s[28:29]
	s_mov_b64 s[48:49], -1
                                        ; implicit-def: $vgpr4
	s_cbranch_vccnz .LBB4_2635
; %bb.2622:                             ;   in Loop: Header=BB4_2477 Depth=4
	v_mov_b32_e32 v5, 0
	v_mov_b32_e32 v4, 0
	s_and_saveexec_b64 s[48:49], s[40:41]
	s_cbranch_execz .LBB4_2628
; %bb.2623:                             ;   in Loop: Header=BB4_2477 Depth=4
	v_cmp_ne_u16_e32 vcc, s80, v2
	v_bfrev_b32_e32 v4, 1
	s_and_saveexec_b64 s[50:51], vcc
	s_cbranch_execz .LBB4_2627
; %bb.2624:                             ;   in Loop: Header=BB4_2477 Depth=4
	v_and_b32_e32 v0, 0x7f, v50
	v_cmp_ne_u32_e32 vcc, s81, v0
	v_mov_b32_e32 v4, 0x7f800001
	s_and_saveexec_b64 s[52:53], vcc
	s_cbranch_execz .LBB4_2626
; %bb.2625:                             ;   in Loop: Header=BB4_2477 Depth=4
	v_and_b32_e32 v4, 7, v2
	v_lshrrev_b32_e32 v22, 3, v0
	v_cmp_gt_u32_e32 vcc, 8, v0
	v_ffbh_u32_e32 v0, v4
	v_min_u32_e32 v0, 32, v0
	v_subrev_u32_e32 v14, 28, v0
	v_lshlrev_b64 v[14:15], v14, v[2:3]
	v_sub_u32_e32 v0, 29, v0
	v_and_b32_e32 v14, 7, v14
	v_cndmask_b32_e32 v0, v22, v0, vcc
	v_cndmask_b32_e32 v4, v4, v14, vcc
	v_lshlrev_b32_e32 v14, 24, v50
	v_lshlrev_b32_e32 v4, 20, v4
	v_and_b32_e32 v14, 0x80000000, v14
	v_lshl_add_u32 v0, v0, 23, v54
	v_or3_b32 v4, v14, v0, v4
.LBB4_2626:                             ;   in Loop: Header=BB4_2477 Depth=4
	s_or_b64 exec, exec, s[52:53]
.LBB4_2627:                             ;   in Loop: Header=BB4_2477 Depth=4
	s_or_b64 exec, exec, s[50:51]
.LBB4_2628:                             ;   in Loop: Header=BB4_2477 Depth=4
	s_or_b64 exec, exec, s[48:49]
	v_and_b32_e32 v14, 0xff, v30
	v_cmp_ne_u16_e32 vcc, 0, v14
	s_and_saveexec_b64 s[48:49], vcc
	s_cbranch_execz .LBB4_2634
; %bb.2629:                             ;   in Loop: Header=BB4_2477 Depth=4
	v_cmp_ne_u16_e32 vcc, s80, v14
	v_bfrev_b32_e32 v5, 1
	s_and_saveexec_b64 s[50:51], vcc
	s_cbranch_execz .LBB4_2633
; %bb.2630:                             ;   in Loop: Header=BB4_2477 Depth=4
	v_and_b32_e32 v0, 0x7f, v30
	v_cmp_ne_u32_e32 vcc, s81, v0
	v_mov_b32_e32 v5, 0x7f800001
	s_and_saveexec_b64 s[52:53], vcc
	s_cbranch_execz .LBB4_2632
; %bb.2631:                             ;   in Loop: Header=BB4_2477 Depth=4
	v_and_b32_e32 v5, 7, v14
	v_lshrrev_b32_e32 v22, 3, v0
	v_cmp_gt_u32_e32 vcc, 8, v0
	v_ffbh_u32_e32 v0, v5
	v_min_u32_e32 v0, 32, v0
	v_subrev_u32_e32 v15, 28, v0
	v_lshlrev_b64 v[14:15], v15, v[14:15]
	v_sub_u32_e32 v0, 29, v0
	v_and_b32_e32 v14, 7, v14
	v_cndmask_b32_e32 v0, v22, v0, vcc
	v_cndmask_b32_e32 v5, v5, v14, vcc
	v_lshlrev_b32_e32 v14, 24, v30
	v_lshlrev_b32_e32 v5, 20, v5
	v_and_b32_e32 v14, 0x80000000, v14
	v_lshl_add_u32 v0, v0, 23, v54
	v_or3_b32 v5, v14, v0, v5
.LBB4_2632:                             ;   in Loop: Header=BB4_2477 Depth=4
	s_or_b64 exec, exec, s[52:53]
.LBB4_2633:                             ;   in Loop: Header=BB4_2477 Depth=4
	s_or_b64 exec, exec, s[50:51]
.LBB4_2634:                             ;   in Loop: Header=BB4_2477 Depth=4
	s_or_b64 exec, exec, s[48:49]
	v_max_f32_e32 v0, v5, v5
	v_max_f32_e32 v4, v4, v4
	;; [unrolled: 1-line block ×3, first 2 shown]
	s_mov_b64 s[48:49], 0
.LBB4_2635:                             ;   in Loop: Header=BB4_2477 Depth=4
	s_and_b64 vcc, exec, s[48:49]
	s_cbranch_vccz .LBB4_2649
; %bb.2636:                             ;   in Loop: Header=BB4_2477 Depth=4
	v_mov_b32_e32 v5, 0
	v_mov_b32_e32 v4, 0
	s_and_saveexec_b64 s[48:49], s[40:41]
	s_cbranch_execz .LBB4_2642
; %bb.2637:                             ;   in Loop: Header=BB4_2477 Depth=4
	v_cmp_ne_u16_e32 vcc, s80, v2
	v_bfrev_b32_e32 v4, 1
	s_and_saveexec_b64 s[40:41], vcc
	s_cbranch_execz .LBB4_2641
; %bb.2638:                             ;   in Loop: Header=BB4_2477 Depth=4
	v_and_b32_e32 v0, 0x7f, v50
	v_cmp_ne_u32_e32 vcc, s81, v0
	v_mov_b32_e32 v4, 0x7f800001
	s_and_saveexec_b64 s[50:51], vcc
	s_cbranch_execz .LBB4_2640
; %bb.2639:                             ;   in Loop: Header=BB4_2477 Depth=4
	v_and_b32_e32 v4, 7, v2
	v_lshrrev_b32_e32 v22, 3, v0
	v_cmp_gt_u32_e32 vcc, 8, v0
	v_ffbh_u32_e32 v0, v4
	v_min_u32_e32 v0, 32, v0
	v_subrev_u32_e32 v14, 28, v0
	v_lshlrev_b64 v[14:15], v14, v[2:3]
	v_sub_u32_e32 v0, 29, v0
	v_and_b32_e32 v2, 7, v14
	v_cndmask_b32_e32 v0, v22, v0, vcc
	v_cndmask_b32_e32 v2, v4, v2, vcc
	v_lshlrev_b32_e32 v4, 24, v50
	v_lshlrev_b32_e32 v2, 20, v2
	v_and_b32_e32 v4, 0x80000000, v4
	v_lshl_add_u32 v0, v0, 23, v54
	v_or3_b32 v4, v4, v0, v2
.LBB4_2640:                             ;   in Loop: Header=BB4_2477 Depth=4
	s_or_b64 exec, exec, s[50:51]
.LBB4_2641:                             ;   in Loop: Header=BB4_2477 Depth=4
	s_or_b64 exec, exec, s[40:41]
.LBB4_2642:                             ;   in Loop: Header=BB4_2477 Depth=4
	s_or_b64 exec, exec, s[48:49]
	v_and_b32_e32 v2, 0xff, v30
	v_cmp_ne_u16_e32 vcc, 0, v2
	s_and_saveexec_b64 s[40:41], vcc
	s_cbranch_execz .LBB4_2648
; %bb.2643:                             ;   in Loop: Header=BB4_2477 Depth=4
	v_cmp_ne_u16_e32 vcc, s80, v2
	v_bfrev_b32_e32 v5, 1
	s_and_saveexec_b64 s[48:49], vcc
	s_cbranch_execz .LBB4_2647
; %bb.2644:                             ;   in Loop: Header=BB4_2477 Depth=4
	v_and_b32_e32 v0, 0x7f, v30
	v_cmp_ne_u32_e32 vcc, s81, v0
	v_mov_b32_e32 v5, 0x7f800001
	s_and_saveexec_b64 s[50:51], vcc
	s_cbranch_execz .LBB4_2646
; %bb.2645:                             ;   in Loop: Header=BB4_2477 Depth=4
	v_and_b32_e32 v5, 7, v2
	v_lshrrev_b32_e32 v22, 3, v0
	v_cmp_gt_u32_e32 vcc, 8, v0
	v_ffbh_u32_e32 v0, v5
	v_min_u32_e32 v0, 32, v0
	v_subrev_u32_e32 v14, 28, v0
	v_lshlrev_b64 v[14:15], v14, v[2:3]
	v_sub_u32_e32 v0, 29, v0
	v_and_b32_e32 v2, 7, v14
	v_cndmask_b32_e32 v0, v22, v0, vcc
	v_cndmask_b32_e32 v2, v5, v2, vcc
	v_lshlrev_b32_e32 v5, 24, v30
	v_lshlrev_b32_e32 v2, 20, v2
	v_and_b32_e32 v5, 0x80000000, v5
	v_lshl_add_u32 v0, v0, 23, v54
	v_or3_b32 v5, v5, v0, v2
.LBB4_2646:                             ;   in Loop: Header=BB4_2477 Depth=4
	s_or_b64 exec, exec, s[50:51]
.LBB4_2647:                             ;   in Loop: Header=BB4_2477 Depth=4
	s_or_b64 exec, exec, s[48:49]
.LBB4_2648:                             ;   in Loop: Header=BB4_2477 Depth=4
	s_or_b64 exec, exec, s[40:41]
	v_max_f32_e32 v0, v5, v5
	v_max_f32_e32 v2, v4, v4
	v_min_f32_e32 v4, v2, v0
.LBB4_2649:                             ;   in Loop: Header=BB4_2477 Depth=4
	v_and_b32_e32 v2, 0x7f800000, v4
	v_cmp_ne_u64_e32 vcc, s[76:77], v[2:3]
                                        ; implicit-def: $vgpr30
	s_and_saveexec_b64 s[40:41], vcc
	s_xor_b64 s[48:49], exec, s[40:41]
	s_cbranch_execz .LBB4_2667
; %bb.2650:                             ;   in Loop: Header=BB4_2477 Depth=4
	v_and_b32_e32 v2, 0x7fffffff, v4
	v_cmp_gt_u64_e32 vcc, s[78:79], v[2:3]
	v_and_b32_sdwa v22, v4, s80 dst_sel:DWORD dst_unused:UNUSED_PAD src0_sel:BYTE_3 src1_sel:DWORD
                                        ; implicit-def: $vgpr30
	s_and_saveexec_b64 s[40:41], vcc
	s_xor_b64 s[50:51], exec, s[40:41]
	s_cbranch_execz .LBB4_2664
; %bb.2651:                             ;   in Loop: Header=BB4_2477 Depth=4
	v_cmp_ne_u32_e32 vcc, 0, v4
	v_mov_b32_e32 v30, 0
	s_and_saveexec_b64 s[52:53], vcc
	s_cbranch_execz .LBB4_2663
; %bb.2652:                             ;   in Loop: Header=BB4_2477 Depth=4
	v_bfe_u32 v30, v4, 23, 8
	v_cmp_gt_u32_e64 s[40:41], s83, v30
	v_sub_u32_e32 v0, 0x79, v30
	v_and_b32_e32 v2, 0x7fffff, v4
	v_cmp_eq_u32_e32 vcc, 0, v30
	v_cndmask_b32_e64 v0, 0, v0, s[40:41]
	v_mov_b32_e32 v5, 0x78
	v_or_b32_e32 v4, 0x800000, v2
	v_cndmask_b32_e32 v0, v0, v5, vcc
	v_cndmask_b32_e32 v2, v4, v2, vcc
	v_add_u32_e32 v4, 20, v0
	v_lshlrev_b64 v[4:5], v4, -1
	v_add_u32_e32 v14, 19, v0
	v_lshlrev_b64 v[14:15], v14, 1
	v_bfi_b32 v5, v5, 0, 0
	v_bfi_b32 v4, v4, 0, v2
	v_cmp_eq_u64_e64 s[40:41], v[4:5], v[14:15]
	v_lshrrev_b64 v[14:15], v0, v[2:3]
	v_mov_b32_e32 v4, v14
	v_mov_b32_e32 v5, v15
	s_and_saveexec_b64 s[54:55], s[40:41]
; %bb.2653:                             ;   in Loop: Header=BB4_2477 Depth=4
	v_bfe_u32 v2, v14, 20, 1
	v_add_co_u32_e64 v2, s[40:41], v14, v2
	v_add_co_u32_e64 v4, s[40:41], -1, v2
; %bb.2654:                             ;   in Loop: Header=BB4_2477 Depth=4
	s_or_b64 exec, exec, s[54:55]
	v_add_u32_e32 v2, 0xffffff81, v30
	v_mov_b32_e32 v5, 0xffffff82
	v_cndmask_b32_e32 v2, v2, v5, vcc
	v_lshrrev_b32_e32 v5, 23, v14
	v_add3_u32 v5, v0, v2, v5
	v_add_u32_e32 v0, 6, v5
	v_and_b32_e32 v2, 0xfffff, v4
	v_add_u32_e32 v2, v2, v14
	v_cmp_ne_u32_e32 vcc, 0, v0
                                        ; implicit-def: $vgpr14_vgpr15
                                        ; implicit-def: $vgpr4
	s_and_saveexec_b64 s[40:41], vcc
	s_xor_b64 s[40:41], exec, s[40:41]
; %bb.2655:                             ;   in Loop: Header=BB4_2477 Depth=4
	v_cmp_lt_u64_e32 vcc, s[88:89], v[2:3]
	v_add_u32_e32 v4, 7, v5
	v_cndmask_b32_e32 v4, v0, v4, vcc
	v_cndmask_b32_e64 v0, 0, 1, vcc
	v_lshrrev_b64 v[14:15], v0, v[2:3]
; %bb.2656:                             ;   in Loop: Header=BB4_2477 Depth=4
	s_andn2_saveexec_b64 s[40:41], s[40:41]
; %bb.2657:                             ;   in Loop: Header=BB4_2477 Depth=4
	v_mov_b32_e32 v15, v3
	v_bfe_u32 v4, v2, 23, 1
	v_mov_b32_e32 v14, v2
; %bb.2658:                             ;   in Loop: Header=BB4_2477 Depth=4
	s_or_b64 exec, exec, s[40:41]
	v_lshrrev_b64 v[14:15], 20, v[14:15]
	v_cmp_gt_i32_e32 vcc, 16, v4
	v_cndmask_b32_e32 v15, 0, v15, vcc
	v_cndmask_b32_e32 v14, 7, v14, vcc
	v_cmp_ne_u64_e32 vcc, 0, v[14:15]
	v_cmp_ne_u32_e64 s[40:41], 0, v4
	s_or_b64 s[40:41], s[40:41], vcc
                                        ; implicit-def: $vgpr30
	s_and_saveexec_b64 vcc, s[40:41]
	s_xor_b64 s[40:41], exec, vcc
; %bb.2659:                             ;   in Loop: Header=BB4_2477 Depth=4
	v_min_i32_e32 v0, 15, v4
	v_lshl_or_b32 v0, v0, 3, v22
	v_and_or_b32 v30, v14, 7, v0
                                        ; implicit-def: $vgpr22
; %bb.2660:                             ;   in Loop: Header=BB4_2477 Depth=4
	s_andn2_saveexec_b64 s[40:41], s[40:41]
; %bb.2661:                             ;   in Loop: Header=BB4_2477 Depth=4
	v_mov_b32_e32 v30, v22
; %bb.2662:                             ;   in Loop: Header=BB4_2477 Depth=4
	s_or_b64 exec, exec, s[40:41]
.LBB4_2663:                             ;   in Loop: Header=BB4_2477 Depth=4
	s_or_b64 exec, exec, s[52:53]
                                        ; implicit-def: $vgpr22
.LBB4_2664:                             ;   in Loop: Header=BB4_2477 Depth=4
	s_andn2_saveexec_b64 s[40:41], s[50:51]
; %bb.2665:                             ;   in Loop: Header=BB4_2477 Depth=4
	v_or_b32_e32 v30, 0x7e, v22
; %bb.2666:                             ;   in Loop: Header=BB4_2477 Depth=4
	s_or_b64 exec, exec, s[40:41]
                                        ; implicit-def: $vgpr4
.LBB4_2667:                             ;   in Loop: Header=BB4_2477 Depth=4
	s_andn2_saveexec_b64 s[40:41], s[48:49]
; %bb.2668:                             ;   in Loop: Header=BB4_2477 Depth=4
	v_or_b32_sdwa v30, v4, s81 dst_sel:DWORD dst_unused:UNUSED_PAD src0_sel:BYTE_3 src1_sel:DWORD
; %bb.2669:                             ;   in Loop: Header=BB4_2477 Depth=4
	s_or_b64 exec, exec, s[40:41]
	v_and_b32_e32 v2, 0xff, v42
	v_cmp_ne_u16_e64 s[40:41], 0, v2
	s_and_b64 vcc, exec, s[28:29]
	s_mov_b64 s[48:49], -1
                                        ; implicit-def: $vgpr4
	s_cbranch_vccnz .LBB4_2683
; %bb.2670:                             ;   in Loop: Header=BB4_2477 Depth=4
	v_mov_b32_e32 v5, 0
	v_mov_b32_e32 v4, 0
	s_and_saveexec_b64 s[48:49], s[40:41]
	s_cbranch_execz .LBB4_2676
; %bb.2671:                             ;   in Loop: Header=BB4_2477 Depth=4
	v_cmp_ne_u16_e32 vcc, s80, v2
	v_bfrev_b32_e32 v4, 1
	s_and_saveexec_b64 s[50:51], vcc
	s_cbranch_execz .LBB4_2675
; %bb.2672:                             ;   in Loop: Header=BB4_2477 Depth=4
	v_and_b32_e32 v0, 0x7f, v42
	v_cmp_ne_u32_e32 vcc, s81, v0
	v_mov_b32_e32 v4, 0x7f800001
	s_and_saveexec_b64 s[52:53], vcc
	s_cbranch_execz .LBB4_2674
; %bb.2673:                             ;   in Loop: Header=BB4_2477 Depth=4
	v_and_b32_e32 v4, 7, v2
	v_lshrrev_b32_e32 v22, 3, v0
	v_cmp_gt_u32_e32 vcc, 8, v0
	v_ffbh_u32_e32 v0, v4
	v_min_u32_e32 v0, 32, v0
	v_subrev_u32_e32 v14, 28, v0
	v_lshlrev_b64 v[14:15], v14, v[2:3]
	v_sub_u32_e32 v0, 29, v0
	v_and_b32_e32 v14, 7, v14
	v_cndmask_b32_e32 v0, v22, v0, vcc
	v_cndmask_b32_e32 v4, v4, v14, vcc
	v_lshlrev_b32_e32 v14, 24, v42
	v_lshlrev_b32_e32 v4, 20, v4
	v_and_b32_e32 v14, 0x80000000, v14
	v_lshl_add_u32 v0, v0, 23, v54
	v_or3_b32 v4, v14, v0, v4
.LBB4_2674:                             ;   in Loop: Header=BB4_2477 Depth=4
	s_or_b64 exec, exec, s[52:53]
.LBB4_2675:                             ;   in Loop: Header=BB4_2477 Depth=4
	s_or_b64 exec, exec, s[50:51]
.LBB4_2676:                             ;   in Loop: Header=BB4_2477 Depth=4
	s_or_b64 exec, exec, s[48:49]
	v_and_b32_e32 v14, 0xff, v35
	v_cmp_ne_u16_e32 vcc, 0, v14
	s_and_saveexec_b64 s[48:49], vcc
	s_cbranch_execz .LBB4_2682
; %bb.2677:                             ;   in Loop: Header=BB4_2477 Depth=4
	v_cmp_ne_u16_e32 vcc, s80, v14
	v_bfrev_b32_e32 v5, 1
	s_and_saveexec_b64 s[50:51], vcc
	s_cbranch_execz .LBB4_2681
; %bb.2678:                             ;   in Loop: Header=BB4_2477 Depth=4
	v_and_b32_e32 v0, 0x7f, v35
	v_cmp_ne_u32_e32 vcc, s81, v0
	v_mov_b32_e32 v5, 0x7f800001
	s_and_saveexec_b64 s[52:53], vcc
	s_cbranch_execz .LBB4_2680
; %bb.2679:                             ;   in Loop: Header=BB4_2477 Depth=4
	v_and_b32_e32 v5, 7, v14
	v_lshrrev_b32_e32 v22, 3, v0
	v_cmp_gt_u32_e32 vcc, 8, v0
	v_ffbh_u32_e32 v0, v5
	v_min_u32_e32 v0, 32, v0
	v_subrev_u32_e32 v15, 28, v0
	v_lshlrev_b64 v[14:15], v15, v[14:15]
	v_sub_u32_e32 v0, 29, v0
	v_and_b32_e32 v14, 7, v14
	v_cndmask_b32_e32 v0, v22, v0, vcc
	v_cndmask_b32_e32 v5, v5, v14, vcc
	v_lshlrev_b32_e32 v14, 24, v35
	v_lshlrev_b32_e32 v5, 20, v5
	v_and_b32_e32 v14, 0x80000000, v14
	v_lshl_add_u32 v0, v0, 23, v54
	v_or3_b32 v5, v14, v0, v5
.LBB4_2680:                             ;   in Loop: Header=BB4_2477 Depth=4
	s_or_b64 exec, exec, s[52:53]
.LBB4_2681:                             ;   in Loop: Header=BB4_2477 Depth=4
	s_or_b64 exec, exec, s[50:51]
.LBB4_2682:                             ;   in Loop: Header=BB4_2477 Depth=4
	s_or_b64 exec, exec, s[48:49]
	v_max_f32_e32 v0, v5, v5
	v_max_f32_e32 v4, v4, v4
	;; [unrolled: 1-line block ×3, first 2 shown]
	s_mov_b64 s[48:49], 0
.LBB4_2683:                             ;   in Loop: Header=BB4_2477 Depth=4
	s_and_b64 vcc, exec, s[48:49]
	s_cbranch_vccz .LBB4_2697
; %bb.2684:                             ;   in Loop: Header=BB4_2477 Depth=4
	v_mov_b32_e32 v5, 0
	v_mov_b32_e32 v4, 0
	s_and_saveexec_b64 s[48:49], s[40:41]
	s_cbranch_execz .LBB4_2690
; %bb.2685:                             ;   in Loop: Header=BB4_2477 Depth=4
	v_cmp_ne_u16_e32 vcc, s80, v2
	v_bfrev_b32_e32 v4, 1
	s_and_saveexec_b64 s[40:41], vcc
	s_cbranch_execz .LBB4_2689
; %bb.2686:                             ;   in Loop: Header=BB4_2477 Depth=4
	v_and_b32_e32 v0, 0x7f, v42
	v_cmp_ne_u32_e32 vcc, s81, v0
	v_mov_b32_e32 v4, 0x7f800001
	s_and_saveexec_b64 s[50:51], vcc
	s_cbranch_execz .LBB4_2688
; %bb.2687:                             ;   in Loop: Header=BB4_2477 Depth=4
	v_and_b32_e32 v4, 7, v2
	v_lshrrev_b32_e32 v22, 3, v0
	v_cmp_gt_u32_e32 vcc, 8, v0
	v_ffbh_u32_e32 v0, v4
	v_min_u32_e32 v0, 32, v0
	v_subrev_u32_e32 v14, 28, v0
	v_lshlrev_b64 v[14:15], v14, v[2:3]
	v_sub_u32_e32 v0, 29, v0
	v_and_b32_e32 v2, 7, v14
	v_cndmask_b32_e32 v0, v22, v0, vcc
	v_cndmask_b32_e32 v2, v4, v2, vcc
	v_lshlrev_b32_e32 v4, 24, v42
	v_lshlrev_b32_e32 v2, 20, v2
	v_and_b32_e32 v4, 0x80000000, v4
	v_lshl_add_u32 v0, v0, 23, v54
	v_or3_b32 v4, v4, v0, v2
.LBB4_2688:                             ;   in Loop: Header=BB4_2477 Depth=4
	s_or_b64 exec, exec, s[50:51]
.LBB4_2689:                             ;   in Loop: Header=BB4_2477 Depth=4
	s_or_b64 exec, exec, s[40:41]
.LBB4_2690:                             ;   in Loop: Header=BB4_2477 Depth=4
	s_or_b64 exec, exec, s[48:49]
	v_and_b32_e32 v2, 0xff, v35
	v_cmp_ne_u16_e32 vcc, 0, v2
	s_and_saveexec_b64 s[40:41], vcc
	s_cbranch_execz .LBB4_2696
; %bb.2691:                             ;   in Loop: Header=BB4_2477 Depth=4
	v_cmp_ne_u16_e32 vcc, s80, v2
	v_bfrev_b32_e32 v5, 1
	s_and_saveexec_b64 s[48:49], vcc
	s_cbranch_execz .LBB4_2695
; %bb.2692:                             ;   in Loop: Header=BB4_2477 Depth=4
	v_and_b32_e32 v0, 0x7f, v35
	v_cmp_ne_u32_e32 vcc, s81, v0
	v_mov_b32_e32 v5, 0x7f800001
	s_and_saveexec_b64 s[50:51], vcc
	s_cbranch_execz .LBB4_2694
; %bb.2693:                             ;   in Loop: Header=BB4_2477 Depth=4
	v_and_b32_e32 v5, 7, v2
	v_lshrrev_b32_e32 v22, 3, v0
	v_cmp_gt_u32_e32 vcc, 8, v0
	v_ffbh_u32_e32 v0, v5
	v_min_u32_e32 v0, 32, v0
	v_subrev_u32_e32 v14, 28, v0
	v_lshlrev_b64 v[14:15], v14, v[2:3]
	v_sub_u32_e32 v0, 29, v0
	v_and_b32_e32 v2, 7, v14
	v_cndmask_b32_e32 v0, v22, v0, vcc
	v_cndmask_b32_e32 v2, v5, v2, vcc
	v_lshlrev_b32_e32 v5, 24, v35
	v_lshlrev_b32_e32 v2, 20, v2
	v_and_b32_e32 v5, 0x80000000, v5
	v_lshl_add_u32 v0, v0, 23, v54
	v_or3_b32 v5, v5, v0, v2
.LBB4_2694:                             ;   in Loop: Header=BB4_2477 Depth=4
	s_or_b64 exec, exec, s[50:51]
.LBB4_2695:                             ;   in Loop: Header=BB4_2477 Depth=4
	s_or_b64 exec, exec, s[48:49]
.LBB4_2696:                             ;   in Loop: Header=BB4_2477 Depth=4
	s_or_b64 exec, exec, s[40:41]
	v_max_f32_e32 v0, v5, v5
	v_max_f32_e32 v2, v4, v4
	v_min_f32_e32 v4, v2, v0
.LBB4_2697:                             ;   in Loop: Header=BB4_2477 Depth=4
	v_and_b32_e32 v2, 0x7f800000, v4
	v_cmp_ne_u64_e32 vcc, s[76:77], v[2:3]
                                        ; implicit-def: $vgpr35
	s_and_saveexec_b64 s[40:41], vcc
	s_xor_b64 s[48:49], exec, s[40:41]
	s_cbranch_execz .LBB4_2715
; %bb.2698:                             ;   in Loop: Header=BB4_2477 Depth=4
	v_and_b32_e32 v2, 0x7fffffff, v4
	v_cmp_gt_u64_e32 vcc, s[78:79], v[2:3]
	v_and_b32_sdwa v22, v4, s80 dst_sel:DWORD dst_unused:UNUSED_PAD src0_sel:BYTE_3 src1_sel:DWORD
                                        ; implicit-def: $vgpr35
	s_and_saveexec_b64 s[40:41], vcc
	s_xor_b64 s[50:51], exec, s[40:41]
	s_cbranch_execz .LBB4_2712
; %bb.2699:                             ;   in Loop: Header=BB4_2477 Depth=4
	v_cmp_ne_u32_e32 vcc, 0, v4
	v_mov_b32_e32 v35, 0
	s_and_saveexec_b64 s[52:53], vcc
	s_cbranch_execz .LBB4_2711
; %bb.2700:                             ;   in Loop: Header=BB4_2477 Depth=4
	v_bfe_u32 v35, v4, 23, 8
	v_cmp_gt_u32_e64 s[40:41], s83, v35
	v_sub_u32_e32 v0, 0x79, v35
	v_and_b32_e32 v2, 0x7fffff, v4
	v_cmp_eq_u32_e32 vcc, 0, v35
	v_cndmask_b32_e64 v0, 0, v0, s[40:41]
	v_mov_b32_e32 v5, 0x78
	v_or_b32_e32 v4, 0x800000, v2
	v_cndmask_b32_e32 v0, v0, v5, vcc
	v_cndmask_b32_e32 v2, v4, v2, vcc
	v_add_u32_e32 v4, 20, v0
	v_lshlrev_b64 v[4:5], v4, -1
	v_add_u32_e32 v14, 19, v0
	v_lshlrev_b64 v[14:15], v14, 1
	v_bfi_b32 v5, v5, 0, 0
	v_bfi_b32 v4, v4, 0, v2
	v_cmp_eq_u64_e64 s[40:41], v[4:5], v[14:15]
	v_lshrrev_b64 v[14:15], v0, v[2:3]
	v_mov_b32_e32 v4, v14
	v_mov_b32_e32 v5, v15
	s_and_saveexec_b64 s[54:55], s[40:41]
; %bb.2701:                             ;   in Loop: Header=BB4_2477 Depth=4
	v_bfe_u32 v2, v14, 20, 1
	v_add_co_u32_e64 v2, s[40:41], v14, v2
	v_add_co_u32_e64 v4, s[40:41], -1, v2
; %bb.2702:                             ;   in Loop: Header=BB4_2477 Depth=4
	s_or_b64 exec, exec, s[54:55]
	v_add_u32_e32 v2, 0xffffff81, v35
	v_mov_b32_e32 v5, 0xffffff82
	v_cndmask_b32_e32 v2, v2, v5, vcc
	v_lshrrev_b32_e32 v5, 23, v14
	v_add3_u32 v5, v0, v2, v5
	v_add_u32_e32 v0, 6, v5
	v_and_b32_e32 v2, 0xfffff, v4
	v_add_u32_e32 v2, v2, v14
	v_cmp_ne_u32_e32 vcc, 0, v0
                                        ; implicit-def: $vgpr14_vgpr15
                                        ; implicit-def: $vgpr4
	s_and_saveexec_b64 s[40:41], vcc
	s_xor_b64 s[40:41], exec, s[40:41]
; %bb.2703:                             ;   in Loop: Header=BB4_2477 Depth=4
	v_cmp_lt_u64_e32 vcc, s[88:89], v[2:3]
	v_add_u32_e32 v4, 7, v5
	v_cndmask_b32_e32 v4, v0, v4, vcc
	v_cndmask_b32_e64 v0, 0, 1, vcc
	v_lshrrev_b64 v[14:15], v0, v[2:3]
; %bb.2704:                             ;   in Loop: Header=BB4_2477 Depth=4
	s_andn2_saveexec_b64 s[40:41], s[40:41]
; %bb.2705:                             ;   in Loop: Header=BB4_2477 Depth=4
	v_mov_b32_e32 v15, v3
	v_bfe_u32 v4, v2, 23, 1
	v_mov_b32_e32 v14, v2
; %bb.2706:                             ;   in Loop: Header=BB4_2477 Depth=4
	s_or_b64 exec, exec, s[40:41]
	v_lshrrev_b64 v[14:15], 20, v[14:15]
	v_cmp_gt_i32_e32 vcc, 16, v4
	v_cndmask_b32_e32 v15, 0, v15, vcc
	v_cndmask_b32_e32 v14, 7, v14, vcc
	v_cmp_ne_u64_e32 vcc, 0, v[14:15]
	v_cmp_ne_u32_e64 s[40:41], 0, v4
	s_or_b64 s[40:41], s[40:41], vcc
                                        ; implicit-def: $vgpr35
	s_and_saveexec_b64 vcc, s[40:41]
	s_xor_b64 s[40:41], exec, vcc
; %bb.2707:                             ;   in Loop: Header=BB4_2477 Depth=4
	v_min_i32_e32 v0, 15, v4
	v_lshl_or_b32 v0, v0, 3, v22
	v_and_or_b32 v35, v14, 7, v0
                                        ; implicit-def: $vgpr22
; %bb.2708:                             ;   in Loop: Header=BB4_2477 Depth=4
	s_andn2_saveexec_b64 s[40:41], s[40:41]
; %bb.2709:                             ;   in Loop: Header=BB4_2477 Depth=4
	v_mov_b32_e32 v35, v22
; %bb.2710:                             ;   in Loop: Header=BB4_2477 Depth=4
	s_or_b64 exec, exec, s[40:41]
.LBB4_2711:                             ;   in Loop: Header=BB4_2477 Depth=4
	s_or_b64 exec, exec, s[52:53]
                                        ; implicit-def: $vgpr22
.LBB4_2712:                             ;   in Loop: Header=BB4_2477 Depth=4
	s_andn2_saveexec_b64 s[40:41], s[50:51]
; %bb.2713:                             ;   in Loop: Header=BB4_2477 Depth=4
	v_or_b32_e32 v35, 0x7e, v22
; %bb.2714:                             ;   in Loop: Header=BB4_2477 Depth=4
	s_or_b64 exec, exec, s[40:41]
                                        ; implicit-def: $vgpr4
.LBB4_2715:                             ;   in Loop: Header=BB4_2477 Depth=4
	s_andn2_saveexec_b64 s[40:41], s[48:49]
; %bb.2716:                             ;   in Loop: Header=BB4_2477 Depth=4
	v_or_b32_sdwa v35, v4, s81 dst_sel:DWORD dst_unused:UNUSED_PAD src0_sel:BYTE_3 src1_sel:DWORD
; %bb.2717:                             ;   in Loop: Header=BB4_2477 Depth=4
	s_or_b64 exec, exec, s[40:41]
	v_and_b32_e32 v2, 0xff, v55
	v_cmp_ne_u16_e64 s[40:41], 0, v2
	s_and_b64 vcc, exec, s[28:29]
	s_mov_b64 s[48:49], -1
                                        ; implicit-def: $vgpr4
	s_cbranch_vccnz .LBB4_2731
; %bb.2718:                             ;   in Loop: Header=BB4_2477 Depth=4
	v_mov_b32_e32 v5, 0
	v_mov_b32_e32 v4, 0
	s_and_saveexec_b64 s[48:49], s[40:41]
	s_cbranch_execz .LBB4_2724
; %bb.2719:                             ;   in Loop: Header=BB4_2477 Depth=4
	v_cmp_ne_u16_e32 vcc, s80, v2
	v_bfrev_b32_e32 v4, 1
	s_and_saveexec_b64 s[50:51], vcc
	s_cbranch_execz .LBB4_2723
; %bb.2720:                             ;   in Loop: Header=BB4_2477 Depth=4
	v_and_b32_e32 v0, 0x7f, v55
	v_cmp_ne_u32_e32 vcc, s81, v0
	v_mov_b32_e32 v4, 0x7f800001
	s_and_saveexec_b64 s[52:53], vcc
	s_cbranch_execz .LBB4_2722
; %bb.2721:                             ;   in Loop: Header=BB4_2477 Depth=4
	v_and_b32_e32 v4, 7, v2
	v_lshrrev_b32_e32 v22, 3, v0
	v_cmp_gt_u32_e32 vcc, 8, v0
	v_ffbh_u32_e32 v0, v4
	v_min_u32_e32 v0, 32, v0
	v_subrev_u32_e32 v14, 28, v0
	v_lshlrev_b64 v[14:15], v14, v[2:3]
	v_sub_u32_e32 v0, 29, v0
	v_and_b32_e32 v14, 7, v14
	v_cndmask_b32_e32 v0, v22, v0, vcc
	v_cndmask_b32_e32 v4, v4, v14, vcc
	v_lshlrev_b32_e32 v14, 24, v55
	v_lshlrev_b32_e32 v4, 20, v4
	v_and_b32_e32 v14, 0x80000000, v14
	v_lshl_add_u32 v0, v0, 23, v54
	v_or3_b32 v4, v14, v0, v4
.LBB4_2722:                             ;   in Loop: Header=BB4_2477 Depth=4
	s_or_b64 exec, exec, s[52:53]
.LBB4_2723:                             ;   in Loop: Header=BB4_2477 Depth=4
	s_or_b64 exec, exec, s[50:51]
.LBB4_2724:                             ;   in Loop: Header=BB4_2477 Depth=4
	s_or_b64 exec, exec, s[48:49]
	v_and_b32_e32 v14, 0xff, v53
	v_cmp_ne_u16_e32 vcc, 0, v14
	s_and_saveexec_b64 s[48:49], vcc
	s_cbranch_execz .LBB4_2730
; %bb.2725:                             ;   in Loop: Header=BB4_2477 Depth=4
	v_cmp_ne_u16_e32 vcc, s80, v14
	v_bfrev_b32_e32 v5, 1
	s_and_saveexec_b64 s[50:51], vcc
	s_cbranch_execz .LBB4_2729
; %bb.2726:                             ;   in Loop: Header=BB4_2477 Depth=4
	v_and_b32_e32 v0, 0x7f, v53
	v_cmp_ne_u32_e32 vcc, s81, v0
	v_mov_b32_e32 v5, 0x7f800001
	s_and_saveexec_b64 s[52:53], vcc
	s_cbranch_execz .LBB4_2728
; %bb.2727:                             ;   in Loop: Header=BB4_2477 Depth=4
	v_and_b32_e32 v5, 7, v14
	v_lshrrev_b32_e32 v22, 3, v0
	v_cmp_gt_u32_e32 vcc, 8, v0
	v_ffbh_u32_e32 v0, v5
	v_min_u32_e32 v0, 32, v0
	v_subrev_u32_e32 v15, 28, v0
	v_lshlrev_b64 v[14:15], v15, v[14:15]
	v_sub_u32_e32 v0, 29, v0
	v_and_b32_e32 v14, 7, v14
	v_cndmask_b32_e32 v0, v22, v0, vcc
	v_cndmask_b32_e32 v5, v5, v14, vcc
	v_lshlrev_b32_e32 v14, 24, v53
	v_lshlrev_b32_e32 v5, 20, v5
	v_and_b32_e32 v14, 0x80000000, v14
	v_lshl_add_u32 v0, v0, 23, v54
	v_or3_b32 v5, v14, v0, v5
.LBB4_2728:                             ;   in Loop: Header=BB4_2477 Depth=4
	s_or_b64 exec, exec, s[52:53]
.LBB4_2729:                             ;   in Loop: Header=BB4_2477 Depth=4
	s_or_b64 exec, exec, s[50:51]
.LBB4_2730:                             ;   in Loop: Header=BB4_2477 Depth=4
	s_or_b64 exec, exec, s[48:49]
	v_max_f32_e32 v0, v5, v5
	v_max_f32_e32 v4, v4, v4
	;; [unrolled: 1-line block ×3, first 2 shown]
	s_mov_b64 s[48:49], 0
.LBB4_2731:                             ;   in Loop: Header=BB4_2477 Depth=4
	s_and_b64 vcc, exec, s[48:49]
	s_cbranch_vccz .LBB4_2745
; %bb.2732:                             ;   in Loop: Header=BB4_2477 Depth=4
	v_mov_b32_e32 v5, 0
	v_mov_b32_e32 v4, 0
	s_and_saveexec_b64 s[48:49], s[40:41]
	s_cbranch_execz .LBB4_2738
; %bb.2733:                             ;   in Loop: Header=BB4_2477 Depth=4
	v_cmp_ne_u16_e32 vcc, s80, v2
	v_bfrev_b32_e32 v4, 1
	s_and_saveexec_b64 s[40:41], vcc
	s_cbranch_execz .LBB4_2737
; %bb.2734:                             ;   in Loop: Header=BB4_2477 Depth=4
	v_and_b32_e32 v0, 0x7f, v55
	v_cmp_ne_u32_e32 vcc, s81, v0
	v_mov_b32_e32 v4, 0x7f800001
	s_and_saveexec_b64 s[50:51], vcc
	s_cbranch_execz .LBB4_2736
; %bb.2735:                             ;   in Loop: Header=BB4_2477 Depth=4
	v_and_b32_e32 v4, 7, v2
	v_lshrrev_b32_e32 v22, 3, v0
	v_cmp_gt_u32_e32 vcc, 8, v0
	v_ffbh_u32_e32 v0, v4
	v_min_u32_e32 v0, 32, v0
	v_subrev_u32_e32 v14, 28, v0
	v_lshlrev_b64 v[14:15], v14, v[2:3]
	v_sub_u32_e32 v0, 29, v0
	v_and_b32_e32 v2, 7, v14
	v_cndmask_b32_e32 v0, v22, v0, vcc
	v_cndmask_b32_e32 v2, v4, v2, vcc
	v_lshlrev_b32_e32 v4, 24, v55
	v_lshlrev_b32_e32 v2, 20, v2
	v_and_b32_e32 v4, 0x80000000, v4
	v_lshl_add_u32 v0, v0, 23, v54
	v_or3_b32 v4, v4, v0, v2
.LBB4_2736:                             ;   in Loop: Header=BB4_2477 Depth=4
	s_or_b64 exec, exec, s[50:51]
.LBB4_2737:                             ;   in Loop: Header=BB4_2477 Depth=4
	s_or_b64 exec, exec, s[40:41]
.LBB4_2738:                             ;   in Loop: Header=BB4_2477 Depth=4
	s_or_b64 exec, exec, s[48:49]
	v_and_b32_e32 v2, 0xff, v53
	v_cmp_ne_u16_e32 vcc, 0, v2
	s_and_saveexec_b64 s[40:41], vcc
	s_cbranch_execz .LBB4_2744
; %bb.2739:                             ;   in Loop: Header=BB4_2477 Depth=4
	v_cmp_ne_u16_e32 vcc, s80, v2
	v_bfrev_b32_e32 v5, 1
	s_and_saveexec_b64 s[48:49], vcc
	s_cbranch_execz .LBB4_2743
; %bb.2740:                             ;   in Loop: Header=BB4_2477 Depth=4
	v_and_b32_e32 v0, 0x7f, v53
	v_cmp_ne_u32_e32 vcc, s81, v0
	v_mov_b32_e32 v5, 0x7f800001
	s_and_saveexec_b64 s[50:51], vcc
	s_cbranch_execz .LBB4_2742
; %bb.2741:                             ;   in Loop: Header=BB4_2477 Depth=4
	v_and_b32_e32 v5, 7, v2
	v_lshrrev_b32_e32 v22, 3, v0
	v_cmp_gt_u32_e32 vcc, 8, v0
	v_ffbh_u32_e32 v0, v5
	v_min_u32_e32 v0, 32, v0
	v_subrev_u32_e32 v14, 28, v0
	v_lshlrev_b64 v[14:15], v14, v[2:3]
	v_sub_u32_e32 v0, 29, v0
	v_and_b32_e32 v2, 7, v14
	v_cndmask_b32_e32 v0, v22, v0, vcc
	v_cndmask_b32_e32 v2, v5, v2, vcc
	v_lshlrev_b32_e32 v5, 24, v53
	v_lshlrev_b32_e32 v2, 20, v2
	v_and_b32_e32 v5, 0x80000000, v5
	v_lshl_add_u32 v0, v0, 23, v54
	v_or3_b32 v5, v5, v0, v2
.LBB4_2742:                             ;   in Loop: Header=BB4_2477 Depth=4
	s_or_b64 exec, exec, s[50:51]
.LBB4_2743:                             ;   in Loop: Header=BB4_2477 Depth=4
	s_or_b64 exec, exec, s[48:49]
.LBB4_2744:                             ;   in Loop: Header=BB4_2477 Depth=4
	s_or_b64 exec, exec, s[40:41]
	v_max_f32_e32 v0, v5, v5
	v_max_f32_e32 v2, v4, v4
	v_min_f32_e32 v4, v2, v0
.LBB4_2745:                             ;   in Loop: Header=BB4_2477 Depth=4
	v_and_b32_e32 v2, 0x7f800000, v4
	v_cmp_ne_u64_e32 vcc, s[76:77], v[2:3]
                                        ; implicit-def: $vgpr53
	s_and_saveexec_b64 s[40:41], vcc
	s_xor_b64 s[48:49], exec, s[40:41]
	s_cbranch_execz .LBB4_2763
; %bb.2746:                             ;   in Loop: Header=BB4_2477 Depth=4
	v_and_b32_e32 v2, 0x7fffffff, v4
	v_cmp_gt_u64_e32 vcc, s[78:79], v[2:3]
	v_and_b32_sdwa v22, v4, s80 dst_sel:DWORD dst_unused:UNUSED_PAD src0_sel:BYTE_3 src1_sel:DWORD
                                        ; implicit-def: $vgpr53
	s_and_saveexec_b64 s[40:41], vcc
	s_xor_b64 s[50:51], exec, s[40:41]
	s_cbranch_execz .LBB4_2760
; %bb.2747:                             ;   in Loop: Header=BB4_2477 Depth=4
	v_cmp_ne_u32_e32 vcc, 0, v4
	v_mov_b32_e32 v53, 0
	s_and_saveexec_b64 s[52:53], vcc
	s_cbranch_execz .LBB4_2759
; %bb.2748:                             ;   in Loop: Header=BB4_2477 Depth=4
	v_bfe_u32 v50, v4, 23, 8
	v_cmp_gt_u32_e64 s[40:41], s83, v50
	v_sub_u32_e32 v0, 0x79, v50
	v_and_b32_e32 v2, 0x7fffff, v4
	v_cmp_eq_u32_e32 vcc, 0, v50
	v_cndmask_b32_e64 v0, 0, v0, s[40:41]
	v_mov_b32_e32 v5, 0x78
	v_or_b32_e32 v4, 0x800000, v2
	v_cndmask_b32_e32 v0, v0, v5, vcc
	v_cndmask_b32_e32 v2, v4, v2, vcc
	v_add_u32_e32 v4, 20, v0
	v_lshlrev_b64 v[4:5], v4, -1
	v_add_u32_e32 v14, 19, v0
	v_lshlrev_b64 v[14:15], v14, 1
	v_bfi_b32 v5, v5, 0, 0
	v_bfi_b32 v4, v4, 0, v2
	v_cmp_eq_u64_e64 s[40:41], v[4:5], v[14:15]
	v_lshrrev_b64 v[14:15], v0, v[2:3]
	v_mov_b32_e32 v4, v14
	v_mov_b32_e32 v5, v15
	s_and_saveexec_b64 s[54:55], s[40:41]
; %bb.2749:                             ;   in Loop: Header=BB4_2477 Depth=4
	v_bfe_u32 v2, v14, 20, 1
	v_add_co_u32_e64 v2, s[40:41], v14, v2
	v_add_co_u32_e64 v4, s[40:41], -1, v2
; %bb.2750:                             ;   in Loop: Header=BB4_2477 Depth=4
	s_or_b64 exec, exec, s[54:55]
	v_add_u32_e32 v2, 0xffffff81, v50
	v_mov_b32_e32 v5, 0xffffff82
	v_cndmask_b32_e32 v2, v2, v5, vcc
	v_lshrrev_b32_e32 v5, 23, v14
	v_add3_u32 v5, v0, v2, v5
	v_add_u32_e32 v0, 6, v5
	v_and_b32_e32 v2, 0xfffff, v4
	v_add_u32_e32 v2, v2, v14
	v_cmp_ne_u32_e32 vcc, 0, v0
                                        ; implicit-def: $vgpr14_vgpr15
                                        ; implicit-def: $vgpr4
	s_and_saveexec_b64 s[40:41], vcc
	s_xor_b64 s[40:41], exec, s[40:41]
; %bb.2751:                             ;   in Loop: Header=BB4_2477 Depth=4
	v_cmp_lt_u64_e32 vcc, s[88:89], v[2:3]
	v_add_u32_e32 v4, 7, v5
	v_cndmask_b32_e32 v4, v0, v4, vcc
	v_cndmask_b32_e64 v0, 0, 1, vcc
	v_lshrrev_b64 v[14:15], v0, v[2:3]
; %bb.2752:                             ;   in Loop: Header=BB4_2477 Depth=4
	s_andn2_saveexec_b64 s[40:41], s[40:41]
; %bb.2753:                             ;   in Loop: Header=BB4_2477 Depth=4
	v_mov_b32_e32 v15, v3
	v_bfe_u32 v4, v2, 23, 1
	v_mov_b32_e32 v14, v2
; %bb.2754:                             ;   in Loop: Header=BB4_2477 Depth=4
	s_or_b64 exec, exec, s[40:41]
	v_lshrrev_b64 v[14:15], 20, v[14:15]
	v_cmp_gt_i32_e32 vcc, 16, v4
	v_cndmask_b32_e32 v15, 0, v15, vcc
	v_cndmask_b32_e32 v14, 7, v14, vcc
	v_cmp_ne_u64_e32 vcc, 0, v[14:15]
	v_cmp_ne_u32_e64 s[40:41], 0, v4
	s_or_b64 s[40:41], s[40:41], vcc
                                        ; implicit-def: $vgpr53
	s_and_saveexec_b64 vcc, s[40:41]
	s_xor_b64 s[40:41], exec, vcc
; %bb.2755:                             ;   in Loop: Header=BB4_2477 Depth=4
	v_min_i32_e32 v0, 15, v4
	v_lshl_or_b32 v0, v0, 3, v22
	v_and_or_b32 v53, v14, 7, v0
                                        ; implicit-def: $vgpr22
; %bb.2756:                             ;   in Loop: Header=BB4_2477 Depth=4
	s_andn2_saveexec_b64 s[40:41], s[40:41]
; %bb.2757:                             ;   in Loop: Header=BB4_2477 Depth=4
	v_mov_b32_e32 v53, v22
; %bb.2758:                             ;   in Loop: Header=BB4_2477 Depth=4
	s_or_b64 exec, exec, s[40:41]
.LBB4_2759:                             ;   in Loop: Header=BB4_2477 Depth=4
	s_or_b64 exec, exec, s[52:53]
                                        ; implicit-def: $vgpr22
.LBB4_2760:                             ;   in Loop: Header=BB4_2477 Depth=4
	s_andn2_saveexec_b64 s[40:41], s[50:51]
; %bb.2761:                             ;   in Loop: Header=BB4_2477 Depth=4
	v_or_b32_e32 v53, 0x7e, v22
; %bb.2762:                             ;   in Loop: Header=BB4_2477 Depth=4
	s_or_b64 exec, exec, s[40:41]
                                        ; implicit-def: $vgpr4
.LBB4_2763:                             ;   in Loop: Header=BB4_2477 Depth=4
	s_andn2_saveexec_b64 s[40:41], s[48:49]
; %bb.2764:                             ;   in Loop: Header=BB4_2477 Depth=4
	v_or_b32_sdwa v53, v4, s81 dst_sel:DWORD dst_unused:UNUSED_PAD src0_sel:BYTE_3 src1_sel:DWORD
; %bb.2765:                             ;   in Loop: Header=BB4_2477 Depth=4
	s_or_b64 exec, exec, s[40:41]
	v_and_b32_e32 v2, 0xff, v47
	v_cmp_ne_u16_e64 s[40:41], 0, v2
	s_and_b64 vcc, exec, s[28:29]
	s_mov_b64 s[48:49], -1
                                        ; implicit-def: $vgpr4
	s_cbranch_vccnz .LBB4_2779
; %bb.2766:                             ;   in Loop: Header=BB4_2477 Depth=4
	v_mov_b32_e32 v5, 0
	v_mov_b32_e32 v4, 0
	s_and_saveexec_b64 s[48:49], s[40:41]
	s_cbranch_execz .LBB4_2772
; %bb.2767:                             ;   in Loop: Header=BB4_2477 Depth=4
	v_cmp_ne_u16_e32 vcc, s80, v2
	v_bfrev_b32_e32 v4, 1
	s_and_saveexec_b64 s[50:51], vcc
	s_cbranch_execz .LBB4_2771
; %bb.2768:                             ;   in Loop: Header=BB4_2477 Depth=4
	v_and_b32_e32 v0, 0x7f, v47
	v_cmp_ne_u32_e32 vcc, s81, v0
	v_mov_b32_e32 v4, 0x7f800001
	s_and_saveexec_b64 s[52:53], vcc
	s_cbranch_execz .LBB4_2770
; %bb.2769:                             ;   in Loop: Header=BB4_2477 Depth=4
	v_and_b32_e32 v4, 7, v2
	v_lshrrev_b32_e32 v22, 3, v0
	v_cmp_gt_u32_e32 vcc, 8, v0
	v_ffbh_u32_e32 v0, v4
	v_min_u32_e32 v0, 32, v0
	v_subrev_u32_e32 v14, 28, v0
	v_lshlrev_b64 v[14:15], v14, v[2:3]
	v_sub_u32_e32 v0, 29, v0
	v_and_b32_e32 v14, 7, v14
	v_cndmask_b32_e32 v0, v22, v0, vcc
	v_cndmask_b32_e32 v4, v4, v14, vcc
	v_lshlrev_b32_e32 v14, 24, v47
	v_lshlrev_b32_e32 v4, 20, v4
	v_and_b32_e32 v14, 0x80000000, v14
	v_lshl_add_u32 v0, v0, 23, v54
	v_or3_b32 v4, v14, v0, v4
.LBB4_2770:                             ;   in Loop: Header=BB4_2477 Depth=4
	s_or_b64 exec, exec, s[52:53]
.LBB4_2771:                             ;   in Loop: Header=BB4_2477 Depth=4
	s_or_b64 exec, exec, s[50:51]
.LBB4_2772:                             ;   in Loop: Header=BB4_2477 Depth=4
	s_or_b64 exec, exec, s[48:49]
	v_and_b32_e32 v14, 0xff, v43
	v_cmp_ne_u16_e32 vcc, 0, v14
	s_and_saveexec_b64 s[48:49], vcc
	s_cbranch_execz .LBB4_2778
; %bb.2773:                             ;   in Loop: Header=BB4_2477 Depth=4
	v_cmp_ne_u16_e32 vcc, s80, v14
	v_bfrev_b32_e32 v5, 1
	s_and_saveexec_b64 s[50:51], vcc
	s_cbranch_execz .LBB4_2777
; %bb.2774:                             ;   in Loop: Header=BB4_2477 Depth=4
	v_and_b32_e32 v0, 0x7f, v43
	v_cmp_ne_u32_e32 vcc, s81, v0
	v_mov_b32_e32 v5, 0x7f800001
	s_and_saveexec_b64 s[52:53], vcc
	s_cbranch_execz .LBB4_2776
; %bb.2775:                             ;   in Loop: Header=BB4_2477 Depth=4
	v_and_b32_e32 v5, 7, v14
	v_lshrrev_b32_e32 v22, 3, v0
	v_cmp_gt_u32_e32 vcc, 8, v0
	v_ffbh_u32_e32 v0, v5
	v_min_u32_e32 v0, 32, v0
	v_subrev_u32_e32 v15, 28, v0
	v_lshlrev_b64 v[14:15], v15, v[14:15]
	v_sub_u32_e32 v0, 29, v0
	v_and_b32_e32 v14, 7, v14
	v_cndmask_b32_e32 v0, v22, v0, vcc
	v_cndmask_b32_e32 v5, v5, v14, vcc
	v_lshlrev_b32_e32 v14, 24, v43
	v_lshlrev_b32_e32 v5, 20, v5
	v_and_b32_e32 v14, 0x80000000, v14
	v_lshl_add_u32 v0, v0, 23, v54
	v_or3_b32 v5, v14, v0, v5
.LBB4_2776:                             ;   in Loop: Header=BB4_2477 Depth=4
	s_or_b64 exec, exec, s[52:53]
.LBB4_2777:                             ;   in Loop: Header=BB4_2477 Depth=4
	s_or_b64 exec, exec, s[50:51]
.LBB4_2778:                             ;   in Loop: Header=BB4_2477 Depth=4
	s_or_b64 exec, exec, s[48:49]
	v_max_f32_e32 v0, v5, v5
	v_max_f32_e32 v4, v4, v4
	v_max_f32_e32 v4, v4, v0
	s_mov_b64 s[48:49], 0
.LBB4_2779:                             ;   in Loop: Header=BB4_2477 Depth=4
	s_and_b64 vcc, exec, s[48:49]
	s_cbranch_vccz .LBB4_2793
; %bb.2780:                             ;   in Loop: Header=BB4_2477 Depth=4
	v_mov_b32_e32 v5, 0
	v_mov_b32_e32 v4, 0
	s_and_saveexec_b64 s[48:49], s[40:41]
	s_cbranch_execz .LBB4_2786
; %bb.2781:                             ;   in Loop: Header=BB4_2477 Depth=4
	v_cmp_ne_u16_e32 vcc, s80, v2
	v_bfrev_b32_e32 v4, 1
	s_and_saveexec_b64 s[40:41], vcc
	s_cbranch_execz .LBB4_2785
; %bb.2782:                             ;   in Loop: Header=BB4_2477 Depth=4
	v_and_b32_e32 v0, 0x7f, v47
	v_cmp_ne_u32_e32 vcc, s81, v0
	v_mov_b32_e32 v4, 0x7f800001
	s_and_saveexec_b64 s[50:51], vcc
	s_cbranch_execz .LBB4_2784
; %bb.2783:                             ;   in Loop: Header=BB4_2477 Depth=4
	v_and_b32_e32 v4, 7, v2
	v_lshrrev_b32_e32 v22, 3, v0
	v_cmp_gt_u32_e32 vcc, 8, v0
	v_ffbh_u32_e32 v0, v4
	v_min_u32_e32 v0, 32, v0
	v_subrev_u32_e32 v14, 28, v0
	v_lshlrev_b64 v[14:15], v14, v[2:3]
	v_sub_u32_e32 v0, 29, v0
	v_and_b32_e32 v2, 7, v14
	v_cndmask_b32_e32 v0, v22, v0, vcc
	v_cndmask_b32_e32 v2, v4, v2, vcc
	v_lshlrev_b32_e32 v4, 24, v47
	v_lshlrev_b32_e32 v2, 20, v2
	v_and_b32_e32 v4, 0x80000000, v4
	v_lshl_add_u32 v0, v0, 23, v54
	v_or3_b32 v4, v4, v0, v2
.LBB4_2784:                             ;   in Loop: Header=BB4_2477 Depth=4
	s_or_b64 exec, exec, s[50:51]
.LBB4_2785:                             ;   in Loop: Header=BB4_2477 Depth=4
	s_or_b64 exec, exec, s[40:41]
.LBB4_2786:                             ;   in Loop: Header=BB4_2477 Depth=4
	s_or_b64 exec, exec, s[48:49]
	v_and_b32_e32 v2, 0xff, v43
	v_cmp_ne_u16_e32 vcc, 0, v2
	s_and_saveexec_b64 s[40:41], vcc
	s_cbranch_execz .LBB4_2792
; %bb.2787:                             ;   in Loop: Header=BB4_2477 Depth=4
	v_cmp_ne_u16_e32 vcc, s80, v2
	v_bfrev_b32_e32 v5, 1
	s_and_saveexec_b64 s[48:49], vcc
	s_cbranch_execz .LBB4_2791
; %bb.2788:                             ;   in Loop: Header=BB4_2477 Depth=4
	v_and_b32_e32 v0, 0x7f, v43
	v_cmp_ne_u32_e32 vcc, s81, v0
	v_mov_b32_e32 v5, 0x7f800001
	s_and_saveexec_b64 s[50:51], vcc
	s_cbranch_execz .LBB4_2790
; %bb.2789:                             ;   in Loop: Header=BB4_2477 Depth=4
	v_and_b32_e32 v5, 7, v2
	v_lshrrev_b32_e32 v22, 3, v0
	v_cmp_gt_u32_e32 vcc, 8, v0
	v_ffbh_u32_e32 v0, v5
	v_min_u32_e32 v0, 32, v0
	v_subrev_u32_e32 v14, 28, v0
	v_lshlrev_b64 v[14:15], v14, v[2:3]
	v_sub_u32_e32 v0, 29, v0
	v_and_b32_e32 v2, 7, v14
	v_cndmask_b32_e32 v0, v22, v0, vcc
	v_cndmask_b32_e32 v2, v5, v2, vcc
	v_lshlrev_b32_e32 v5, 24, v43
	v_lshlrev_b32_e32 v2, 20, v2
	v_and_b32_e32 v5, 0x80000000, v5
	v_lshl_add_u32 v0, v0, 23, v54
	v_or3_b32 v5, v5, v0, v2
.LBB4_2790:                             ;   in Loop: Header=BB4_2477 Depth=4
	s_or_b64 exec, exec, s[50:51]
.LBB4_2791:                             ;   in Loop: Header=BB4_2477 Depth=4
	s_or_b64 exec, exec, s[48:49]
.LBB4_2792:                             ;   in Loop: Header=BB4_2477 Depth=4
	s_or_b64 exec, exec, s[40:41]
	v_max_f32_e32 v0, v5, v5
	v_max_f32_e32 v2, v4, v4
	v_min_f32_e32 v4, v2, v0
.LBB4_2793:                             ;   in Loop: Header=BB4_2477 Depth=4
	v_and_b32_e32 v2, 0x7f800000, v4
	v_cmp_ne_u64_e32 vcc, s[76:77], v[2:3]
                                        ; implicit-def: $vgpr47
	s_and_saveexec_b64 s[40:41], vcc
	s_xor_b64 s[48:49], exec, s[40:41]
	s_cbranch_execz .LBB4_2811
; %bb.2794:                             ;   in Loop: Header=BB4_2477 Depth=4
	v_and_b32_e32 v2, 0x7fffffff, v4
	v_cmp_gt_u64_e32 vcc, s[78:79], v[2:3]
	v_and_b32_sdwa v22, v4, s80 dst_sel:DWORD dst_unused:UNUSED_PAD src0_sel:BYTE_3 src1_sel:DWORD
                                        ; implicit-def: $vgpr47
	s_and_saveexec_b64 s[40:41], vcc
	s_xor_b64 s[50:51], exec, s[40:41]
	s_cbranch_execz .LBB4_2808
; %bb.2795:                             ;   in Loop: Header=BB4_2477 Depth=4
	v_cmp_ne_u32_e32 vcc, 0, v4
	v_mov_b32_e32 v47, 0
	s_and_saveexec_b64 s[52:53], vcc
	s_cbranch_execz .LBB4_2807
; %bb.2796:                             ;   in Loop: Header=BB4_2477 Depth=4
	v_bfe_u32 v50, v4, 23, 8
	v_cmp_gt_u32_e64 s[40:41], s83, v50
	v_sub_u32_e32 v0, 0x79, v50
	v_and_b32_e32 v2, 0x7fffff, v4
	v_cmp_eq_u32_e32 vcc, 0, v50
	v_cndmask_b32_e64 v0, 0, v0, s[40:41]
	v_mov_b32_e32 v5, 0x78
	v_or_b32_e32 v4, 0x800000, v2
	v_cndmask_b32_e32 v0, v0, v5, vcc
	v_cndmask_b32_e32 v2, v4, v2, vcc
	v_add_u32_e32 v4, 20, v0
	v_lshlrev_b64 v[4:5], v4, -1
	v_add_u32_e32 v14, 19, v0
	v_lshlrev_b64 v[14:15], v14, 1
	v_bfi_b32 v5, v5, 0, 0
	v_bfi_b32 v4, v4, 0, v2
	v_cmp_eq_u64_e64 s[40:41], v[4:5], v[14:15]
	v_lshrrev_b64 v[14:15], v0, v[2:3]
	v_mov_b32_e32 v4, v14
	v_mov_b32_e32 v5, v15
	s_and_saveexec_b64 s[54:55], s[40:41]
; %bb.2797:                             ;   in Loop: Header=BB4_2477 Depth=4
	v_bfe_u32 v2, v14, 20, 1
	v_add_co_u32_e64 v2, s[40:41], v14, v2
	v_add_co_u32_e64 v4, s[40:41], -1, v2
; %bb.2798:                             ;   in Loop: Header=BB4_2477 Depth=4
	s_or_b64 exec, exec, s[54:55]
	v_add_u32_e32 v2, 0xffffff81, v50
	v_mov_b32_e32 v5, 0xffffff82
	v_cndmask_b32_e32 v2, v2, v5, vcc
	v_lshrrev_b32_e32 v5, 23, v14
	v_add3_u32 v5, v0, v2, v5
	v_add_u32_e32 v0, 6, v5
	v_and_b32_e32 v2, 0xfffff, v4
	v_add_u32_e32 v2, v2, v14
	v_cmp_ne_u32_e32 vcc, 0, v0
                                        ; implicit-def: $vgpr14_vgpr15
                                        ; implicit-def: $vgpr4
	s_and_saveexec_b64 s[40:41], vcc
	s_xor_b64 s[40:41], exec, s[40:41]
; %bb.2799:                             ;   in Loop: Header=BB4_2477 Depth=4
	v_cmp_lt_u64_e32 vcc, s[88:89], v[2:3]
	v_add_u32_e32 v4, 7, v5
	v_cndmask_b32_e32 v4, v0, v4, vcc
	v_cndmask_b32_e64 v0, 0, 1, vcc
	v_lshrrev_b64 v[14:15], v0, v[2:3]
; %bb.2800:                             ;   in Loop: Header=BB4_2477 Depth=4
	s_andn2_saveexec_b64 s[40:41], s[40:41]
; %bb.2801:                             ;   in Loop: Header=BB4_2477 Depth=4
	v_mov_b32_e32 v15, v3
	v_bfe_u32 v4, v2, 23, 1
	v_mov_b32_e32 v14, v2
; %bb.2802:                             ;   in Loop: Header=BB4_2477 Depth=4
	s_or_b64 exec, exec, s[40:41]
	v_lshrrev_b64 v[14:15], 20, v[14:15]
	v_cmp_gt_i32_e32 vcc, 16, v4
	v_cndmask_b32_e32 v15, 0, v15, vcc
	v_cndmask_b32_e32 v14, 7, v14, vcc
	v_cmp_ne_u64_e32 vcc, 0, v[14:15]
	v_cmp_ne_u32_e64 s[40:41], 0, v4
	s_or_b64 s[40:41], s[40:41], vcc
                                        ; implicit-def: $vgpr47
	s_and_saveexec_b64 vcc, s[40:41]
	s_xor_b64 s[40:41], exec, vcc
; %bb.2803:                             ;   in Loop: Header=BB4_2477 Depth=4
	v_min_i32_e32 v0, 15, v4
	v_lshl_or_b32 v0, v0, 3, v22
	v_and_or_b32 v47, v14, 7, v0
                                        ; implicit-def: $vgpr22
; %bb.2804:                             ;   in Loop: Header=BB4_2477 Depth=4
	s_andn2_saveexec_b64 s[40:41], s[40:41]
; %bb.2805:                             ;   in Loop: Header=BB4_2477 Depth=4
	v_mov_b32_e32 v47, v22
; %bb.2806:                             ;   in Loop: Header=BB4_2477 Depth=4
	s_or_b64 exec, exec, s[40:41]
.LBB4_2807:                             ;   in Loop: Header=BB4_2477 Depth=4
	s_or_b64 exec, exec, s[52:53]
                                        ; implicit-def: $vgpr22
.LBB4_2808:                             ;   in Loop: Header=BB4_2477 Depth=4
	s_andn2_saveexec_b64 s[40:41], s[50:51]
; %bb.2809:                             ;   in Loop: Header=BB4_2477 Depth=4
	v_or_b32_e32 v47, 0x7e, v22
; %bb.2810:                             ;   in Loop: Header=BB4_2477 Depth=4
	s_or_b64 exec, exec, s[40:41]
                                        ; implicit-def: $vgpr4
.LBB4_2811:                             ;   in Loop: Header=BB4_2477 Depth=4
	s_andn2_saveexec_b64 s[40:41], s[48:49]
; %bb.2812:                             ;   in Loop: Header=BB4_2477 Depth=4
	v_or_b32_sdwa v47, v4, s81 dst_sel:DWORD dst_unused:UNUSED_PAD src0_sel:BYTE_3 src1_sel:DWORD
; %bb.2813:                             ;   in Loop: Header=BB4_2477 Depth=4
	s_or_b64 exec, exec, s[40:41]
	v_and_b32_e32 v2, 0xff, v59
	v_cmp_ne_u16_e64 s[40:41], 0, v2
	s_and_b64 vcc, exec, s[28:29]
	s_mov_b64 s[48:49], -1
                                        ; implicit-def: $vgpr4
	s_cbranch_vccnz .LBB4_2827
; %bb.2814:                             ;   in Loop: Header=BB4_2477 Depth=4
	v_mov_b32_e32 v5, 0
	v_mov_b32_e32 v4, 0
	s_and_saveexec_b64 s[48:49], s[40:41]
	s_cbranch_execz .LBB4_2820
; %bb.2815:                             ;   in Loop: Header=BB4_2477 Depth=4
	v_cmp_ne_u16_e32 vcc, s80, v2
	v_bfrev_b32_e32 v4, 1
	s_and_saveexec_b64 s[50:51], vcc
	s_cbranch_execz .LBB4_2819
; %bb.2816:                             ;   in Loop: Header=BB4_2477 Depth=4
	v_and_b32_e32 v0, 0x7f, v59
	v_cmp_ne_u32_e32 vcc, s81, v0
	v_mov_b32_e32 v4, 0x7f800001
	s_and_saveexec_b64 s[52:53], vcc
	s_cbranch_execz .LBB4_2818
; %bb.2817:                             ;   in Loop: Header=BB4_2477 Depth=4
	v_and_b32_e32 v4, 7, v2
	v_lshrrev_b32_e32 v22, 3, v0
	v_cmp_gt_u32_e32 vcc, 8, v0
	v_ffbh_u32_e32 v0, v4
	v_min_u32_e32 v0, 32, v0
	v_subrev_u32_e32 v14, 28, v0
	v_lshlrev_b64 v[14:15], v14, v[2:3]
	v_sub_u32_e32 v0, 29, v0
	v_and_b32_e32 v14, 7, v14
	v_cndmask_b32_e32 v0, v22, v0, vcc
	v_cndmask_b32_e32 v4, v4, v14, vcc
	v_lshlrev_b32_e32 v14, 24, v59
	v_lshlrev_b32_e32 v4, 20, v4
	v_and_b32_e32 v14, 0x80000000, v14
	v_lshl_add_u32 v0, v0, 23, v54
	v_or3_b32 v4, v14, v0, v4
.LBB4_2818:                             ;   in Loop: Header=BB4_2477 Depth=4
	s_or_b64 exec, exec, s[52:53]
.LBB4_2819:                             ;   in Loop: Header=BB4_2477 Depth=4
	s_or_b64 exec, exec, s[50:51]
.LBB4_2820:                             ;   in Loop: Header=BB4_2477 Depth=4
	s_or_b64 exec, exec, s[48:49]
	v_and_b32_e32 v14, 0xff, v58
	v_cmp_ne_u16_e32 vcc, 0, v14
	s_and_saveexec_b64 s[48:49], vcc
	s_cbranch_execz .LBB4_2826
; %bb.2821:                             ;   in Loop: Header=BB4_2477 Depth=4
	v_cmp_ne_u16_e32 vcc, s80, v14
	v_bfrev_b32_e32 v5, 1
	s_and_saveexec_b64 s[50:51], vcc
	s_cbranch_execz .LBB4_2825
; %bb.2822:                             ;   in Loop: Header=BB4_2477 Depth=4
	v_and_b32_e32 v0, 0x7f, v58
	v_cmp_ne_u32_e32 vcc, s81, v0
	v_mov_b32_e32 v5, 0x7f800001
	s_and_saveexec_b64 s[52:53], vcc
	s_cbranch_execz .LBB4_2824
; %bb.2823:                             ;   in Loop: Header=BB4_2477 Depth=4
	v_and_b32_e32 v5, 7, v14
	v_lshrrev_b32_e32 v22, 3, v0
	v_cmp_gt_u32_e32 vcc, 8, v0
	v_ffbh_u32_e32 v0, v5
	v_min_u32_e32 v0, 32, v0
	v_subrev_u32_e32 v15, 28, v0
	v_lshlrev_b64 v[14:15], v15, v[14:15]
	v_sub_u32_e32 v0, 29, v0
	v_and_b32_e32 v14, 7, v14
	v_cndmask_b32_e32 v0, v22, v0, vcc
	v_cndmask_b32_e32 v5, v5, v14, vcc
	v_lshlrev_b32_e32 v14, 24, v58
	v_lshlrev_b32_e32 v5, 20, v5
	v_and_b32_e32 v14, 0x80000000, v14
	v_lshl_add_u32 v0, v0, 23, v54
	v_or3_b32 v5, v14, v0, v5
.LBB4_2824:                             ;   in Loop: Header=BB4_2477 Depth=4
	s_or_b64 exec, exec, s[52:53]
.LBB4_2825:                             ;   in Loop: Header=BB4_2477 Depth=4
	s_or_b64 exec, exec, s[50:51]
.LBB4_2826:                             ;   in Loop: Header=BB4_2477 Depth=4
	s_or_b64 exec, exec, s[48:49]
	v_max_f32_e32 v0, v5, v5
	v_max_f32_e32 v4, v4, v4
	;; [unrolled: 1-line block ×3, first 2 shown]
	s_mov_b64 s[48:49], 0
.LBB4_2827:                             ;   in Loop: Header=BB4_2477 Depth=4
	s_and_b64 vcc, exec, s[48:49]
	s_cbranch_vccz .LBB4_2841
; %bb.2828:                             ;   in Loop: Header=BB4_2477 Depth=4
	v_mov_b32_e32 v5, 0
	v_mov_b32_e32 v4, 0
	s_and_saveexec_b64 s[48:49], s[40:41]
	s_cbranch_execz .LBB4_2834
; %bb.2829:                             ;   in Loop: Header=BB4_2477 Depth=4
	v_cmp_ne_u16_e32 vcc, s80, v2
	v_bfrev_b32_e32 v4, 1
	s_and_saveexec_b64 s[40:41], vcc
	s_cbranch_execz .LBB4_2833
; %bb.2830:                             ;   in Loop: Header=BB4_2477 Depth=4
	v_and_b32_e32 v0, 0x7f, v59
	v_cmp_ne_u32_e32 vcc, s81, v0
	v_mov_b32_e32 v4, 0x7f800001
	s_and_saveexec_b64 s[50:51], vcc
	s_cbranch_execz .LBB4_2832
; %bb.2831:                             ;   in Loop: Header=BB4_2477 Depth=4
	v_and_b32_e32 v4, 7, v2
	v_lshrrev_b32_e32 v22, 3, v0
	v_cmp_gt_u32_e32 vcc, 8, v0
	v_ffbh_u32_e32 v0, v4
	v_min_u32_e32 v0, 32, v0
	v_subrev_u32_e32 v14, 28, v0
	v_lshlrev_b64 v[14:15], v14, v[2:3]
	v_sub_u32_e32 v0, 29, v0
	v_and_b32_e32 v2, 7, v14
	v_cndmask_b32_e32 v0, v22, v0, vcc
	v_cndmask_b32_e32 v2, v4, v2, vcc
	v_lshlrev_b32_e32 v4, 24, v59
	v_lshlrev_b32_e32 v2, 20, v2
	v_and_b32_e32 v4, 0x80000000, v4
	v_lshl_add_u32 v0, v0, 23, v54
	v_or3_b32 v4, v4, v0, v2
.LBB4_2832:                             ;   in Loop: Header=BB4_2477 Depth=4
	s_or_b64 exec, exec, s[50:51]
.LBB4_2833:                             ;   in Loop: Header=BB4_2477 Depth=4
	s_or_b64 exec, exec, s[40:41]
.LBB4_2834:                             ;   in Loop: Header=BB4_2477 Depth=4
	s_or_b64 exec, exec, s[48:49]
	v_and_b32_e32 v2, 0xff, v58
	v_cmp_ne_u16_e32 vcc, 0, v2
	s_and_saveexec_b64 s[40:41], vcc
	s_cbranch_execz .LBB4_2840
; %bb.2835:                             ;   in Loop: Header=BB4_2477 Depth=4
	v_cmp_ne_u16_e32 vcc, s80, v2
	v_bfrev_b32_e32 v5, 1
	s_and_saveexec_b64 s[48:49], vcc
	s_cbranch_execz .LBB4_2839
; %bb.2836:                             ;   in Loop: Header=BB4_2477 Depth=4
	v_and_b32_e32 v0, 0x7f, v58
	v_cmp_ne_u32_e32 vcc, s81, v0
	v_mov_b32_e32 v5, 0x7f800001
	s_and_saveexec_b64 s[50:51], vcc
	s_cbranch_execz .LBB4_2838
; %bb.2837:                             ;   in Loop: Header=BB4_2477 Depth=4
	v_and_b32_e32 v5, 7, v2
	v_lshrrev_b32_e32 v22, 3, v0
	v_cmp_gt_u32_e32 vcc, 8, v0
	v_ffbh_u32_e32 v0, v5
	v_min_u32_e32 v0, 32, v0
	v_subrev_u32_e32 v14, 28, v0
	v_lshlrev_b64 v[14:15], v14, v[2:3]
	v_sub_u32_e32 v0, 29, v0
	v_and_b32_e32 v2, 7, v14
	v_cndmask_b32_e32 v0, v22, v0, vcc
	v_cndmask_b32_e32 v2, v5, v2, vcc
	v_lshlrev_b32_e32 v5, 24, v58
	v_lshlrev_b32_e32 v2, 20, v2
	v_and_b32_e32 v5, 0x80000000, v5
	v_lshl_add_u32 v0, v0, 23, v54
	v_or3_b32 v5, v5, v0, v2
.LBB4_2838:                             ;   in Loop: Header=BB4_2477 Depth=4
	s_or_b64 exec, exec, s[50:51]
.LBB4_2839:                             ;   in Loop: Header=BB4_2477 Depth=4
	s_or_b64 exec, exec, s[48:49]
.LBB4_2840:                             ;   in Loop: Header=BB4_2477 Depth=4
	s_or_b64 exec, exec, s[40:41]
	v_max_f32_e32 v0, v5, v5
	v_max_f32_e32 v2, v4, v4
	v_min_f32_e32 v4, v2, v0
.LBB4_2841:                             ;   in Loop: Header=BB4_2477 Depth=4
	v_and_b32_e32 v2, 0x7f800000, v4
	v_cmp_ne_u64_e32 vcc, s[76:77], v[2:3]
                                        ; implicit-def: $vgpr58
	s_and_saveexec_b64 s[40:41], vcc
	s_xor_b64 s[48:49], exec, s[40:41]
	s_cbranch_execz .LBB4_2859
; %bb.2842:                             ;   in Loop: Header=BB4_2477 Depth=4
	v_and_b32_e32 v2, 0x7fffffff, v4
	v_cmp_gt_u64_e32 vcc, s[78:79], v[2:3]
	v_and_b32_sdwa v22, v4, s80 dst_sel:DWORD dst_unused:UNUSED_PAD src0_sel:BYTE_3 src1_sel:DWORD
                                        ; implicit-def: $vgpr58
	s_and_saveexec_b64 s[40:41], vcc
	s_xor_b64 s[50:51], exec, s[40:41]
	s_cbranch_execz .LBB4_2856
; %bb.2843:                             ;   in Loop: Header=BB4_2477 Depth=4
	v_cmp_ne_u32_e32 vcc, 0, v4
	v_mov_b32_e32 v58, 0
	s_and_saveexec_b64 s[52:53], vcc
	s_cbranch_execz .LBB4_2855
; %bb.2844:                             ;   in Loop: Header=BB4_2477 Depth=4
	v_bfe_u32 v50, v4, 23, 8
	v_cmp_gt_u32_e64 s[40:41], s83, v50
	v_sub_u32_e32 v0, 0x79, v50
	v_and_b32_e32 v2, 0x7fffff, v4
	v_cmp_eq_u32_e32 vcc, 0, v50
	v_cndmask_b32_e64 v0, 0, v0, s[40:41]
	v_mov_b32_e32 v5, 0x78
	v_or_b32_e32 v4, 0x800000, v2
	v_cndmask_b32_e32 v0, v0, v5, vcc
	v_cndmask_b32_e32 v2, v4, v2, vcc
	v_add_u32_e32 v4, 20, v0
	v_lshlrev_b64 v[4:5], v4, -1
	v_add_u32_e32 v14, 19, v0
	v_lshlrev_b64 v[14:15], v14, 1
	v_bfi_b32 v5, v5, 0, 0
	v_bfi_b32 v4, v4, 0, v2
	v_cmp_eq_u64_e64 s[40:41], v[4:5], v[14:15]
	v_lshrrev_b64 v[14:15], v0, v[2:3]
	v_mov_b32_e32 v4, v14
	v_mov_b32_e32 v5, v15
	s_and_saveexec_b64 s[54:55], s[40:41]
; %bb.2845:                             ;   in Loop: Header=BB4_2477 Depth=4
	v_bfe_u32 v2, v14, 20, 1
	v_add_co_u32_e64 v2, s[40:41], v14, v2
	v_add_co_u32_e64 v4, s[40:41], -1, v2
; %bb.2846:                             ;   in Loop: Header=BB4_2477 Depth=4
	s_or_b64 exec, exec, s[54:55]
	v_add_u32_e32 v2, 0xffffff81, v50
	v_mov_b32_e32 v5, 0xffffff82
	v_cndmask_b32_e32 v2, v2, v5, vcc
	v_lshrrev_b32_e32 v5, 23, v14
	v_add3_u32 v5, v0, v2, v5
	v_add_u32_e32 v0, 6, v5
	v_and_b32_e32 v2, 0xfffff, v4
	v_add_u32_e32 v2, v2, v14
	v_cmp_ne_u32_e32 vcc, 0, v0
                                        ; implicit-def: $vgpr14_vgpr15
                                        ; implicit-def: $vgpr4
	s_and_saveexec_b64 s[40:41], vcc
	s_xor_b64 s[40:41], exec, s[40:41]
; %bb.2847:                             ;   in Loop: Header=BB4_2477 Depth=4
	v_cmp_lt_u64_e32 vcc, s[88:89], v[2:3]
	v_add_u32_e32 v4, 7, v5
	v_cndmask_b32_e32 v4, v0, v4, vcc
	v_cndmask_b32_e64 v0, 0, 1, vcc
	v_lshrrev_b64 v[14:15], v0, v[2:3]
; %bb.2848:                             ;   in Loop: Header=BB4_2477 Depth=4
	s_andn2_saveexec_b64 s[40:41], s[40:41]
; %bb.2849:                             ;   in Loop: Header=BB4_2477 Depth=4
	v_mov_b32_e32 v15, v3
	v_bfe_u32 v4, v2, 23, 1
	v_mov_b32_e32 v14, v2
; %bb.2850:                             ;   in Loop: Header=BB4_2477 Depth=4
	s_or_b64 exec, exec, s[40:41]
	v_lshrrev_b64 v[14:15], 20, v[14:15]
	v_cmp_gt_i32_e32 vcc, 16, v4
	v_cndmask_b32_e32 v15, 0, v15, vcc
	v_cndmask_b32_e32 v14, 7, v14, vcc
	v_cmp_ne_u64_e32 vcc, 0, v[14:15]
	v_cmp_ne_u32_e64 s[40:41], 0, v4
	s_or_b64 s[40:41], s[40:41], vcc
                                        ; implicit-def: $vgpr58
	s_and_saveexec_b64 vcc, s[40:41]
	s_xor_b64 s[40:41], exec, vcc
; %bb.2851:                             ;   in Loop: Header=BB4_2477 Depth=4
	v_min_i32_e32 v0, 15, v4
	v_lshl_or_b32 v0, v0, 3, v22
	v_and_or_b32 v58, v14, 7, v0
                                        ; implicit-def: $vgpr22
; %bb.2852:                             ;   in Loop: Header=BB4_2477 Depth=4
	s_andn2_saveexec_b64 s[40:41], s[40:41]
; %bb.2853:                             ;   in Loop: Header=BB4_2477 Depth=4
	v_mov_b32_e32 v58, v22
; %bb.2854:                             ;   in Loop: Header=BB4_2477 Depth=4
	s_or_b64 exec, exec, s[40:41]
.LBB4_2855:                             ;   in Loop: Header=BB4_2477 Depth=4
	s_or_b64 exec, exec, s[52:53]
                                        ; implicit-def: $vgpr22
.LBB4_2856:                             ;   in Loop: Header=BB4_2477 Depth=4
	s_andn2_saveexec_b64 s[40:41], s[50:51]
; %bb.2857:                             ;   in Loop: Header=BB4_2477 Depth=4
	v_or_b32_e32 v58, 0x7e, v22
; %bb.2858:                             ;   in Loop: Header=BB4_2477 Depth=4
	s_or_b64 exec, exec, s[40:41]
                                        ; implicit-def: $vgpr4
.LBB4_2859:                             ;   in Loop: Header=BB4_2477 Depth=4
	s_andn2_saveexec_b64 s[40:41], s[48:49]
; %bb.2860:                             ;   in Loop: Header=BB4_2477 Depth=4
	v_or_b32_sdwa v58, v4, s81 dst_sel:DWORD dst_unused:UNUSED_PAD src0_sel:BYTE_3 src1_sel:DWORD
; %bb.2861:                             ;   in Loop: Header=BB4_2477 Depth=4
	s_or_b64 exec, exec, s[40:41]
	v_and_b32_e32 v2, 0xff, v57
	v_cmp_ne_u16_e64 s[40:41], 0, v2
	s_and_b64 vcc, exec, s[28:29]
	s_mov_b64 s[48:49], -1
                                        ; implicit-def: $vgpr4
	s_cbranch_vccnz .LBB4_2875
; %bb.2862:                             ;   in Loop: Header=BB4_2477 Depth=4
	v_mov_b32_e32 v5, 0
	v_mov_b32_e32 v4, 0
	s_and_saveexec_b64 s[48:49], s[40:41]
	s_cbranch_execz .LBB4_2868
; %bb.2863:                             ;   in Loop: Header=BB4_2477 Depth=4
	v_cmp_ne_u16_e32 vcc, s80, v2
	v_bfrev_b32_e32 v4, 1
	s_and_saveexec_b64 s[50:51], vcc
	s_cbranch_execz .LBB4_2867
; %bb.2864:                             ;   in Loop: Header=BB4_2477 Depth=4
	v_and_b32_e32 v0, 0x7f, v57
	v_cmp_ne_u32_e32 vcc, s81, v0
	v_mov_b32_e32 v4, 0x7f800001
	s_and_saveexec_b64 s[52:53], vcc
	s_cbranch_execz .LBB4_2866
; %bb.2865:                             ;   in Loop: Header=BB4_2477 Depth=4
	v_and_b32_e32 v4, 7, v2
	v_lshrrev_b32_e32 v22, 3, v0
	v_cmp_gt_u32_e32 vcc, 8, v0
	v_ffbh_u32_e32 v0, v4
	v_min_u32_e32 v0, 32, v0
	v_subrev_u32_e32 v14, 28, v0
	v_lshlrev_b64 v[14:15], v14, v[2:3]
	v_sub_u32_e32 v0, 29, v0
	v_and_b32_e32 v14, 7, v14
	v_cndmask_b32_e32 v0, v22, v0, vcc
	v_cndmask_b32_e32 v4, v4, v14, vcc
	v_lshlrev_b32_e32 v14, 24, v57
	v_lshlrev_b32_e32 v4, 20, v4
	v_and_b32_e32 v14, 0x80000000, v14
	v_lshl_add_u32 v0, v0, 23, v54
	v_or3_b32 v4, v14, v0, v4
.LBB4_2866:                             ;   in Loop: Header=BB4_2477 Depth=4
	s_or_b64 exec, exec, s[52:53]
.LBB4_2867:                             ;   in Loop: Header=BB4_2477 Depth=4
	s_or_b64 exec, exec, s[50:51]
.LBB4_2868:                             ;   in Loop: Header=BB4_2477 Depth=4
	s_or_b64 exec, exec, s[48:49]
	v_and_b32_e32 v14, 0xff, v56
	v_cmp_ne_u16_e32 vcc, 0, v14
	s_and_saveexec_b64 s[48:49], vcc
	s_cbranch_execz .LBB4_2874
; %bb.2869:                             ;   in Loop: Header=BB4_2477 Depth=4
	v_cmp_ne_u16_e32 vcc, s80, v14
	v_bfrev_b32_e32 v5, 1
	s_and_saveexec_b64 s[50:51], vcc
	s_cbranch_execz .LBB4_2873
; %bb.2870:                             ;   in Loop: Header=BB4_2477 Depth=4
	v_and_b32_e32 v0, 0x7f, v56
	v_cmp_ne_u32_e32 vcc, s81, v0
	v_mov_b32_e32 v5, 0x7f800001
	s_and_saveexec_b64 s[52:53], vcc
	s_cbranch_execz .LBB4_2872
; %bb.2871:                             ;   in Loop: Header=BB4_2477 Depth=4
	v_and_b32_e32 v5, 7, v14
	v_lshrrev_b32_e32 v22, 3, v0
	v_cmp_gt_u32_e32 vcc, 8, v0
	v_ffbh_u32_e32 v0, v5
	v_min_u32_e32 v0, 32, v0
	v_subrev_u32_e32 v15, 28, v0
	v_lshlrev_b64 v[14:15], v15, v[14:15]
	v_sub_u32_e32 v0, 29, v0
	v_and_b32_e32 v14, 7, v14
	v_cndmask_b32_e32 v0, v22, v0, vcc
	v_cndmask_b32_e32 v5, v5, v14, vcc
	v_lshlrev_b32_e32 v14, 24, v56
	v_lshlrev_b32_e32 v5, 20, v5
	v_and_b32_e32 v14, 0x80000000, v14
	v_lshl_add_u32 v0, v0, 23, v54
	v_or3_b32 v5, v14, v0, v5
.LBB4_2872:                             ;   in Loop: Header=BB4_2477 Depth=4
	s_or_b64 exec, exec, s[52:53]
.LBB4_2873:                             ;   in Loop: Header=BB4_2477 Depth=4
	s_or_b64 exec, exec, s[50:51]
.LBB4_2874:                             ;   in Loop: Header=BB4_2477 Depth=4
	s_or_b64 exec, exec, s[48:49]
	v_max_f32_e32 v0, v5, v5
	v_max_f32_e32 v4, v4, v4
	;; [unrolled: 1-line block ×3, first 2 shown]
	s_mov_b64 s[48:49], 0
.LBB4_2875:                             ;   in Loop: Header=BB4_2477 Depth=4
	s_and_b64 vcc, exec, s[48:49]
	s_cbranch_vccz .LBB4_2889
; %bb.2876:                             ;   in Loop: Header=BB4_2477 Depth=4
	v_mov_b32_e32 v5, 0
	v_mov_b32_e32 v4, 0
	s_and_saveexec_b64 s[48:49], s[40:41]
	s_cbranch_execz .LBB4_2882
; %bb.2877:                             ;   in Loop: Header=BB4_2477 Depth=4
	v_cmp_ne_u16_e32 vcc, s80, v2
	v_bfrev_b32_e32 v4, 1
	s_and_saveexec_b64 s[40:41], vcc
	s_cbranch_execz .LBB4_2881
; %bb.2878:                             ;   in Loop: Header=BB4_2477 Depth=4
	v_and_b32_e32 v0, 0x7f, v57
	v_cmp_ne_u32_e32 vcc, s81, v0
	v_mov_b32_e32 v4, 0x7f800001
	s_and_saveexec_b64 s[50:51], vcc
	s_cbranch_execz .LBB4_2880
; %bb.2879:                             ;   in Loop: Header=BB4_2477 Depth=4
	v_and_b32_e32 v4, 7, v2
	v_lshrrev_b32_e32 v22, 3, v0
	v_cmp_gt_u32_e32 vcc, 8, v0
	v_ffbh_u32_e32 v0, v4
	v_min_u32_e32 v0, 32, v0
	v_subrev_u32_e32 v14, 28, v0
	v_lshlrev_b64 v[14:15], v14, v[2:3]
	v_sub_u32_e32 v0, 29, v0
	v_and_b32_e32 v2, 7, v14
	v_cndmask_b32_e32 v0, v22, v0, vcc
	v_cndmask_b32_e32 v2, v4, v2, vcc
	v_lshlrev_b32_e32 v4, 24, v57
	v_lshlrev_b32_e32 v2, 20, v2
	v_and_b32_e32 v4, 0x80000000, v4
	v_lshl_add_u32 v0, v0, 23, v54
	v_or3_b32 v4, v4, v0, v2
.LBB4_2880:                             ;   in Loop: Header=BB4_2477 Depth=4
	s_or_b64 exec, exec, s[50:51]
.LBB4_2881:                             ;   in Loop: Header=BB4_2477 Depth=4
	s_or_b64 exec, exec, s[40:41]
.LBB4_2882:                             ;   in Loop: Header=BB4_2477 Depth=4
	s_or_b64 exec, exec, s[48:49]
	v_and_b32_e32 v2, 0xff, v56
	v_cmp_ne_u16_e32 vcc, 0, v2
	s_and_saveexec_b64 s[40:41], vcc
	s_cbranch_execz .LBB4_2888
; %bb.2883:                             ;   in Loop: Header=BB4_2477 Depth=4
	v_cmp_ne_u16_e32 vcc, s80, v2
	v_bfrev_b32_e32 v5, 1
	s_and_saveexec_b64 s[48:49], vcc
	s_cbranch_execz .LBB4_2887
; %bb.2884:                             ;   in Loop: Header=BB4_2477 Depth=4
	v_and_b32_e32 v0, 0x7f, v56
	v_cmp_ne_u32_e32 vcc, s81, v0
	v_mov_b32_e32 v5, 0x7f800001
	s_and_saveexec_b64 s[50:51], vcc
	s_cbranch_execz .LBB4_2886
; %bb.2885:                             ;   in Loop: Header=BB4_2477 Depth=4
	v_and_b32_e32 v5, 7, v2
	v_lshrrev_b32_e32 v22, 3, v0
	v_cmp_gt_u32_e32 vcc, 8, v0
	v_ffbh_u32_e32 v0, v5
	v_min_u32_e32 v0, 32, v0
	v_subrev_u32_e32 v14, 28, v0
	v_lshlrev_b64 v[14:15], v14, v[2:3]
	v_sub_u32_e32 v0, 29, v0
	v_and_b32_e32 v2, 7, v14
	v_cndmask_b32_e32 v0, v22, v0, vcc
	v_cndmask_b32_e32 v2, v5, v2, vcc
	v_lshlrev_b32_e32 v5, 24, v56
	v_lshlrev_b32_e32 v2, 20, v2
	v_and_b32_e32 v5, 0x80000000, v5
	v_lshl_add_u32 v0, v0, 23, v54
	v_or3_b32 v5, v5, v0, v2
.LBB4_2886:                             ;   in Loop: Header=BB4_2477 Depth=4
	s_or_b64 exec, exec, s[50:51]
.LBB4_2887:                             ;   in Loop: Header=BB4_2477 Depth=4
	s_or_b64 exec, exec, s[48:49]
.LBB4_2888:                             ;   in Loop: Header=BB4_2477 Depth=4
	s_or_b64 exec, exec, s[40:41]
	v_max_f32_e32 v0, v5, v5
	v_max_f32_e32 v2, v4, v4
	v_min_f32_e32 v4, v2, v0
.LBB4_2889:                             ;   in Loop: Header=BB4_2477 Depth=4
	v_and_b32_e32 v2, 0x7f800000, v4
	v_cmp_ne_u64_e32 vcc, s[76:77], v[2:3]
                                        ; implicit-def: $vgpr56
	s_mov_b64 s[40:41], exec
	buffer_load_dword v57, off, s[0:3], s33 offset:68 ; 4-byte Folded Reload
	s_and_b64 vcc, s[40:41], vcc
	s_xor_b64 s[48:49], vcc, s[40:41]
	s_mov_b64 exec, vcc
	s_cbranch_execz .LBB4_2907
; %bb.2890:                             ;   in Loop: Header=BB4_2477 Depth=4
	v_and_b32_e32 v2, 0x7fffffff, v4
	v_cmp_gt_u64_e32 vcc, s[78:79], v[2:3]
	v_and_b32_sdwa v22, v4, s80 dst_sel:DWORD dst_unused:UNUSED_PAD src0_sel:BYTE_3 src1_sel:DWORD
                                        ; implicit-def: $vgpr56
	s_and_saveexec_b64 s[40:41], vcc
	s_xor_b64 s[50:51], exec, s[40:41]
	s_cbranch_execz .LBB4_2904
; %bb.2891:                             ;   in Loop: Header=BB4_2477 Depth=4
	v_cmp_ne_u32_e32 vcc, 0, v4
	v_mov_b32_e32 v56, 0
	s_and_saveexec_b64 s[52:53], vcc
	s_cbranch_execz .LBB4_2903
; %bb.2892:                             ;   in Loop: Header=BB4_2477 Depth=4
	v_bfe_u32 v50, v4, 23, 8
	v_cmp_gt_u32_e64 s[40:41], s83, v50
	v_sub_u32_e32 v0, 0x79, v50
	v_and_b32_e32 v2, 0x7fffff, v4
	v_cmp_eq_u32_e32 vcc, 0, v50
	v_cndmask_b32_e64 v0, 0, v0, s[40:41]
	v_mov_b32_e32 v5, 0x78
	v_or_b32_e32 v4, 0x800000, v2
	v_cndmask_b32_e32 v0, v0, v5, vcc
	v_cndmask_b32_e32 v2, v4, v2, vcc
	v_add_u32_e32 v4, 20, v0
	v_lshlrev_b64 v[4:5], v4, -1
	v_add_u32_e32 v14, 19, v0
	v_lshlrev_b64 v[14:15], v14, 1
	v_bfi_b32 v5, v5, 0, 0
	v_bfi_b32 v4, v4, 0, v2
	v_cmp_eq_u64_e64 s[40:41], v[4:5], v[14:15]
	v_lshrrev_b64 v[14:15], v0, v[2:3]
	v_mov_b32_e32 v4, v14
	v_mov_b32_e32 v5, v15
	s_and_saveexec_b64 s[54:55], s[40:41]
; %bb.2893:                             ;   in Loop: Header=BB4_2477 Depth=4
	v_bfe_u32 v2, v14, 20, 1
	v_add_co_u32_e64 v2, s[40:41], v14, v2
	v_add_co_u32_e64 v4, s[40:41], -1, v2
; %bb.2894:                             ;   in Loop: Header=BB4_2477 Depth=4
	s_or_b64 exec, exec, s[54:55]
	v_add_u32_e32 v2, 0xffffff81, v50
	v_mov_b32_e32 v5, 0xffffff82
	v_cndmask_b32_e32 v2, v2, v5, vcc
	v_lshrrev_b32_e32 v5, 23, v14
	v_add3_u32 v5, v0, v2, v5
	v_add_u32_e32 v0, 6, v5
	v_and_b32_e32 v2, 0xfffff, v4
	v_add_u32_e32 v2, v2, v14
	v_cmp_ne_u32_e32 vcc, 0, v0
                                        ; implicit-def: $vgpr14_vgpr15
                                        ; implicit-def: $vgpr4
	s_and_saveexec_b64 s[40:41], vcc
	s_xor_b64 s[40:41], exec, s[40:41]
; %bb.2895:                             ;   in Loop: Header=BB4_2477 Depth=4
	v_cmp_lt_u64_e32 vcc, s[88:89], v[2:3]
	v_add_u32_e32 v4, 7, v5
	v_cndmask_b32_e32 v4, v0, v4, vcc
	v_cndmask_b32_e64 v0, 0, 1, vcc
	v_lshrrev_b64 v[14:15], v0, v[2:3]
; %bb.2896:                             ;   in Loop: Header=BB4_2477 Depth=4
	s_andn2_saveexec_b64 s[40:41], s[40:41]
; %bb.2897:                             ;   in Loop: Header=BB4_2477 Depth=4
	v_mov_b32_e32 v15, v3
	v_bfe_u32 v4, v2, 23, 1
	v_mov_b32_e32 v14, v2
; %bb.2898:                             ;   in Loop: Header=BB4_2477 Depth=4
	s_or_b64 exec, exec, s[40:41]
	v_lshrrev_b64 v[14:15], 20, v[14:15]
	v_cmp_gt_i32_e32 vcc, 16, v4
	v_cndmask_b32_e32 v15, 0, v15, vcc
	v_cndmask_b32_e32 v14, 7, v14, vcc
	v_cmp_ne_u64_e32 vcc, 0, v[14:15]
	v_cmp_ne_u32_e64 s[40:41], 0, v4
	s_or_b64 s[40:41], s[40:41], vcc
                                        ; implicit-def: $vgpr56
	s_and_saveexec_b64 vcc, s[40:41]
	s_xor_b64 s[40:41], exec, vcc
; %bb.2899:                             ;   in Loop: Header=BB4_2477 Depth=4
	v_min_i32_e32 v0, 15, v4
	v_lshl_or_b32 v0, v0, 3, v22
	v_and_or_b32 v56, v14, 7, v0
                                        ; implicit-def: $vgpr22
; %bb.2900:                             ;   in Loop: Header=BB4_2477 Depth=4
	s_andn2_saveexec_b64 s[40:41], s[40:41]
; %bb.2901:                             ;   in Loop: Header=BB4_2477 Depth=4
	v_mov_b32_e32 v56, v22
; %bb.2902:                             ;   in Loop: Header=BB4_2477 Depth=4
	s_or_b64 exec, exec, s[40:41]
.LBB4_2903:                             ;   in Loop: Header=BB4_2477 Depth=4
	s_or_b64 exec, exec, s[52:53]
                                        ; implicit-def: $vgpr22
.LBB4_2904:                             ;   in Loop: Header=BB4_2477 Depth=4
	s_andn2_saveexec_b64 s[40:41], s[50:51]
; %bb.2905:                             ;   in Loop: Header=BB4_2477 Depth=4
	v_or_b32_e32 v56, 0x7e, v22
; %bb.2906:                             ;   in Loop: Header=BB4_2477 Depth=4
	s_or_b64 exec, exec, s[40:41]
                                        ; implicit-def: $vgpr4
.LBB4_2907:                             ;   in Loop: Header=BB4_2477 Depth=4
	s_andn2_saveexec_b64 s[40:41], s[48:49]
; %bb.2908:                             ;   in Loop: Header=BB4_2477 Depth=4
	v_or_b32_sdwa v56, v4, s81 dst_sel:DWORD dst_unused:UNUSED_PAD src0_sel:BYTE_3 src1_sel:DWORD
; %bb.2909:                             ;   in Loop: Header=BB4_2477 Depth=4
	s_or_b64 exec, exec, s[40:41]
	v_and_b32_e32 v2, 0xff, v46
	v_cmp_ne_u16_e64 s[40:41], 0, v2
	s_and_b64 vcc, exec, s[28:29]
	s_mov_b64 s[48:49], -1
                                        ; implicit-def: $vgpr4
	s_cbranch_vccnz .LBB4_2923
; %bb.2910:                             ;   in Loop: Header=BB4_2477 Depth=4
	v_mov_b32_e32 v5, 0
	v_mov_b32_e32 v4, 0
	s_and_saveexec_b64 s[48:49], s[40:41]
	s_cbranch_execz .LBB4_2916
; %bb.2911:                             ;   in Loop: Header=BB4_2477 Depth=4
	v_cmp_ne_u16_e32 vcc, s80, v2
	v_bfrev_b32_e32 v4, 1
	s_and_saveexec_b64 s[50:51], vcc
	s_cbranch_execz .LBB4_2915
; %bb.2912:                             ;   in Loop: Header=BB4_2477 Depth=4
	v_and_b32_e32 v0, 0x7f, v46
	v_cmp_ne_u32_e32 vcc, s81, v0
	v_mov_b32_e32 v4, 0x7f800001
	s_and_saveexec_b64 s[52:53], vcc
	s_cbranch_execz .LBB4_2914
; %bb.2913:                             ;   in Loop: Header=BB4_2477 Depth=4
	v_and_b32_e32 v4, 7, v2
	v_lshrrev_b32_e32 v22, 3, v0
	v_cmp_gt_u32_e32 vcc, 8, v0
	v_ffbh_u32_e32 v0, v4
	v_min_u32_e32 v0, 32, v0
	v_subrev_u32_e32 v14, 28, v0
	v_lshlrev_b64 v[14:15], v14, v[2:3]
	v_sub_u32_e32 v0, 29, v0
	v_and_b32_e32 v14, 7, v14
	v_cndmask_b32_e32 v0, v22, v0, vcc
	v_cndmask_b32_e32 v4, v4, v14, vcc
	v_lshlrev_b32_e32 v14, 24, v46
	v_lshlrev_b32_e32 v4, 20, v4
	v_and_b32_e32 v14, 0x80000000, v14
	v_lshl_add_u32 v0, v0, 23, v54
	v_or3_b32 v4, v14, v0, v4
.LBB4_2914:                             ;   in Loop: Header=BB4_2477 Depth=4
	s_or_b64 exec, exec, s[52:53]
.LBB4_2915:                             ;   in Loop: Header=BB4_2477 Depth=4
	s_or_b64 exec, exec, s[50:51]
.LBB4_2916:                             ;   in Loop: Header=BB4_2477 Depth=4
	s_or_b64 exec, exec, s[48:49]
	v_and_b32_e32 v14, 0xff, v45
	v_cmp_ne_u16_e32 vcc, 0, v14
	s_and_saveexec_b64 s[48:49], vcc
	s_cbranch_execz .LBB4_2922
; %bb.2917:                             ;   in Loop: Header=BB4_2477 Depth=4
	v_cmp_ne_u16_e32 vcc, s80, v14
	v_bfrev_b32_e32 v5, 1
	s_and_saveexec_b64 s[50:51], vcc
	s_cbranch_execz .LBB4_2921
; %bb.2918:                             ;   in Loop: Header=BB4_2477 Depth=4
	v_and_b32_e32 v0, 0x7f, v45
	v_cmp_ne_u32_e32 vcc, s81, v0
	v_mov_b32_e32 v5, 0x7f800001
	s_and_saveexec_b64 s[52:53], vcc
	s_cbranch_execz .LBB4_2920
; %bb.2919:                             ;   in Loop: Header=BB4_2477 Depth=4
	v_and_b32_e32 v5, 7, v14
	v_lshrrev_b32_e32 v22, 3, v0
	v_cmp_gt_u32_e32 vcc, 8, v0
	v_ffbh_u32_e32 v0, v5
	v_min_u32_e32 v0, 32, v0
	v_subrev_u32_e32 v15, 28, v0
	v_lshlrev_b64 v[14:15], v15, v[14:15]
	v_sub_u32_e32 v0, 29, v0
	v_and_b32_e32 v14, 7, v14
	v_cndmask_b32_e32 v0, v22, v0, vcc
	v_cndmask_b32_e32 v5, v5, v14, vcc
	v_lshlrev_b32_e32 v14, 24, v45
	v_lshlrev_b32_e32 v5, 20, v5
	v_and_b32_e32 v14, 0x80000000, v14
	v_lshl_add_u32 v0, v0, 23, v54
	v_or3_b32 v5, v14, v0, v5
.LBB4_2920:                             ;   in Loop: Header=BB4_2477 Depth=4
	s_or_b64 exec, exec, s[52:53]
.LBB4_2921:                             ;   in Loop: Header=BB4_2477 Depth=4
	s_or_b64 exec, exec, s[50:51]
.LBB4_2922:                             ;   in Loop: Header=BB4_2477 Depth=4
	s_or_b64 exec, exec, s[48:49]
	v_max_f32_e32 v0, v5, v5
	v_max_f32_e32 v4, v4, v4
	;; [unrolled: 1-line block ×3, first 2 shown]
	s_mov_b64 s[48:49], 0
.LBB4_2923:                             ;   in Loop: Header=BB4_2477 Depth=4
	s_and_b64 vcc, exec, s[48:49]
	s_cbranch_vccz .LBB4_2937
; %bb.2924:                             ;   in Loop: Header=BB4_2477 Depth=4
	v_mov_b32_e32 v5, 0
	v_mov_b32_e32 v4, 0
	s_and_saveexec_b64 s[48:49], s[40:41]
	s_cbranch_execz .LBB4_2930
; %bb.2925:                             ;   in Loop: Header=BB4_2477 Depth=4
	v_cmp_ne_u16_e32 vcc, s80, v2
	v_bfrev_b32_e32 v4, 1
	s_and_saveexec_b64 s[40:41], vcc
	s_cbranch_execz .LBB4_2929
; %bb.2926:                             ;   in Loop: Header=BB4_2477 Depth=4
	v_and_b32_e32 v0, 0x7f, v46
	v_cmp_ne_u32_e32 vcc, s81, v0
	v_mov_b32_e32 v4, 0x7f800001
	s_and_saveexec_b64 s[50:51], vcc
	s_cbranch_execz .LBB4_2928
; %bb.2927:                             ;   in Loop: Header=BB4_2477 Depth=4
	v_and_b32_e32 v4, 7, v2
	v_lshrrev_b32_e32 v22, 3, v0
	v_cmp_gt_u32_e32 vcc, 8, v0
	v_ffbh_u32_e32 v0, v4
	v_min_u32_e32 v0, 32, v0
	v_subrev_u32_e32 v14, 28, v0
	v_lshlrev_b64 v[14:15], v14, v[2:3]
	v_sub_u32_e32 v0, 29, v0
	v_and_b32_e32 v2, 7, v14
	v_cndmask_b32_e32 v0, v22, v0, vcc
	v_cndmask_b32_e32 v2, v4, v2, vcc
	v_lshlrev_b32_e32 v4, 24, v46
	v_lshlrev_b32_e32 v2, 20, v2
	v_and_b32_e32 v4, 0x80000000, v4
	v_lshl_add_u32 v0, v0, 23, v54
	v_or3_b32 v4, v4, v0, v2
.LBB4_2928:                             ;   in Loop: Header=BB4_2477 Depth=4
	s_or_b64 exec, exec, s[50:51]
.LBB4_2929:                             ;   in Loop: Header=BB4_2477 Depth=4
	s_or_b64 exec, exec, s[40:41]
.LBB4_2930:                             ;   in Loop: Header=BB4_2477 Depth=4
	s_or_b64 exec, exec, s[48:49]
	v_and_b32_e32 v2, 0xff, v45
	v_cmp_ne_u16_e32 vcc, 0, v2
	s_and_saveexec_b64 s[40:41], vcc
	s_cbranch_execz .LBB4_2936
; %bb.2931:                             ;   in Loop: Header=BB4_2477 Depth=4
	v_cmp_ne_u16_e32 vcc, s80, v2
	v_bfrev_b32_e32 v5, 1
	s_and_saveexec_b64 s[48:49], vcc
	s_cbranch_execz .LBB4_2935
; %bb.2932:                             ;   in Loop: Header=BB4_2477 Depth=4
	v_and_b32_e32 v0, 0x7f, v45
	v_cmp_ne_u32_e32 vcc, s81, v0
	v_mov_b32_e32 v5, 0x7f800001
	s_and_saveexec_b64 s[50:51], vcc
	s_cbranch_execz .LBB4_2934
; %bb.2933:                             ;   in Loop: Header=BB4_2477 Depth=4
	v_and_b32_e32 v5, 7, v2
	v_lshrrev_b32_e32 v22, 3, v0
	v_cmp_gt_u32_e32 vcc, 8, v0
	v_ffbh_u32_e32 v0, v5
	v_min_u32_e32 v0, 32, v0
	v_subrev_u32_e32 v14, 28, v0
	v_lshlrev_b64 v[14:15], v14, v[2:3]
	v_sub_u32_e32 v0, 29, v0
	v_and_b32_e32 v2, 7, v14
	v_cndmask_b32_e32 v0, v22, v0, vcc
	v_cndmask_b32_e32 v2, v5, v2, vcc
	v_lshlrev_b32_e32 v5, 24, v45
	v_lshlrev_b32_e32 v2, 20, v2
	v_and_b32_e32 v5, 0x80000000, v5
	v_lshl_add_u32 v0, v0, 23, v54
	v_or3_b32 v5, v5, v0, v2
.LBB4_2934:                             ;   in Loop: Header=BB4_2477 Depth=4
	s_or_b64 exec, exec, s[50:51]
.LBB4_2935:                             ;   in Loop: Header=BB4_2477 Depth=4
	s_or_b64 exec, exec, s[48:49]
.LBB4_2936:                             ;   in Loop: Header=BB4_2477 Depth=4
	s_or_b64 exec, exec, s[40:41]
	v_max_f32_e32 v0, v5, v5
	v_max_f32_e32 v2, v4, v4
	v_min_f32_e32 v4, v2, v0
.LBB4_2937:                             ;   in Loop: Header=BB4_2477 Depth=4
	v_and_b32_e32 v2, 0x7f800000, v4
	v_cmp_ne_u64_e32 vcc, s[76:77], v[2:3]
                                        ; implicit-def: $vgpr43
	s_and_saveexec_b64 s[40:41], vcc
	s_xor_b64 s[48:49], exec, s[40:41]
	s_cbranch_execz .LBB4_2955
; %bb.2938:                             ;   in Loop: Header=BB4_2477 Depth=4
	v_and_b32_e32 v2, 0x7fffffff, v4
	v_cmp_gt_u64_e32 vcc, s[78:79], v[2:3]
	v_and_b32_sdwa v22, v4, s80 dst_sel:DWORD dst_unused:UNUSED_PAD src0_sel:BYTE_3 src1_sel:DWORD
                                        ; implicit-def: $vgpr43
	s_and_saveexec_b64 s[40:41], vcc
	s_xor_b64 s[50:51], exec, s[40:41]
	s_cbranch_execz .LBB4_2952
; %bb.2939:                             ;   in Loop: Header=BB4_2477 Depth=4
	v_cmp_ne_u32_e32 vcc, 0, v4
	v_mov_b32_e32 v43, 0
	s_and_saveexec_b64 s[52:53], vcc
	s_cbranch_execz .LBB4_2951
; %bb.2940:                             ;   in Loop: Header=BB4_2477 Depth=4
	v_bfe_u32 v50, v4, 23, 8
	v_cmp_gt_u32_e64 s[40:41], s83, v50
	v_sub_u32_e32 v0, 0x79, v50
	v_and_b32_e32 v2, 0x7fffff, v4
	v_cmp_eq_u32_e32 vcc, 0, v50
	v_cndmask_b32_e64 v0, 0, v0, s[40:41]
	v_mov_b32_e32 v5, 0x78
	v_or_b32_e32 v4, 0x800000, v2
	v_cndmask_b32_e32 v0, v0, v5, vcc
	v_cndmask_b32_e32 v2, v4, v2, vcc
	v_add_u32_e32 v4, 20, v0
	v_lshlrev_b64 v[4:5], v4, -1
	v_add_u32_e32 v14, 19, v0
	v_lshlrev_b64 v[14:15], v14, 1
	v_bfi_b32 v5, v5, 0, 0
	v_bfi_b32 v4, v4, 0, v2
	v_cmp_eq_u64_e64 s[40:41], v[4:5], v[14:15]
	v_lshrrev_b64 v[14:15], v0, v[2:3]
	v_mov_b32_e32 v4, v14
	v_mov_b32_e32 v5, v15
	s_and_saveexec_b64 s[54:55], s[40:41]
; %bb.2941:                             ;   in Loop: Header=BB4_2477 Depth=4
	v_bfe_u32 v2, v14, 20, 1
	v_add_co_u32_e64 v2, s[40:41], v14, v2
	v_add_co_u32_e64 v4, s[40:41], -1, v2
; %bb.2942:                             ;   in Loop: Header=BB4_2477 Depth=4
	s_or_b64 exec, exec, s[54:55]
	v_add_u32_e32 v2, 0xffffff81, v50
	v_mov_b32_e32 v5, 0xffffff82
	v_cndmask_b32_e32 v2, v2, v5, vcc
	v_lshrrev_b32_e32 v5, 23, v14
	v_add3_u32 v5, v0, v2, v5
	v_add_u32_e32 v0, 6, v5
	v_and_b32_e32 v2, 0xfffff, v4
	v_add_u32_e32 v2, v2, v14
	v_cmp_ne_u32_e32 vcc, 0, v0
                                        ; implicit-def: $vgpr14_vgpr15
                                        ; implicit-def: $vgpr4
	s_and_saveexec_b64 s[40:41], vcc
	s_xor_b64 s[40:41], exec, s[40:41]
; %bb.2943:                             ;   in Loop: Header=BB4_2477 Depth=4
	v_cmp_lt_u64_e32 vcc, s[88:89], v[2:3]
	v_add_u32_e32 v4, 7, v5
	v_cndmask_b32_e32 v4, v0, v4, vcc
	v_cndmask_b32_e64 v0, 0, 1, vcc
	v_lshrrev_b64 v[14:15], v0, v[2:3]
; %bb.2944:                             ;   in Loop: Header=BB4_2477 Depth=4
	s_andn2_saveexec_b64 s[40:41], s[40:41]
; %bb.2945:                             ;   in Loop: Header=BB4_2477 Depth=4
	v_mov_b32_e32 v15, v3
	v_bfe_u32 v4, v2, 23, 1
	v_mov_b32_e32 v14, v2
; %bb.2946:                             ;   in Loop: Header=BB4_2477 Depth=4
	s_or_b64 exec, exec, s[40:41]
	v_lshrrev_b64 v[14:15], 20, v[14:15]
	v_cmp_gt_i32_e32 vcc, 16, v4
	v_cndmask_b32_e32 v15, 0, v15, vcc
	v_cndmask_b32_e32 v14, 7, v14, vcc
	v_cmp_ne_u64_e32 vcc, 0, v[14:15]
	v_cmp_ne_u32_e64 s[40:41], 0, v4
	s_or_b64 s[40:41], s[40:41], vcc
                                        ; implicit-def: $vgpr43
	s_and_saveexec_b64 vcc, s[40:41]
	s_xor_b64 s[40:41], exec, vcc
; %bb.2947:                             ;   in Loop: Header=BB4_2477 Depth=4
	v_min_i32_e32 v0, 15, v4
	v_lshl_or_b32 v0, v0, 3, v22
	v_and_or_b32 v43, v14, 7, v0
                                        ; implicit-def: $vgpr22
; %bb.2948:                             ;   in Loop: Header=BB4_2477 Depth=4
	s_andn2_saveexec_b64 s[40:41], s[40:41]
; %bb.2949:                             ;   in Loop: Header=BB4_2477 Depth=4
	v_mov_b32_e32 v43, v22
; %bb.2950:                             ;   in Loop: Header=BB4_2477 Depth=4
	s_or_b64 exec, exec, s[40:41]
.LBB4_2951:                             ;   in Loop: Header=BB4_2477 Depth=4
	s_or_b64 exec, exec, s[52:53]
                                        ; implicit-def: $vgpr22
.LBB4_2952:                             ;   in Loop: Header=BB4_2477 Depth=4
	s_andn2_saveexec_b64 s[40:41], s[50:51]
; %bb.2953:                             ;   in Loop: Header=BB4_2477 Depth=4
	v_or_b32_e32 v43, 0x7e, v22
; %bb.2954:                             ;   in Loop: Header=BB4_2477 Depth=4
	s_or_b64 exec, exec, s[40:41]
                                        ; implicit-def: $vgpr4
.LBB4_2955:                             ;   in Loop: Header=BB4_2477 Depth=4
	s_andn2_saveexec_b64 s[40:41], s[48:49]
; %bb.2956:                             ;   in Loop: Header=BB4_2477 Depth=4
	v_or_b32_sdwa v43, v4, s81 dst_sel:DWORD dst_unused:UNUSED_PAD src0_sel:BYTE_3 src1_sel:DWORD
; %bb.2957:                             ;   in Loop: Header=BB4_2477 Depth=4
	s_or_b64 exec, exec, s[40:41]
	v_and_b32_e32 v2, 0xff, v37
	v_cmp_ne_u16_e64 s[40:41], 0, v2
	s_and_b64 vcc, exec, s[28:29]
	s_mov_b64 s[48:49], -1
                                        ; implicit-def: $vgpr4
	s_cbranch_vccnz .LBB4_2971
; %bb.2958:                             ;   in Loop: Header=BB4_2477 Depth=4
	v_mov_b32_e32 v5, 0
	v_mov_b32_e32 v4, 0
	s_and_saveexec_b64 s[48:49], s[40:41]
	s_cbranch_execz .LBB4_2964
; %bb.2959:                             ;   in Loop: Header=BB4_2477 Depth=4
	v_cmp_ne_u16_e32 vcc, s80, v2
	v_bfrev_b32_e32 v4, 1
	s_and_saveexec_b64 s[50:51], vcc
	s_cbranch_execz .LBB4_2963
; %bb.2960:                             ;   in Loop: Header=BB4_2477 Depth=4
	v_and_b32_e32 v0, 0x7f, v37
	v_cmp_ne_u32_e32 vcc, s81, v0
	v_mov_b32_e32 v4, 0x7f800001
	s_and_saveexec_b64 s[52:53], vcc
	s_cbranch_execz .LBB4_2962
; %bb.2961:                             ;   in Loop: Header=BB4_2477 Depth=4
	v_and_b32_e32 v4, 7, v2
	v_lshrrev_b32_e32 v22, 3, v0
	v_cmp_gt_u32_e32 vcc, 8, v0
	v_ffbh_u32_e32 v0, v4
	v_min_u32_e32 v0, 32, v0
	v_subrev_u32_e32 v14, 28, v0
	v_lshlrev_b64 v[14:15], v14, v[2:3]
	v_sub_u32_e32 v0, 29, v0
	v_and_b32_e32 v14, 7, v14
	v_cndmask_b32_e32 v0, v22, v0, vcc
	v_cndmask_b32_e32 v4, v4, v14, vcc
	v_lshlrev_b32_e32 v14, 24, v37
	v_lshlrev_b32_e32 v4, 20, v4
	v_and_b32_e32 v14, 0x80000000, v14
	v_lshl_add_u32 v0, v0, 23, v54
	v_or3_b32 v4, v14, v0, v4
.LBB4_2962:                             ;   in Loop: Header=BB4_2477 Depth=4
	s_or_b64 exec, exec, s[52:53]
.LBB4_2963:                             ;   in Loop: Header=BB4_2477 Depth=4
	s_or_b64 exec, exec, s[50:51]
.LBB4_2964:                             ;   in Loop: Header=BB4_2477 Depth=4
	s_or_b64 exec, exec, s[48:49]
	v_and_b32_e32 v14, 0xff, v36
	v_cmp_ne_u16_e32 vcc, 0, v14
	s_and_saveexec_b64 s[48:49], vcc
	s_cbranch_execz .LBB4_2970
; %bb.2965:                             ;   in Loop: Header=BB4_2477 Depth=4
	v_cmp_ne_u16_e32 vcc, s80, v14
	v_bfrev_b32_e32 v5, 1
	s_and_saveexec_b64 s[50:51], vcc
	s_cbranch_execz .LBB4_2969
; %bb.2966:                             ;   in Loop: Header=BB4_2477 Depth=4
	v_and_b32_e32 v0, 0x7f, v36
	v_cmp_ne_u32_e32 vcc, s81, v0
	v_mov_b32_e32 v5, 0x7f800001
	s_and_saveexec_b64 s[52:53], vcc
	s_cbranch_execz .LBB4_2968
; %bb.2967:                             ;   in Loop: Header=BB4_2477 Depth=4
	v_and_b32_e32 v5, 7, v14
	v_lshrrev_b32_e32 v22, 3, v0
	v_cmp_gt_u32_e32 vcc, 8, v0
	v_ffbh_u32_e32 v0, v5
	v_min_u32_e32 v0, 32, v0
	v_subrev_u32_e32 v15, 28, v0
	v_lshlrev_b64 v[14:15], v15, v[14:15]
	v_sub_u32_e32 v0, 29, v0
	v_and_b32_e32 v14, 7, v14
	v_cndmask_b32_e32 v0, v22, v0, vcc
	v_cndmask_b32_e32 v5, v5, v14, vcc
	v_lshlrev_b32_e32 v14, 24, v36
	v_lshlrev_b32_e32 v5, 20, v5
	v_and_b32_e32 v14, 0x80000000, v14
	v_lshl_add_u32 v0, v0, 23, v54
	v_or3_b32 v5, v14, v0, v5
.LBB4_2968:                             ;   in Loop: Header=BB4_2477 Depth=4
	s_or_b64 exec, exec, s[52:53]
.LBB4_2969:                             ;   in Loop: Header=BB4_2477 Depth=4
	s_or_b64 exec, exec, s[50:51]
.LBB4_2970:                             ;   in Loop: Header=BB4_2477 Depth=4
	s_or_b64 exec, exec, s[48:49]
	v_max_f32_e32 v0, v5, v5
	v_max_f32_e32 v4, v4, v4
	;; [unrolled: 1-line block ×3, first 2 shown]
	s_mov_b64 s[48:49], 0
.LBB4_2971:                             ;   in Loop: Header=BB4_2477 Depth=4
	s_and_b64 vcc, exec, s[48:49]
	s_cbranch_vccz .LBB4_2985
; %bb.2972:                             ;   in Loop: Header=BB4_2477 Depth=4
	v_mov_b32_e32 v5, 0
	v_mov_b32_e32 v4, 0
	s_and_saveexec_b64 s[48:49], s[40:41]
	s_cbranch_execz .LBB4_2978
; %bb.2973:                             ;   in Loop: Header=BB4_2477 Depth=4
	v_cmp_ne_u16_e32 vcc, s80, v2
	v_bfrev_b32_e32 v4, 1
	s_and_saveexec_b64 s[40:41], vcc
	s_cbranch_execz .LBB4_2977
; %bb.2974:                             ;   in Loop: Header=BB4_2477 Depth=4
	v_and_b32_e32 v0, 0x7f, v37
	v_cmp_ne_u32_e32 vcc, s81, v0
	v_mov_b32_e32 v4, 0x7f800001
	s_and_saveexec_b64 s[50:51], vcc
	s_cbranch_execz .LBB4_2976
; %bb.2975:                             ;   in Loop: Header=BB4_2477 Depth=4
	v_and_b32_e32 v4, 7, v2
	v_lshrrev_b32_e32 v22, 3, v0
	v_cmp_gt_u32_e32 vcc, 8, v0
	v_ffbh_u32_e32 v0, v4
	v_min_u32_e32 v0, 32, v0
	v_subrev_u32_e32 v14, 28, v0
	v_lshlrev_b64 v[14:15], v14, v[2:3]
	v_sub_u32_e32 v0, 29, v0
	v_and_b32_e32 v2, 7, v14
	v_cndmask_b32_e32 v0, v22, v0, vcc
	v_cndmask_b32_e32 v2, v4, v2, vcc
	v_lshlrev_b32_e32 v4, 24, v37
	v_lshlrev_b32_e32 v2, 20, v2
	v_and_b32_e32 v4, 0x80000000, v4
	v_lshl_add_u32 v0, v0, 23, v54
	v_or3_b32 v4, v4, v0, v2
.LBB4_2976:                             ;   in Loop: Header=BB4_2477 Depth=4
	s_or_b64 exec, exec, s[50:51]
.LBB4_2977:                             ;   in Loop: Header=BB4_2477 Depth=4
	s_or_b64 exec, exec, s[40:41]
.LBB4_2978:                             ;   in Loop: Header=BB4_2477 Depth=4
	s_or_b64 exec, exec, s[48:49]
	v_and_b32_e32 v2, 0xff, v36
	v_cmp_ne_u16_e32 vcc, 0, v2
	s_and_saveexec_b64 s[40:41], vcc
	s_cbranch_execz .LBB4_2984
; %bb.2979:                             ;   in Loop: Header=BB4_2477 Depth=4
	v_cmp_ne_u16_e32 vcc, s80, v2
	v_bfrev_b32_e32 v5, 1
	s_and_saveexec_b64 s[48:49], vcc
	s_cbranch_execz .LBB4_2983
; %bb.2980:                             ;   in Loop: Header=BB4_2477 Depth=4
	v_and_b32_e32 v0, 0x7f, v36
	v_cmp_ne_u32_e32 vcc, s81, v0
	v_mov_b32_e32 v5, 0x7f800001
	s_and_saveexec_b64 s[50:51], vcc
	s_cbranch_execz .LBB4_2982
; %bb.2981:                             ;   in Loop: Header=BB4_2477 Depth=4
	v_and_b32_e32 v5, 7, v2
	v_lshrrev_b32_e32 v22, 3, v0
	v_cmp_gt_u32_e32 vcc, 8, v0
	v_ffbh_u32_e32 v0, v5
	v_min_u32_e32 v0, 32, v0
	v_subrev_u32_e32 v14, 28, v0
	v_lshlrev_b64 v[14:15], v14, v[2:3]
	v_sub_u32_e32 v0, 29, v0
	v_and_b32_e32 v2, 7, v14
	v_cndmask_b32_e32 v0, v22, v0, vcc
	v_cndmask_b32_e32 v2, v5, v2, vcc
	v_lshlrev_b32_e32 v5, 24, v36
	v_lshlrev_b32_e32 v2, 20, v2
	v_and_b32_e32 v5, 0x80000000, v5
	v_lshl_add_u32 v0, v0, 23, v54
	v_or3_b32 v5, v5, v0, v2
.LBB4_2982:                             ;   in Loop: Header=BB4_2477 Depth=4
	s_or_b64 exec, exec, s[50:51]
.LBB4_2983:                             ;   in Loop: Header=BB4_2477 Depth=4
	s_or_b64 exec, exec, s[48:49]
.LBB4_2984:                             ;   in Loop: Header=BB4_2477 Depth=4
	s_or_b64 exec, exec, s[40:41]
	v_max_f32_e32 v0, v5, v5
	v_max_f32_e32 v2, v4, v4
	v_min_f32_e32 v4, v2, v0
.LBB4_2985:                             ;   in Loop: Header=BB4_2477 Depth=4
	v_and_b32_e32 v2, 0x7f800000, v4
	v_cmp_ne_u64_e32 vcc, s[76:77], v[2:3]
                                        ; implicit-def: $vgpr36
	s_and_saveexec_b64 s[40:41], vcc
	s_xor_b64 s[48:49], exec, s[40:41]
	s_cbranch_execz .LBB4_3003
; %bb.2986:                             ;   in Loop: Header=BB4_2477 Depth=4
	v_and_b32_e32 v2, 0x7fffffff, v4
	v_cmp_gt_u64_e32 vcc, s[78:79], v[2:3]
	v_and_b32_sdwa v22, v4, s80 dst_sel:DWORD dst_unused:UNUSED_PAD src0_sel:BYTE_3 src1_sel:DWORD
                                        ; implicit-def: $vgpr36
	s_and_saveexec_b64 s[40:41], vcc
	s_xor_b64 s[50:51], exec, s[40:41]
	s_cbranch_execz .LBB4_3000
; %bb.2987:                             ;   in Loop: Header=BB4_2477 Depth=4
	v_cmp_ne_u32_e32 vcc, 0, v4
	v_mov_b32_e32 v36, 0
	s_and_saveexec_b64 s[52:53], vcc
	s_cbranch_execz .LBB4_2999
; %bb.2988:                             ;   in Loop: Header=BB4_2477 Depth=4
	v_bfe_u32 v36, v4, 23, 8
	v_cmp_gt_u32_e64 s[40:41], s83, v36
	v_sub_u32_e32 v0, 0x79, v36
	v_and_b32_e32 v2, 0x7fffff, v4
	v_cmp_eq_u32_e32 vcc, 0, v36
	v_cndmask_b32_e64 v0, 0, v0, s[40:41]
	v_mov_b32_e32 v5, 0x78
	v_or_b32_e32 v4, 0x800000, v2
	v_cndmask_b32_e32 v0, v0, v5, vcc
	v_cndmask_b32_e32 v2, v4, v2, vcc
	v_add_u32_e32 v4, 20, v0
	v_lshlrev_b64 v[4:5], v4, -1
	v_add_u32_e32 v14, 19, v0
	v_lshlrev_b64 v[14:15], v14, 1
	v_bfi_b32 v5, v5, 0, 0
	v_bfi_b32 v4, v4, 0, v2
	v_cmp_eq_u64_e64 s[40:41], v[4:5], v[14:15]
	v_lshrrev_b64 v[14:15], v0, v[2:3]
	v_mov_b32_e32 v4, v14
	v_mov_b32_e32 v5, v15
	s_and_saveexec_b64 s[54:55], s[40:41]
; %bb.2989:                             ;   in Loop: Header=BB4_2477 Depth=4
	v_bfe_u32 v2, v14, 20, 1
	v_add_co_u32_e64 v2, s[40:41], v14, v2
	v_add_co_u32_e64 v4, s[40:41], -1, v2
; %bb.2990:                             ;   in Loop: Header=BB4_2477 Depth=4
	s_or_b64 exec, exec, s[54:55]
	v_add_u32_e32 v2, 0xffffff81, v36
	v_mov_b32_e32 v5, 0xffffff82
	v_cndmask_b32_e32 v2, v2, v5, vcc
	v_lshrrev_b32_e32 v5, 23, v14
	v_add3_u32 v5, v0, v2, v5
	v_add_u32_e32 v0, 6, v5
	v_and_b32_e32 v2, 0xfffff, v4
	v_add_u32_e32 v2, v2, v14
	v_cmp_ne_u32_e32 vcc, 0, v0
                                        ; implicit-def: $vgpr14_vgpr15
                                        ; implicit-def: $vgpr4
	s_and_saveexec_b64 s[40:41], vcc
	s_xor_b64 s[40:41], exec, s[40:41]
; %bb.2991:                             ;   in Loop: Header=BB4_2477 Depth=4
	v_cmp_lt_u64_e32 vcc, s[88:89], v[2:3]
	v_add_u32_e32 v4, 7, v5
	v_cndmask_b32_e32 v4, v0, v4, vcc
	v_cndmask_b32_e64 v0, 0, 1, vcc
	v_lshrrev_b64 v[14:15], v0, v[2:3]
; %bb.2992:                             ;   in Loop: Header=BB4_2477 Depth=4
	s_andn2_saveexec_b64 s[40:41], s[40:41]
; %bb.2993:                             ;   in Loop: Header=BB4_2477 Depth=4
	v_mov_b32_e32 v15, v3
	v_bfe_u32 v4, v2, 23, 1
	v_mov_b32_e32 v14, v2
; %bb.2994:                             ;   in Loop: Header=BB4_2477 Depth=4
	s_or_b64 exec, exec, s[40:41]
	v_lshrrev_b64 v[14:15], 20, v[14:15]
	v_cmp_gt_i32_e32 vcc, 16, v4
	v_cndmask_b32_e32 v15, 0, v15, vcc
	v_cndmask_b32_e32 v14, 7, v14, vcc
	v_cmp_ne_u64_e32 vcc, 0, v[14:15]
	v_cmp_ne_u32_e64 s[40:41], 0, v4
	s_or_b64 s[40:41], s[40:41], vcc
                                        ; implicit-def: $vgpr36
	s_and_saveexec_b64 vcc, s[40:41]
	s_xor_b64 s[40:41], exec, vcc
; %bb.2995:                             ;   in Loop: Header=BB4_2477 Depth=4
	v_min_i32_e32 v0, 15, v4
	v_lshl_or_b32 v0, v0, 3, v22
	v_and_or_b32 v36, v14, 7, v0
                                        ; implicit-def: $vgpr22
; %bb.2996:                             ;   in Loop: Header=BB4_2477 Depth=4
	s_andn2_saveexec_b64 s[40:41], s[40:41]
; %bb.2997:                             ;   in Loop: Header=BB4_2477 Depth=4
	v_mov_b32_e32 v36, v22
; %bb.2998:                             ;   in Loop: Header=BB4_2477 Depth=4
	s_or_b64 exec, exec, s[40:41]
.LBB4_2999:                             ;   in Loop: Header=BB4_2477 Depth=4
	s_or_b64 exec, exec, s[52:53]
                                        ; implicit-def: $vgpr22
.LBB4_3000:                             ;   in Loop: Header=BB4_2477 Depth=4
	s_andn2_saveexec_b64 s[40:41], s[50:51]
; %bb.3001:                             ;   in Loop: Header=BB4_2477 Depth=4
	v_or_b32_e32 v36, 0x7e, v22
; %bb.3002:                             ;   in Loop: Header=BB4_2477 Depth=4
	s_or_b64 exec, exec, s[40:41]
                                        ; implicit-def: $vgpr4
.LBB4_3003:                             ;   in Loop: Header=BB4_2477 Depth=4
	s_andn2_saveexec_b64 s[40:41], s[48:49]
; %bb.3004:                             ;   in Loop: Header=BB4_2477 Depth=4
	v_or_b32_sdwa v36, v4, s81 dst_sel:DWORD dst_unused:UNUSED_PAD src0_sel:BYTE_3 src1_sel:DWORD
; %bb.3005:                             ;   in Loop: Header=BB4_2477 Depth=4
	s_or_b64 exec, exec, s[40:41]
	v_and_b32_e32 v2, 0xff, v34
	v_cmp_ne_u16_e64 s[40:41], 0, v2
	s_and_b64 vcc, exec, s[28:29]
	s_mov_b64 s[48:49], -1
                                        ; implicit-def: $vgpr4
	s_cbranch_vccnz .LBB4_3019
; %bb.3006:                             ;   in Loop: Header=BB4_2477 Depth=4
	v_mov_b32_e32 v5, 0
	v_mov_b32_e32 v4, 0
	s_and_saveexec_b64 s[48:49], s[40:41]
	s_cbranch_execz .LBB4_3012
; %bb.3007:                             ;   in Loop: Header=BB4_2477 Depth=4
	v_cmp_ne_u16_e32 vcc, s80, v2
	v_bfrev_b32_e32 v4, 1
	s_and_saveexec_b64 s[50:51], vcc
	s_cbranch_execz .LBB4_3011
; %bb.3008:                             ;   in Loop: Header=BB4_2477 Depth=4
	v_and_b32_e32 v0, 0x7f, v34
	v_cmp_ne_u32_e32 vcc, s81, v0
	v_mov_b32_e32 v4, 0x7f800001
	s_and_saveexec_b64 s[52:53], vcc
	s_cbranch_execz .LBB4_3010
; %bb.3009:                             ;   in Loop: Header=BB4_2477 Depth=4
	v_and_b32_e32 v4, 7, v2
	v_lshrrev_b32_e32 v22, 3, v0
	v_cmp_gt_u32_e32 vcc, 8, v0
	v_ffbh_u32_e32 v0, v4
	v_min_u32_e32 v0, 32, v0
	v_subrev_u32_e32 v14, 28, v0
	v_lshlrev_b64 v[14:15], v14, v[2:3]
	v_sub_u32_e32 v0, 29, v0
	v_and_b32_e32 v14, 7, v14
	v_cndmask_b32_e32 v0, v22, v0, vcc
	v_cndmask_b32_e32 v4, v4, v14, vcc
	v_lshlrev_b32_e32 v14, 24, v34
	v_lshlrev_b32_e32 v4, 20, v4
	v_and_b32_e32 v14, 0x80000000, v14
	v_lshl_add_u32 v0, v0, 23, v54
	v_or3_b32 v4, v14, v0, v4
.LBB4_3010:                             ;   in Loop: Header=BB4_2477 Depth=4
	s_or_b64 exec, exec, s[52:53]
.LBB4_3011:                             ;   in Loop: Header=BB4_2477 Depth=4
	s_or_b64 exec, exec, s[50:51]
.LBB4_3012:                             ;   in Loop: Header=BB4_2477 Depth=4
	s_or_b64 exec, exec, s[48:49]
	v_and_b32_e32 v14, 0xff, v31
	v_cmp_ne_u16_e32 vcc, 0, v14
	s_and_saveexec_b64 s[48:49], vcc
	s_cbranch_execz .LBB4_3018
; %bb.3013:                             ;   in Loop: Header=BB4_2477 Depth=4
	v_cmp_ne_u16_e32 vcc, s80, v14
	v_bfrev_b32_e32 v5, 1
	s_and_saveexec_b64 s[50:51], vcc
	s_cbranch_execz .LBB4_3017
; %bb.3014:                             ;   in Loop: Header=BB4_2477 Depth=4
	v_and_b32_e32 v0, 0x7f, v31
	v_cmp_ne_u32_e32 vcc, s81, v0
	v_mov_b32_e32 v5, 0x7f800001
	s_and_saveexec_b64 s[52:53], vcc
	s_cbranch_execz .LBB4_3016
; %bb.3015:                             ;   in Loop: Header=BB4_2477 Depth=4
	v_and_b32_e32 v5, 7, v14
	v_lshrrev_b32_e32 v22, 3, v0
	v_cmp_gt_u32_e32 vcc, 8, v0
	v_ffbh_u32_e32 v0, v5
	v_min_u32_e32 v0, 32, v0
	v_subrev_u32_e32 v15, 28, v0
	v_lshlrev_b64 v[14:15], v15, v[14:15]
	v_sub_u32_e32 v0, 29, v0
	v_and_b32_e32 v14, 7, v14
	v_cndmask_b32_e32 v0, v22, v0, vcc
	v_cndmask_b32_e32 v5, v5, v14, vcc
	v_lshlrev_b32_e32 v14, 24, v31
	v_lshlrev_b32_e32 v5, 20, v5
	v_and_b32_e32 v14, 0x80000000, v14
	v_lshl_add_u32 v0, v0, 23, v54
	v_or3_b32 v5, v14, v0, v5
.LBB4_3016:                             ;   in Loop: Header=BB4_2477 Depth=4
	s_or_b64 exec, exec, s[52:53]
.LBB4_3017:                             ;   in Loop: Header=BB4_2477 Depth=4
	s_or_b64 exec, exec, s[50:51]
.LBB4_3018:                             ;   in Loop: Header=BB4_2477 Depth=4
	s_or_b64 exec, exec, s[48:49]
	v_max_f32_e32 v0, v5, v5
	v_max_f32_e32 v4, v4, v4
	;; [unrolled: 1-line block ×3, first 2 shown]
	s_mov_b64 s[48:49], 0
.LBB4_3019:                             ;   in Loop: Header=BB4_2477 Depth=4
	s_and_b64 vcc, exec, s[48:49]
	s_cbranch_vccz .LBB4_3033
; %bb.3020:                             ;   in Loop: Header=BB4_2477 Depth=4
	v_mov_b32_e32 v5, 0
	v_mov_b32_e32 v4, 0
	s_and_saveexec_b64 s[48:49], s[40:41]
	s_cbranch_execz .LBB4_3026
; %bb.3021:                             ;   in Loop: Header=BB4_2477 Depth=4
	v_cmp_ne_u16_e32 vcc, s80, v2
	v_bfrev_b32_e32 v4, 1
	s_and_saveexec_b64 s[40:41], vcc
	s_cbranch_execz .LBB4_3025
; %bb.3022:                             ;   in Loop: Header=BB4_2477 Depth=4
	v_and_b32_e32 v0, 0x7f, v34
	v_cmp_ne_u32_e32 vcc, s81, v0
	v_mov_b32_e32 v4, 0x7f800001
	s_and_saveexec_b64 s[50:51], vcc
	s_cbranch_execz .LBB4_3024
; %bb.3023:                             ;   in Loop: Header=BB4_2477 Depth=4
	v_and_b32_e32 v4, 7, v2
	v_lshrrev_b32_e32 v22, 3, v0
	v_cmp_gt_u32_e32 vcc, 8, v0
	v_ffbh_u32_e32 v0, v4
	v_min_u32_e32 v0, 32, v0
	v_subrev_u32_e32 v14, 28, v0
	v_lshlrev_b64 v[14:15], v14, v[2:3]
	v_sub_u32_e32 v0, 29, v0
	v_and_b32_e32 v2, 7, v14
	v_cndmask_b32_e32 v0, v22, v0, vcc
	v_cndmask_b32_e32 v2, v4, v2, vcc
	v_lshlrev_b32_e32 v4, 24, v34
	v_lshlrev_b32_e32 v2, 20, v2
	v_and_b32_e32 v4, 0x80000000, v4
	v_lshl_add_u32 v0, v0, 23, v54
	v_or3_b32 v4, v4, v0, v2
.LBB4_3024:                             ;   in Loop: Header=BB4_2477 Depth=4
	s_or_b64 exec, exec, s[50:51]
.LBB4_3025:                             ;   in Loop: Header=BB4_2477 Depth=4
	s_or_b64 exec, exec, s[40:41]
.LBB4_3026:                             ;   in Loop: Header=BB4_2477 Depth=4
	s_or_b64 exec, exec, s[48:49]
	v_and_b32_e32 v2, 0xff, v31
	v_cmp_ne_u16_e32 vcc, 0, v2
	s_and_saveexec_b64 s[40:41], vcc
	s_cbranch_execz .LBB4_3032
; %bb.3027:                             ;   in Loop: Header=BB4_2477 Depth=4
	v_cmp_ne_u16_e32 vcc, s80, v2
	v_bfrev_b32_e32 v5, 1
	s_and_saveexec_b64 s[48:49], vcc
	s_cbranch_execz .LBB4_3031
; %bb.3028:                             ;   in Loop: Header=BB4_2477 Depth=4
	v_and_b32_e32 v0, 0x7f, v31
	v_cmp_ne_u32_e32 vcc, s81, v0
	v_mov_b32_e32 v5, 0x7f800001
	s_and_saveexec_b64 s[50:51], vcc
	s_cbranch_execz .LBB4_3030
; %bb.3029:                             ;   in Loop: Header=BB4_2477 Depth=4
	v_and_b32_e32 v5, 7, v2
	v_lshrrev_b32_e32 v22, 3, v0
	v_cmp_gt_u32_e32 vcc, 8, v0
	v_ffbh_u32_e32 v0, v5
	v_min_u32_e32 v0, 32, v0
	v_subrev_u32_e32 v14, 28, v0
	v_lshlrev_b64 v[14:15], v14, v[2:3]
	v_sub_u32_e32 v0, 29, v0
	v_and_b32_e32 v2, 7, v14
	v_cndmask_b32_e32 v0, v22, v0, vcc
	v_cndmask_b32_e32 v2, v5, v2, vcc
	v_lshlrev_b32_e32 v5, 24, v31
	v_lshlrev_b32_e32 v2, 20, v2
	v_and_b32_e32 v5, 0x80000000, v5
	v_lshl_add_u32 v0, v0, 23, v54
	v_or3_b32 v5, v5, v0, v2
.LBB4_3030:                             ;   in Loop: Header=BB4_2477 Depth=4
	s_or_b64 exec, exec, s[50:51]
.LBB4_3031:                             ;   in Loop: Header=BB4_2477 Depth=4
	s_or_b64 exec, exec, s[48:49]
.LBB4_3032:                             ;   in Loop: Header=BB4_2477 Depth=4
	s_or_b64 exec, exec, s[40:41]
	v_max_f32_e32 v0, v5, v5
	v_max_f32_e32 v2, v4, v4
	v_min_f32_e32 v4, v2, v0
.LBB4_3033:                             ;   in Loop: Header=BB4_2477 Depth=4
	v_and_b32_e32 v2, 0x7f800000, v4
	v_cmp_ne_u64_e32 vcc, s[76:77], v[2:3]
                                        ; implicit-def: $vgpr31
	s_and_saveexec_b64 s[40:41], vcc
	s_xor_b64 s[48:49], exec, s[40:41]
	s_cbranch_execz .LBB4_3051
; %bb.3034:                             ;   in Loop: Header=BB4_2477 Depth=4
	v_and_b32_e32 v2, 0x7fffffff, v4
	v_cmp_gt_u64_e32 vcc, s[78:79], v[2:3]
	v_and_b32_sdwa v22, v4, s80 dst_sel:DWORD dst_unused:UNUSED_PAD src0_sel:BYTE_3 src1_sel:DWORD
                                        ; implicit-def: $vgpr31
	s_and_saveexec_b64 s[40:41], vcc
	s_xor_b64 s[50:51], exec, s[40:41]
	s_cbranch_execz .LBB4_3048
; %bb.3035:                             ;   in Loop: Header=BB4_2477 Depth=4
	v_cmp_ne_u32_e32 vcc, 0, v4
	v_mov_b32_e32 v31, 0
	s_and_saveexec_b64 s[52:53], vcc
	s_cbranch_execz .LBB4_3047
; %bb.3036:                             ;   in Loop: Header=BB4_2477 Depth=4
	v_bfe_u32 v31, v4, 23, 8
	v_cmp_gt_u32_e64 s[40:41], s83, v31
	v_sub_u32_e32 v0, 0x79, v31
	v_and_b32_e32 v2, 0x7fffff, v4
	v_cmp_eq_u32_e32 vcc, 0, v31
	v_cndmask_b32_e64 v0, 0, v0, s[40:41]
	v_mov_b32_e32 v5, 0x78
	v_or_b32_e32 v4, 0x800000, v2
	v_cndmask_b32_e32 v0, v0, v5, vcc
	v_cndmask_b32_e32 v2, v4, v2, vcc
	v_add_u32_e32 v4, 20, v0
	v_lshlrev_b64 v[4:5], v4, -1
	v_add_u32_e32 v14, 19, v0
	v_lshlrev_b64 v[14:15], v14, 1
	v_bfi_b32 v5, v5, 0, 0
	v_bfi_b32 v4, v4, 0, v2
	v_cmp_eq_u64_e64 s[40:41], v[4:5], v[14:15]
	v_lshrrev_b64 v[14:15], v0, v[2:3]
	v_mov_b32_e32 v4, v14
	v_mov_b32_e32 v5, v15
	s_and_saveexec_b64 s[54:55], s[40:41]
; %bb.3037:                             ;   in Loop: Header=BB4_2477 Depth=4
	v_bfe_u32 v2, v14, 20, 1
	v_add_co_u32_e64 v2, s[40:41], v14, v2
	v_add_co_u32_e64 v4, s[40:41], -1, v2
; %bb.3038:                             ;   in Loop: Header=BB4_2477 Depth=4
	s_or_b64 exec, exec, s[54:55]
	v_add_u32_e32 v2, 0xffffff81, v31
	v_mov_b32_e32 v5, 0xffffff82
	v_cndmask_b32_e32 v2, v2, v5, vcc
	v_lshrrev_b32_e32 v5, 23, v14
	v_add3_u32 v5, v0, v2, v5
	v_add_u32_e32 v0, 6, v5
	v_and_b32_e32 v2, 0xfffff, v4
	v_add_u32_e32 v2, v2, v14
	v_cmp_ne_u32_e32 vcc, 0, v0
                                        ; implicit-def: $vgpr14_vgpr15
                                        ; implicit-def: $vgpr4
	s_and_saveexec_b64 s[40:41], vcc
	s_xor_b64 s[40:41], exec, s[40:41]
; %bb.3039:                             ;   in Loop: Header=BB4_2477 Depth=4
	v_cmp_lt_u64_e32 vcc, s[88:89], v[2:3]
	v_add_u32_e32 v4, 7, v5
	v_cndmask_b32_e32 v4, v0, v4, vcc
	v_cndmask_b32_e64 v0, 0, 1, vcc
	v_lshrrev_b64 v[14:15], v0, v[2:3]
; %bb.3040:                             ;   in Loop: Header=BB4_2477 Depth=4
	s_andn2_saveexec_b64 s[40:41], s[40:41]
; %bb.3041:                             ;   in Loop: Header=BB4_2477 Depth=4
	v_mov_b32_e32 v15, v3
	v_bfe_u32 v4, v2, 23, 1
	v_mov_b32_e32 v14, v2
; %bb.3042:                             ;   in Loop: Header=BB4_2477 Depth=4
	s_or_b64 exec, exec, s[40:41]
	v_lshrrev_b64 v[14:15], 20, v[14:15]
	v_cmp_gt_i32_e32 vcc, 16, v4
	v_cndmask_b32_e32 v15, 0, v15, vcc
	v_cndmask_b32_e32 v14, 7, v14, vcc
	v_cmp_ne_u64_e32 vcc, 0, v[14:15]
	v_cmp_ne_u32_e64 s[40:41], 0, v4
	s_or_b64 s[40:41], s[40:41], vcc
                                        ; implicit-def: $vgpr31
	s_and_saveexec_b64 vcc, s[40:41]
	s_xor_b64 s[40:41], exec, vcc
; %bb.3043:                             ;   in Loop: Header=BB4_2477 Depth=4
	v_min_i32_e32 v0, 15, v4
	v_lshl_or_b32 v0, v0, 3, v22
	v_and_or_b32 v31, v14, 7, v0
                                        ; implicit-def: $vgpr22
; %bb.3044:                             ;   in Loop: Header=BB4_2477 Depth=4
	s_andn2_saveexec_b64 s[40:41], s[40:41]
; %bb.3045:                             ;   in Loop: Header=BB4_2477 Depth=4
	v_mov_b32_e32 v31, v22
; %bb.3046:                             ;   in Loop: Header=BB4_2477 Depth=4
	s_or_b64 exec, exec, s[40:41]
.LBB4_3047:                             ;   in Loop: Header=BB4_2477 Depth=4
	s_or_b64 exec, exec, s[52:53]
                                        ; implicit-def: $vgpr22
.LBB4_3048:                             ;   in Loop: Header=BB4_2477 Depth=4
	s_andn2_saveexec_b64 s[40:41], s[50:51]
; %bb.3049:                             ;   in Loop: Header=BB4_2477 Depth=4
	v_or_b32_e32 v31, 0x7e, v22
; %bb.3050:                             ;   in Loop: Header=BB4_2477 Depth=4
	s_or_b64 exec, exec, s[40:41]
                                        ; implicit-def: $vgpr4
.LBB4_3051:                             ;   in Loop: Header=BB4_2477 Depth=4
	s_andn2_saveexec_b64 s[40:41], s[48:49]
; %bb.3052:                             ;   in Loop: Header=BB4_2477 Depth=4
	v_or_b32_sdwa v31, v4, s81 dst_sel:DWORD dst_unused:UNUSED_PAD src0_sel:BYTE_3 src1_sel:DWORD
; %bb.3053:                             ;   in Loop: Header=BB4_2477 Depth=4
	s_or_b64 exec, exec, s[40:41]
	v_and_b32_e32 v2, 0xff, v29
	v_cmp_ne_u16_e64 s[40:41], 0, v2
	s_and_b64 vcc, exec, s[28:29]
	s_mov_b64 s[48:49], -1
                                        ; implicit-def: $vgpr4
	s_cbranch_vccnz .LBB4_3067
; %bb.3054:                             ;   in Loop: Header=BB4_2477 Depth=4
	v_mov_b32_e32 v5, 0
	v_mov_b32_e32 v4, 0
	s_and_saveexec_b64 s[48:49], s[40:41]
	s_cbranch_execz .LBB4_3060
; %bb.3055:                             ;   in Loop: Header=BB4_2477 Depth=4
	v_cmp_ne_u16_e32 vcc, s80, v2
	v_bfrev_b32_e32 v4, 1
	s_and_saveexec_b64 s[50:51], vcc
	s_cbranch_execz .LBB4_3059
; %bb.3056:                             ;   in Loop: Header=BB4_2477 Depth=4
	v_and_b32_e32 v0, 0x7f, v29
	v_cmp_ne_u32_e32 vcc, s81, v0
	v_mov_b32_e32 v4, 0x7f800001
	s_and_saveexec_b64 s[52:53], vcc
	s_cbranch_execz .LBB4_3058
; %bb.3057:                             ;   in Loop: Header=BB4_2477 Depth=4
	v_and_b32_e32 v4, 7, v2
	v_lshrrev_b32_e32 v22, 3, v0
	v_cmp_gt_u32_e32 vcc, 8, v0
	v_ffbh_u32_e32 v0, v4
	v_min_u32_e32 v0, 32, v0
	v_subrev_u32_e32 v14, 28, v0
	v_lshlrev_b64 v[14:15], v14, v[2:3]
	v_sub_u32_e32 v0, 29, v0
	v_and_b32_e32 v14, 7, v14
	v_cndmask_b32_e32 v0, v22, v0, vcc
	v_cndmask_b32_e32 v4, v4, v14, vcc
	v_lshlrev_b32_e32 v14, 24, v29
	v_lshlrev_b32_e32 v4, 20, v4
	v_and_b32_e32 v14, 0x80000000, v14
	v_lshl_add_u32 v0, v0, 23, v54
	v_or3_b32 v4, v14, v0, v4
.LBB4_3058:                             ;   in Loop: Header=BB4_2477 Depth=4
	s_or_b64 exec, exec, s[52:53]
.LBB4_3059:                             ;   in Loop: Header=BB4_2477 Depth=4
	s_or_b64 exec, exec, s[50:51]
.LBB4_3060:                             ;   in Loop: Header=BB4_2477 Depth=4
	s_or_b64 exec, exec, s[48:49]
	v_and_b32_e32 v14, 0xff, v6
	v_cmp_ne_u16_e32 vcc, 0, v14
	s_and_saveexec_b64 s[48:49], vcc
	s_cbranch_execz .LBB4_3066
; %bb.3061:                             ;   in Loop: Header=BB4_2477 Depth=4
	v_cmp_ne_u16_e32 vcc, s80, v14
	v_bfrev_b32_e32 v5, 1
	s_and_saveexec_b64 s[50:51], vcc
	s_cbranch_execz .LBB4_3065
; %bb.3062:                             ;   in Loop: Header=BB4_2477 Depth=4
	v_and_b32_e32 v0, 0x7f, v6
	v_cmp_ne_u32_e32 vcc, s81, v0
	v_mov_b32_e32 v5, 0x7f800001
	s_and_saveexec_b64 s[52:53], vcc
	s_cbranch_execz .LBB4_3064
; %bb.3063:                             ;   in Loop: Header=BB4_2477 Depth=4
	v_and_b32_e32 v5, 7, v14
	v_lshrrev_b32_e32 v22, 3, v0
	v_cmp_gt_u32_e32 vcc, 8, v0
	v_ffbh_u32_e32 v0, v5
	v_min_u32_e32 v0, 32, v0
	v_subrev_u32_e32 v15, 28, v0
	v_lshlrev_b64 v[14:15], v15, v[14:15]
	v_sub_u32_e32 v0, 29, v0
	v_and_b32_e32 v14, 7, v14
	v_cndmask_b32_e32 v0, v22, v0, vcc
	v_cndmask_b32_e32 v5, v5, v14, vcc
	v_lshlrev_b32_e32 v14, 24, v6
	v_lshlrev_b32_e32 v5, 20, v5
	v_and_b32_e32 v14, 0x80000000, v14
	v_lshl_add_u32 v0, v0, 23, v54
	v_or3_b32 v5, v14, v0, v5
.LBB4_3064:                             ;   in Loop: Header=BB4_2477 Depth=4
	s_or_b64 exec, exec, s[52:53]
.LBB4_3065:                             ;   in Loop: Header=BB4_2477 Depth=4
	s_or_b64 exec, exec, s[50:51]
.LBB4_3066:                             ;   in Loop: Header=BB4_2477 Depth=4
	s_or_b64 exec, exec, s[48:49]
	v_max_f32_e32 v0, v5, v5
	v_max_f32_e32 v4, v4, v4
	;; [unrolled: 1-line block ×3, first 2 shown]
	s_mov_b64 s[48:49], 0
.LBB4_3067:                             ;   in Loop: Header=BB4_2477 Depth=4
	s_and_b64 vcc, exec, s[48:49]
	s_cbranch_vccz .LBB4_3081
; %bb.3068:                             ;   in Loop: Header=BB4_2477 Depth=4
	v_mov_b32_e32 v5, 0
	v_mov_b32_e32 v4, 0
	s_and_saveexec_b64 s[48:49], s[40:41]
	s_cbranch_execz .LBB4_3074
; %bb.3069:                             ;   in Loop: Header=BB4_2477 Depth=4
	v_cmp_ne_u16_e32 vcc, s80, v2
	v_bfrev_b32_e32 v4, 1
	s_and_saveexec_b64 s[40:41], vcc
	s_cbranch_execz .LBB4_3073
; %bb.3070:                             ;   in Loop: Header=BB4_2477 Depth=4
	v_and_b32_e32 v0, 0x7f, v29
	v_cmp_ne_u32_e32 vcc, s81, v0
	v_mov_b32_e32 v4, 0x7f800001
	s_and_saveexec_b64 s[50:51], vcc
	s_cbranch_execz .LBB4_3072
; %bb.3071:                             ;   in Loop: Header=BB4_2477 Depth=4
	v_and_b32_e32 v4, 7, v2
	v_lshrrev_b32_e32 v22, 3, v0
	v_cmp_gt_u32_e32 vcc, 8, v0
	v_ffbh_u32_e32 v0, v4
	v_min_u32_e32 v0, 32, v0
	v_subrev_u32_e32 v14, 28, v0
	v_lshlrev_b64 v[14:15], v14, v[2:3]
	v_sub_u32_e32 v0, 29, v0
	v_and_b32_e32 v2, 7, v14
	v_cndmask_b32_e32 v0, v22, v0, vcc
	v_cndmask_b32_e32 v2, v4, v2, vcc
	v_lshlrev_b32_e32 v4, 24, v29
	v_lshlrev_b32_e32 v2, 20, v2
	v_and_b32_e32 v4, 0x80000000, v4
	v_lshl_add_u32 v0, v0, 23, v54
	v_or3_b32 v4, v4, v0, v2
.LBB4_3072:                             ;   in Loop: Header=BB4_2477 Depth=4
	s_or_b64 exec, exec, s[50:51]
.LBB4_3073:                             ;   in Loop: Header=BB4_2477 Depth=4
	s_or_b64 exec, exec, s[40:41]
.LBB4_3074:                             ;   in Loop: Header=BB4_2477 Depth=4
	s_or_b64 exec, exec, s[48:49]
	v_and_b32_e32 v2, 0xff, v6
	v_cmp_ne_u16_e32 vcc, 0, v2
	s_and_saveexec_b64 s[40:41], vcc
	s_cbranch_execz .LBB4_3080
; %bb.3075:                             ;   in Loop: Header=BB4_2477 Depth=4
	v_cmp_ne_u16_e32 vcc, s80, v2
	v_bfrev_b32_e32 v5, 1
	s_and_saveexec_b64 s[48:49], vcc
	s_cbranch_execz .LBB4_3079
; %bb.3076:                             ;   in Loop: Header=BB4_2477 Depth=4
	v_and_b32_e32 v0, 0x7f, v6
	v_cmp_ne_u32_e32 vcc, s81, v0
	v_mov_b32_e32 v5, 0x7f800001
	s_and_saveexec_b64 s[50:51], vcc
	s_cbranch_execz .LBB4_3078
; %bb.3077:                             ;   in Loop: Header=BB4_2477 Depth=4
	v_and_b32_e32 v5, 7, v2
	v_lshrrev_b32_e32 v22, 3, v0
	v_cmp_gt_u32_e32 vcc, 8, v0
	v_ffbh_u32_e32 v0, v5
	v_min_u32_e32 v0, 32, v0
	v_subrev_u32_e32 v14, 28, v0
	v_lshlrev_b64 v[14:15], v14, v[2:3]
	v_sub_u32_e32 v0, 29, v0
	v_and_b32_e32 v2, 7, v14
	v_cndmask_b32_e32 v0, v22, v0, vcc
	v_cndmask_b32_e32 v2, v5, v2, vcc
	v_lshlrev_b32_e32 v5, 24, v6
	v_lshlrev_b32_e32 v2, 20, v2
	v_and_b32_e32 v5, 0x80000000, v5
	v_lshl_add_u32 v0, v0, 23, v54
	v_or3_b32 v5, v5, v0, v2
.LBB4_3078:                             ;   in Loop: Header=BB4_2477 Depth=4
	s_or_b64 exec, exec, s[50:51]
.LBB4_3079:                             ;   in Loop: Header=BB4_2477 Depth=4
	s_or_b64 exec, exec, s[48:49]
.LBB4_3080:                             ;   in Loop: Header=BB4_2477 Depth=4
	s_or_b64 exec, exec, s[40:41]
	v_max_f32_e32 v0, v5, v5
	v_max_f32_e32 v2, v4, v4
	v_min_f32_e32 v4, v2, v0
.LBB4_3081:                             ;   in Loop: Header=BB4_2477 Depth=4
	v_and_b32_e32 v2, 0x7f800000, v4
	v_cmp_ne_u64_e32 vcc, s[76:77], v[2:3]
                                        ; implicit-def: $vgpr6
	s_and_saveexec_b64 s[40:41], vcc
	s_xor_b64 s[48:49], exec, s[40:41]
	s_cbranch_execz .LBB4_3099
; %bb.3082:                             ;   in Loop: Header=BB4_2477 Depth=4
	v_and_b32_e32 v2, 0x7fffffff, v4
	v_cmp_gt_u64_e32 vcc, s[78:79], v[2:3]
	v_and_b32_sdwa v22, v4, s80 dst_sel:DWORD dst_unused:UNUSED_PAD src0_sel:BYTE_3 src1_sel:DWORD
                                        ; implicit-def: $vgpr6
	s_and_saveexec_b64 s[40:41], vcc
	s_xor_b64 s[50:51], exec, s[40:41]
	s_cbranch_execz .LBB4_3096
; %bb.3083:                             ;   in Loop: Header=BB4_2477 Depth=4
	v_cmp_ne_u32_e32 vcc, 0, v4
	v_mov_b32_e32 v6, 0
	s_and_saveexec_b64 s[52:53], vcc
	s_cbranch_execz .LBB4_3095
; %bb.3084:                             ;   in Loop: Header=BB4_2477 Depth=4
	v_bfe_u32 v6, v4, 23, 8
	v_cmp_gt_u32_e64 s[40:41], s83, v6
	v_sub_u32_e32 v0, 0x79, v6
	v_and_b32_e32 v2, 0x7fffff, v4
	v_cmp_eq_u32_e32 vcc, 0, v6
	v_cndmask_b32_e64 v0, 0, v0, s[40:41]
	v_mov_b32_e32 v5, 0x78
	v_or_b32_e32 v4, 0x800000, v2
	v_cndmask_b32_e32 v0, v0, v5, vcc
	v_cndmask_b32_e32 v2, v4, v2, vcc
	v_add_u32_e32 v4, 20, v0
	v_lshlrev_b64 v[4:5], v4, -1
	v_add_u32_e32 v14, 19, v0
	v_lshlrev_b64 v[14:15], v14, 1
	v_bfi_b32 v5, v5, 0, 0
	v_bfi_b32 v4, v4, 0, v2
	v_cmp_eq_u64_e64 s[40:41], v[4:5], v[14:15]
	v_lshrrev_b64 v[14:15], v0, v[2:3]
	v_mov_b32_e32 v4, v14
	v_mov_b32_e32 v5, v15
	s_and_saveexec_b64 s[54:55], s[40:41]
; %bb.3085:                             ;   in Loop: Header=BB4_2477 Depth=4
	v_bfe_u32 v2, v14, 20, 1
	v_add_co_u32_e64 v2, s[40:41], v14, v2
	v_add_co_u32_e64 v4, s[40:41], -1, v2
; %bb.3086:                             ;   in Loop: Header=BB4_2477 Depth=4
	s_or_b64 exec, exec, s[54:55]
	v_add_u32_e32 v2, 0xffffff81, v6
	v_mov_b32_e32 v5, 0xffffff82
	v_cndmask_b32_e32 v2, v2, v5, vcc
	v_lshrrev_b32_e32 v5, 23, v14
	v_add3_u32 v5, v0, v2, v5
	v_add_u32_e32 v0, 6, v5
	v_and_b32_e32 v2, 0xfffff, v4
	v_add_u32_e32 v2, v2, v14
	v_cmp_ne_u32_e32 vcc, 0, v0
                                        ; implicit-def: $vgpr14_vgpr15
                                        ; implicit-def: $vgpr4
	s_and_saveexec_b64 s[40:41], vcc
	s_xor_b64 s[40:41], exec, s[40:41]
; %bb.3087:                             ;   in Loop: Header=BB4_2477 Depth=4
	v_cmp_lt_u64_e32 vcc, s[88:89], v[2:3]
	v_add_u32_e32 v4, 7, v5
	v_cndmask_b32_e32 v4, v0, v4, vcc
	v_cndmask_b32_e64 v0, 0, 1, vcc
	v_lshrrev_b64 v[14:15], v0, v[2:3]
; %bb.3088:                             ;   in Loop: Header=BB4_2477 Depth=4
	s_andn2_saveexec_b64 s[40:41], s[40:41]
; %bb.3089:                             ;   in Loop: Header=BB4_2477 Depth=4
	v_mov_b32_e32 v15, v3
	v_bfe_u32 v4, v2, 23, 1
	v_mov_b32_e32 v14, v2
; %bb.3090:                             ;   in Loop: Header=BB4_2477 Depth=4
	s_or_b64 exec, exec, s[40:41]
	v_lshrrev_b64 v[5:6], 20, v[14:15]
	v_cmp_gt_i32_e32 vcc, 16, v4
	v_cndmask_b32_e32 v15, 0, v6, vcc
	v_cndmask_b32_e32 v14, 7, v5, vcc
	v_cmp_ne_u64_e32 vcc, 0, v[14:15]
	v_cmp_ne_u32_e64 s[40:41], 0, v4
	s_or_b64 s[40:41], s[40:41], vcc
                                        ; implicit-def: $vgpr6
	s_and_saveexec_b64 vcc, s[40:41]
	s_xor_b64 s[40:41], exec, vcc
; %bb.3091:                             ;   in Loop: Header=BB4_2477 Depth=4
	v_min_i32_e32 v0, 15, v4
	v_lshl_or_b32 v0, v0, 3, v22
	v_and_or_b32 v6, v14, 7, v0
                                        ; implicit-def: $vgpr22
; %bb.3092:                             ;   in Loop: Header=BB4_2477 Depth=4
	s_andn2_saveexec_b64 s[40:41], s[40:41]
; %bb.3093:                             ;   in Loop: Header=BB4_2477 Depth=4
	v_mov_b32_e32 v6, v22
; %bb.3094:                             ;   in Loop: Header=BB4_2477 Depth=4
	s_or_b64 exec, exec, s[40:41]
.LBB4_3095:                             ;   in Loop: Header=BB4_2477 Depth=4
	s_or_b64 exec, exec, s[52:53]
                                        ; implicit-def: $vgpr22
.LBB4_3096:                             ;   in Loop: Header=BB4_2477 Depth=4
	s_andn2_saveexec_b64 s[40:41], s[50:51]
; %bb.3097:                             ;   in Loop: Header=BB4_2477 Depth=4
	v_or_b32_e32 v6, 0x7e, v22
; %bb.3098:                             ;   in Loop: Header=BB4_2477 Depth=4
	s_or_b64 exec, exec, s[40:41]
                                        ; implicit-def: $vgpr4
.LBB4_3099:                             ;   in Loop: Header=BB4_2477 Depth=4
	s_andn2_saveexec_b64 s[40:41], s[48:49]
; %bb.3100:                             ;   in Loop: Header=BB4_2477 Depth=4
	v_or_b32_sdwa v6, v4, s81 dst_sel:DWORD dst_unused:UNUSED_PAD src0_sel:BYTE_3 src1_sel:DWORD
; %bb.3101:                             ;   in Loop: Header=BB4_2477 Depth=4
	s_or_b64 exec, exec, s[40:41]
	v_and_b32_e32 v2, 0xff, v27
	v_cmp_ne_u16_e64 s[40:41], 0, v2
	s_and_b64 vcc, exec, s[28:29]
	s_mov_b64 s[48:49], -1
                                        ; implicit-def: $vgpr4
	s_cbranch_vccnz .LBB4_3115
; %bb.3102:                             ;   in Loop: Header=BB4_2477 Depth=4
	v_mov_b32_e32 v5, 0
	v_mov_b32_e32 v4, 0
	s_and_saveexec_b64 s[48:49], s[40:41]
	s_cbranch_execz .LBB4_3108
; %bb.3103:                             ;   in Loop: Header=BB4_2477 Depth=4
	v_cmp_ne_u16_e32 vcc, s80, v2
	v_bfrev_b32_e32 v4, 1
	s_and_saveexec_b64 s[50:51], vcc
	s_cbranch_execz .LBB4_3107
; %bb.3104:                             ;   in Loop: Header=BB4_2477 Depth=4
	v_and_b32_e32 v0, 0x7f, v27
	v_cmp_ne_u32_e32 vcc, s81, v0
	v_mov_b32_e32 v4, 0x7f800001
	s_and_saveexec_b64 s[52:53], vcc
	s_cbranch_execz .LBB4_3106
; %bb.3105:                             ;   in Loop: Header=BB4_2477 Depth=4
	v_and_b32_e32 v4, 7, v2
	v_lshrrev_b32_e32 v22, 3, v0
	v_cmp_gt_u32_e32 vcc, 8, v0
	v_ffbh_u32_e32 v0, v4
	v_min_u32_e32 v0, 32, v0
	v_subrev_u32_e32 v14, 28, v0
	v_lshlrev_b64 v[14:15], v14, v[2:3]
	v_sub_u32_e32 v0, 29, v0
	v_and_b32_e32 v14, 7, v14
	v_cndmask_b32_e32 v0, v22, v0, vcc
	v_cndmask_b32_e32 v4, v4, v14, vcc
	v_lshlrev_b32_e32 v14, 24, v27
	v_lshlrev_b32_e32 v4, 20, v4
	v_and_b32_e32 v14, 0x80000000, v14
	v_lshl_add_u32 v0, v0, 23, v54
	v_or3_b32 v4, v14, v0, v4
.LBB4_3106:                             ;   in Loop: Header=BB4_2477 Depth=4
	s_or_b64 exec, exec, s[52:53]
.LBB4_3107:                             ;   in Loop: Header=BB4_2477 Depth=4
	s_or_b64 exec, exec, s[50:51]
.LBB4_3108:                             ;   in Loop: Header=BB4_2477 Depth=4
	s_or_b64 exec, exec, s[48:49]
	v_and_b32_e32 v14, 0xff, v26
	v_cmp_ne_u16_e32 vcc, 0, v14
	s_and_saveexec_b64 s[48:49], vcc
	s_cbranch_execz .LBB4_3114
; %bb.3109:                             ;   in Loop: Header=BB4_2477 Depth=4
	v_cmp_ne_u16_e32 vcc, s80, v14
	v_bfrev_b32_e32 v5, 1
	s_and_saveexec_b64 s[50:51], vcc
	s_cbranch_execz .LBB4_3113
; %bb.3110:                             ;   in Loop: Header=BB4_2477 Depth=4
	v_and_b32_e32 v0, 0x7f, v26
	v_cmp_ne_u32_e32 vcc, s81, v0
	v_mov_b32_e32 v5, 0x7f800001
	s_and_saveexec_b64 s[52:53], vcc
	s_cbranch_execz .LBB4_3112
; %bb.3111:                             ;   in Loop: Header=BB4_2477 Depth=4
	v_and_b32_e32 v5, 7, v14
	v_lshrrev_b32_e32 v22, 3, v0
	v_cmp_gt_u32_e32 vcc, 8, v0
	v_ffbh_u32_e32 v0, v5
	v_min_u32_e32 v0, 32, v0
	v_subrev_u32_e32 v15, 28, v0
	v_lshlrev_b64 v[14:15], v15, v[14:15]
	v_sub_u32_e32 v0, 29, v0
	v_and_b32_e32 v14, 7, v14
	v_cndmask_b32_e32 v0, v22, v0, vcc
	v_cndmask_b32_e32 v5, v5, v14, vcc
	v_lshlrev_b32_e32 v14, 24, v26
	v_lshlrev_b32_e32 v5, 20, v5
	v_and_b32_e32 v14, 0x80000000, v14
	v_lshl_add_u32 v0, v0, 23, v54
	v_or3_b32 v5, v14, v0, v5
.LBB4_3112:                             ;   in Loop: Header=BB4_2477 Depth=4
	s_or_b64 exec, exec, s[52:53]
.LBB4_3113:                             ;   in Loop: Header=BB4_2477 Depth=4
	s_or_b64 exec, exec, s[50:51]
.LBB4_3114:                             ;   in Loop: Header=BB4_2477 Depth=4
	s_or_b64 exec, exec, s[48:49]
	v_max_f32_e32 v0, v5, v5
	v_max_f32_e32 v4, v4, v4
	;; [unrolled: 1-line block ×3, first 2 shown]
	s_mov_b64 s[48:49], 0
.LBB4_3115:                             ;   in Loop: Header=BB4_2477 Depth=4
	s_and_b64 vcc, exec, s[48:49]
	s_cbranch_vccz .LBB4_3129
; %bb.3116:                             ;   in Loop: Header=BB4_2477 Depth=4
	v_mov_b32_e32 v5, 0
	v_mov_b32_e32 v4, 0
	s_and_saveexec_b64 s[48:49], s[40:41]
	s_cbranch_execz .LBB4_3122
; %bb.3117:                             ;   in Loop: Header=BB4_2477 Depth=4
	v_cmp_ne_u16_e32 vcc, s80, v2
	v_bfrev_b32_e32 v4, 1
	s_and_saveexec_b64 s[40:41], vcc
	s_cbranch_execz .LBB4_3121
; %bb.3118:                             ;   in Loop: Header=BB4_2477 Depth=4
	v_and_b32_e32 v0, 0x7f, v27
	v_cmp_ne_u32_e32 vcc, s81, v0
	v_mov_b32_e32 v4, 0x7f800001
	s_and_saveexec_b64 s[50:51], vcc
	s_cbranch_execz .LBB4_3120
; %bb.3119:                             ;   in Loop: Header=BB4_2477 Depth=4
	v_and_b32_e32 v4, 7, v2
	v_lshrrev_b32_e32 v22, 3, v0
	v_cmp_gt_u32_e32 vcc, 8, v0
	v_ffbh_u32_e32 v0, v4
	v_min_u32_e32 v0, 32, v0
	v_subrev_u32_e32 v14, 28, v0
	v_lshlrev_b64 v[14:15], v14, v[2:3]
	v_sub_u32_e32 v0, 29, v0
	v_and_b32_e32 v2, 7, v14
	v_cndmask_b32_e32 v0, v22, v0, vcc
	v_cndmask_b32_e32 v2, v4, v2, vcc
	v_lshlrev_b32_e32 v4, 24, v27
	v_lshlrev_b32_e32 v2, 20, v2
	v_and_b32_e32 v4, 0x80000000, v4
	v_lshl_add_u32 v0, v0, 23, v54
	v_or3_b32 v4, v4, v0, v2
.LBB4_3120:                             ;   in Loop: Header=BB4_2477 Depth=4
	s_or_b64 exec, exec, s[50:51]
.LBB4_3121:                             ;   in Loop: Header=BB4_2477 Depth=4
	s_or_b64 exec, exec, s[40:41]
.LBB4_3122:                             ;   in Loop: Header=BB4_2477 Depth=4
	s_or_b64 exec, exec, s[48:49]
	v_and_b32_e32 v2, 0xff, v26
	v_cmp_ne_u16_e32 vcc, 0, v2
	s_and_saveexec_b64 s[40:41], vcc
	s_cbranch_execz .LBB4_3128
; %bb.3123:                             ;   in Loop: Header=BB4_2477 Depth=4
	v_cmp_ne_u16_e32 vcc, s80, v2
	v_bfrev_b32_e32 v5, 1
	s_and_saveexec_b64 s[48:49], vcc
	s_cbranch_execz .LBB4_3127
; %bb.3124:                             ;   in Loop: Header=BB4_2477 Depth=4
	v_and_b32_e32 v0, 0x7f, v26
	v_cmp_ne_u32_e32 vcc, s81, v0
	v_mov_b32_e32 v5, 0x7f800001
	s_and_saveexec_b64 s[50:51], vcc
	s_cbranch_execz .LBB4_3126
; %bb.3125:                             ;   in Loop: Header=BB4_2477 Depth=4
	v_and_b32_e32 v5, 7, v2
	v_lshrrev_b32_e32 v22, 3, v0
	v_cmp_gt_u32_e32 vcc, 8, v0
	v_ffbh_u32_e32 v0, v5
	v_min_u32_e32 v0, 32, v0
	v_subrev_u32_e32 v14, 28, v0
	v_lshlrev_b64 v[14:15], v14, v[2:3]
	v_sub_u32_e32 v0, 29, v0
	v_and_b32_e32 v2, 7, v14
	v_cndmask_b32_e32 v0, v22, v0, vcc
	v_cndmask_b32_e32 v2, v5, v2, vcc
	v_lshlrev_b32_e32 v5, 24, v26
	v_lshlrev_b32_e32 v2, 20, v2
	v_and_b32_e32 v5, 0x80000000, v5
	v_lshl_add_u32 v0, v0, 23, v54
	v_or3_b32 v5, v5, v0, v2
.LBB4_3126:                             ;   in Loop: Header=BB4_2477 Depth=4
	s_or_b64 exec, exec, s[50:51]
.LBB4_3127:                             ;   in Loop: Header=BB4_2477 Depth=4
	s_or_b64 exec, exec, s[48:49]
.LBB4_3128:                             ;   in Loop: Header=BB4_2477 Depth=4
	s_or_b64 exec, exec, s[40:41]
	v_max_f32_e32 v0, v5, v5
	v_max_f32_e32 v2, v4, v4
	v_min_f32_e32 v4, v2, v0
.LBB4_3129:                             ;   in Loop: Header=BB4_2477 Depth=4
	v_and_b32_e32 v2, 0x7f800000, v4
	v_cmp_ne_u64_e32 vcc, s[76:77], v[2:3]
                                        ; implicit-def: $vgpr26
	s_and_saveexec_b64 s[40:41], vcc
	s_xor_b64 s[48:49], exec, s[40:41]
	s_cbranch_execz .LBB4_3147
; %bb.3130:                             ;   in Loop: Header=BB4_2477 Depth=4
	v_and_b32_e32 v2, 0x7fffffff, v4
	v_cmp_gt_u64_e32 vcc, s[78:79], v[2:3]
	v_and_b32_sdwa v22, v4, s80 dst_sel:DWORD dst_unused:UNUSED_PAD src0_sel:BYTE_3 src1_sel:DWORD
                                        ; implicit-def: $vgpr26
	s_and_saveexec_b64 s[40:41], vcc
	s_xor_b64 s[50:51], exec, s[40:41]
	s_cbranch_execz .LBB4_3144
; %bb.3131:                             ;   in Loop: Header=BB4_2477 Depth=4
	v_cmp_ne_u32_e32 vcc, 0, v4
	v_mov_b32_e32 v26, 0
	s_and_saveexec_b64 s[52:53], vcc
	s_cbranch_execz .LBB4_3143
; %bb.3132:                             ;   in Loop: Header=BB4_2477 Depth=4
	v_bfe_u32 v26, v4, 23, 8
	v_cmp_gt_u32_e64 s[40:41], s83, v26
	v_sub_u32_e32 v0, 0x79, v26
	v_and_b32_e32 v2, 0x7fffff, v4
	v_cmp_eq_u32_e32 vcc, 0, v26
	v_cndmask_b32_e64 v0, 0, v0, s[40:41]
	v_mov_b32_e32 v5, 0x78
	v_or_b32_e32 v4, 0x800000, v2
	v_cndmask_b32_e32 v0, v0, v5, vcc
	v_cndmask_b32_e32 v2, v4, v2, vcc
	v_add_u32_e32 v4, 20, v0
	v_lshlrev_b64 v[4:5], v4, -1
	v_add_u32_e32 v14, 19, v0
	v_lshlrev_b64 v[14:15], v14, 1
	v_bfi_b32 v5, v5, 0, 0
	v_bfi_b32 v4, v4, 0, v2
	v_cmp_eq_u64_e64 s[40:41], v[4:5], v[14:15]
	v_lshrrev_b64 v[14:15], v0, v[2:3]
	v_mov_b32_e32 v4, v14
	v_mov_b32_e32 v5, v15
	s_and_saveexec_b64 s[54:55], s[40:41]
; %bb.3133:                             ;   in Loop: Header=BB4_2477 Depth=4
	v_bfe_u32 v2, v14, 20, 1
	v_add_co_u32_e64 v2, s[40:41], v14, v2
	v_add_co_u32_e64 v4, s[40:41], -1, v2
; %bb.3134:                             ;   in Loop: Header=BB4_2477 Depth=4
	s_or_b64 exec, exec, s[54:55]
	v_add_u32_e32 v2, 0xffffff81, v26
	v_mov_b32_e32 v5, 0xffffff82
	v_cndmask_b32_e32 v2, v2, v5, vcc
	v_lshrrev_b32_e32 v5, 23, v14
	v_add3_u32 v5, v0, v2, v5
	v_add_u32_e32 v0, 6, v5
	v_and_b32_e32 v2, 0xfffff, v4
	v_add_u32_e32 v2, v2, v14
	v_cmp_ne_u32_e32 vcc, 0, v0
                                        ; implicit-def: $vgpr14_vgpr15
                                        ; implicit-def: $vgpr4
	s_and_saveexec_b64 s[40:41], vcc
	s_xor_b64 s[40:41], exec, s[40:41]
; %bb.3135:                             ;   in Loop: Header=BB4_2477 Depth=4
	v_cmp_lt_u64_e32 vcc, s[88:89], v[2:3]
	v_add_u32_e32 v4, 7, v5
	v_cndmask_b32_e32 v4, v0, v4, vcc
	v_cndmask_b32_e64 v0, 0, 1, vcc
	v_lshrrev_b64 v[14:15], v0, v[2:3]
; %bb.3136:                             ;   in Loop: Header=BB4_2477 Depth=4
	s_andn2_saveexec_b64 s[40:41], s[40:41]
; %bb.3137:                             ;   in Loop: Header=BB4_2477 Depth=4
	v_mov_b32_e32 v15, v3
	v_bfe_u32 v4, v2, 23, 1
	v_mov_b32_e32 v14, v2
; %bb.3138:                             ;   in Loop: Header=BB4_2477 Depth=4
	s_or_b64 exec, exec, s[40:41]
	v_lshrrev_b64 v[14:15], 20, v[14:15]
	v_cmp_gt_i32_e32 vcc, 16, v4
	v_cndmask_b32_e32 v15, 0, v15, vcc
	v_cndmask_b32_e32 v14, 7, v14, vcc
	v_cmp_ne_u64_e32 vcc, 0, v[14:15]
	v_cmp_ne_u32_e64 s[40:41], 0, v4
	s_or_b64 s[40:41], s[40:41], vcc
                                        ; implicit-def: $vgpr26
	s_and_saveexec_b64 vcc, s[40:41]
	s_xor_b64 s[40:41], exec, vcc
; %bb.3139:                             ;   in Loop: Header=BB4_2477 Depth=4
	v_min_i32_e32 v0, 15, v4
	v_lshl_or_b32 v0, v0, 3, v22
	v_and_or_b32 v26, v14, 7, v0
                                        ; implicit-def: $vgpr22
; %bb.3140:                             ;   in Loop: Header=BB4_2477 Depth=4
	s_andn2_saveexec_b64 s[40:41], s[40:41]
; %bb.3141:                             ;   in Loop: Header=BB4_2477 Depth=4
	v_mov_b32_e32 v26, v22
; %bb.3142:                             ;   in Loop: Header=BB4_2477 Depth=4
	s_or_b64 exec, exec, s[40:41]
.LBB4_3143:                             ;   in Loop: Header=BB4_2477 Depth=4
	s_or_b64 exec, exec, s[52:53]
                                        ; implicit-def: $vgpr22
.LBB4_3144:                             ;   in Loop: Header=BB4_2477 Depth=4
	s_andn2_saveexec_b64 s[40:41], s[50:51]
; %bb.3145:                             ;   in Loop: Header=BB4_2477 Depth=4
	v_or_b32_e32 v26, 0x7e, v22
; %bb.3146:                             ;   in Loop: Header=BB4_2477 Depth=4
	s_or_b64 exec, exec, s[40:41]
                                        ; implicit-def: $vgpr4
.LBB4_3147:                             ;   in Loop: Header=BB4_2477 Depth=4
	s_andn2_saveexec_b64 s[40:41], s[48:49]
; %bb.3148:                             ;   in Loop: Header=BB4_2477 Depth=4
	v_or_b32_sdwa v26, v4, s81 dst_sel:DWORD dst_unused:UNUSED_PAD src0_sel:BYTE_3 src1_sel:DWORD
; %bb.3149:                             ;   in Loop: Header=BB4_2477 Depth=4
	s_or_b64 exec, exec, s[40:41]
	v_and_b32_e32 v2, 0xff, v24
	v_cmp_ne_u16_e64 s[40:41], 0, v2
	s_and_b64 vcc, exec, s[28:29]
	s_mov_b64 s[48:49], -1
                                        ; implicit-def: $vgpr4
	s_cbranch_vccnz .LBB4_3163
; %bb.3150:                             ;   in Loop: Header=BB4_2477 Depth=4
	v_mov_b32_e32 v5, 0
	v_mov_b32_e32 v4, 0
	s_and_saveexec_b64 s[48:49], s[40:41]
	s_cbranch_execz .LBB4_3156
; %bb.3151:                             ;   in Loop: Header=BB4_2477 Depth=4
	v_cmp_ne_u16_e32 vcc, s80, v2
	v_bfrev_b32_e32 v4, 1
	s_and_saveexec_b64 s[50:51], vcc
	s_cbranch_execz .LBB4_3155
; %bb.3152:                             ;   in Loop: Header=BB4_2477 Depth=4
	v_and_b32_e32 v0, 0x7f, v24
	v_cmp_ne_u32_e32 vcc, s81, v0
	v_mov_b32_e32 v4, 0x7f800001
	s_and_saveexec_b64 s[52:53], vcc
	s_cbranch_execz .LBB4_3154
; %bb.3153:                             ;   in Loop: Header=BB4_2477 Depth=4
	v_and_b32_e32 v4, 7, v2
	v_lshrrev_b32_e32 v22, 3, v0
	v_cmp_gt_u32_e32 vcc, 8, v0
	v_ffbh_u32_e32 v0, v4
	v_min_u32_e32 v0, 32, v0
	v_subrev_u32_e32 v14, 28, v0
	v_lshlrev_b64 v[14:15], v14, v[2:3]
	v_sub_u32_e32 v0, 29, v0
	v_and_b32_e32 v14, 7, v14
	v_cndmask_b32_e32 v0, v22, v0, vcc
	v_cndmask_b32_e32 v4, v4, v14, vcc
	v_lshlrev_b32_e32 v14, 24, v24
	v_lshlrev_b32_e32 v4, 20, v4
	v_and_b32_e32 v14, 0x80000000, v14
	v_lshl_add_u32 v0, v0, 23, v54
	v_or3_b32 v4, v14, v0, v4
.LBB4_3154:                             ;   in Loop: Header=BB4_2477 Depth=4
	s_or_b64 exec, exec, s[52:53]
.LBB4_3155:                             ;   in Loop: Header=BB4_2477 Depth=4
	s_or_b64 exec, exec, s[50:51]
.LBB4_3156:                             ;   in Loop: Header=BB4_2477 Depth=4
	s_or_b64 exec, exec, s[48:49]
	v_and_b32_e32 v14, 0xff, v23
	v_cmp_ne_u16_e32 vcc, 0, v14
	s_and_saveexec_b64 s[48:49], vcc
	s_cbranch_execz .LBB4_3162
; %bb.3157:                             ;   in Loop: Header=BB4_2477 Depth=4
	v_cmp_ne_u16_e32 vcc, s80, v14
	v_bfrev_b32_e32 v5, 1
	s_and_saveexec_b64 s[50:51], vcc
	s_cbranch_execz .LBB4_3161
; %bb.3158:                             ;   in Loop: Header=BB4_2477 Depth=4
	v_and_b32_e32 v0, 0x7f, v23
	v_cmp_ne_u32_e32 vcc, s81, v0
	v_mov_b32_e32 v5, 0x7f800001
	s_and_saveexec_b64 s[52:53], vcc
	s_cbranch_execz .LBB4_3160
; %bb.3159:                             ;   in Loop: Header=BB4_2477 Depth=4
	v_and_b32_e32 v5, 7, v14
	v_lshrrev_b32_e32 v22, 3, v0
	v_cmp_gt_u32_e32 vcc, 8, v0
	v_ffbh_u32_e32 v0, v5
	v_min_u32_e32 v0, 32, v0
	v_subrev_u32_e32 v15, 28, v0
	v_lshlrev_b64 v[14:15], v15, v[14:15]
	v_sub_u32_e32 v0, 29, v0
	v_and_b32_e32 v14, 7, v14
	v_cndmask_b32_e32 v0, v22, v0, vcc
	v_cndmask_b32_e32 v5, v5, v14, vcc
	v_lshlrev_b32_e32 v14, 24, v23
	v_lshlrev_b32_e32 v5, 20, v5
	v_and_b32_e32 v14, 0x80000000, v14
	v_lshl_add_u32 v0, v0, 23, v54
	v_or3_b32 v5, v14, v0, v5
.LBB4_3160:                             ;   in Loop: Header=BB4_2477 Depth=4
	s_or_b64 exec, exec, s[52:53]
.LBB4_3161:                             ;   in Loop: Header=BB4_2477 Depth=4
	s_or_b64 exec, exec, s[50:51]
.LBB4_3162:                             ;   in Loop: Header=BB4_2477 Depth=4
	s_or_b64 exec, exec, s[48:49]
	v_max_f32_e32 v0, v5, v5
	v_max_f32_e32 v4, v4, v4
	;; [unrolled: 1-line block ×3, first 2 shown]
	s_mov_b64 s[48:49], 0
.LBB4_3163:                             ;   in Loop: Header=BB4_2477 Depth=4
	s_and_b64 vcc, exec, s[48:49]
	s_cbranch_vccz .LBB4_3177
; %bb.3164:                             ;   in Loop: Header=BB4_2477 Depth=4
	v_mov_b32_e32 v5, 0
	v_mov_b32_e32 v4, 0
	s_and_saveexec_b64 s[48:49], s[40:41]
	s_cbranch_execz .LBB4_3170
; %bb.3165:                             ;   in Loop: Header=BB4_2477 Depth=4
	v_cmp_ne_u16_e32 vcc, s80, v2
	v_bfrev_b32_e32 v4, 1
	s_and_saveexec_b64 s[40:41], vcc
	s_cbranch_execz .LBB4_3169
; %bb.3166:                             ;   in Loop: Header=BB4_2477 Depth=4
	v_and_b32_e32 v0, 0x7f, v24
	v_cmp_ne_u32_e32 vcc, s81, v0
	v_mov_b32_e32 v4, 0x7f800001
	s_and_saveexec_b64 s[50:51], vcc
	s_cbranch_execz .LBB4_3168
; %bb.3167:                             ;   in Loop: Header=BB4_2477 Depth=4
	v_and_b32_e32 v4, 7, v2
	v_lshrrev_b32_e32 v22, 3, v0
	v_cmp_gt_u32_e32 vcc, 8, v0
	v_ffbh_u32_e32 v0, v4
	v_min_u32_e32 v0, 32, v0
	v_subrev_u32_e32 v14, 28, v0
	v_lshlrev_b64 v[14:15], v14, v[2:3]
	v_sub_u32_e32 v0, 29, v0
	v_and_b32_e32 v2, 7, v14
	v_cndmask_b32_e32 v0, v22, v0, vcc
	v_cndmask_b32_e32 v2, v4, v2, vcc
	v_lshlrev_b32_e32 v4, 24, v24
	v_lshlrev_b32_e32 v2, 20, v2
	v_and_b32_e32 v4, 0x80000000, v4
	v_lshl_add_u32 v0, v0, 23, v54
	v_or3_b32 v4, v4, v0, v2
.LBB4_3168:                             ;   in Loop: Header=BB4_2477 Depth=4
	s_or_b64 exec, exec, s[50:51]
.LBB4_3169:                             ;   in Loop: Header=BB4_2477 Depth=4
	s_or_b64 exec, exec, s[40:41]
.LBB4_3170:                             ;   in Loop: Header=BB4_2477 Depth=4
	s_or_b64 exec, exec, s[48:49]
	v_and_b32_e32 v2, 0xff, v23
	v_cmp_ne_u16_e32 vcc, 0, v2
	s_and_saveexec_b64 s[40:41], vcc
	s_cbranch_execz .LBB4_3176
; %bb.3171:                             ;   in Loop: Header=BB4_2477 Depth=4
	v_cmp_ne_u16_e32 vcc, s80, v2
	v_bfrev_b32_e32 v5, 1
	s_and_saveexec_b64 s[48:49], vcc
	s_cbranch_execz .LBB4_3175
; %bb.3172:                             ;   in Loop: Header=BB4_2477 Depth=4
	v_and_b32_e32 v0, 0x7f, v23
	v_cmp_ne_u32_e32 vcc, s81, v0
	v_mov_b32_e32 v5, 0x7f800001
	s_and_saveexec_b64 s[50:51], vcc
	s_cbranch_execz .LBB4_3174
; %bb.3173:                             ;   in Loop: Header=BB4_2477 Depth=4
	v_and_b32_e32 v5, 7, v2
	v_lshrrev_b32_e32 v22, 3, v0
	v_cmp_gt_u32_e32 vcc, 8, v0
	v_ffbh_u32_e32 v0, v5
	v_min_u32_e32 v0, 32, v0
	v_subrev_u32_e32 v14, 28, v0
	v_lshlrev_b64 v[14:15], v14, v[2:3]
	v_sub_u32_e32 v0, 29, v0
	v_and_b32_e32 v2, 7, v14
	v_cndmask_b32_e32 v0, v22, v0, vcc
	v_cndmask_b32_e32 v2, v5, v2, vcc
	v_lshlrev_b32_e32 v5, 24, v23
	v_lshlrev_b32_e32 v2, 20, v2
	v_and_b32_e32 v5, 0x80000000, v5
	v_lshl_add_u32 v0, v0, 23, v54
	v_or3_b32 v5, v5, v0, v2
.LBB4_3174:                             ;   in Loop: Header=BB4_2477 Depth=4
	s_or_b64 exec, exec, s[50:51]
.LBB4_3175:                             ;   in Loop: Header=BB4_2477 Depth=4
	s_or_b64 exec, exec, s[48:49]
.LBB4_3176:                             ;   in Loop: Header=BB4_2477 Depth=4
	s_or_b64 exec, exec, s[40:41]
	v_max_f32_e32 v0, v5, v5
	v_max_f32_e32 v2, v4, v4
	v_min_f32_e32 v4, v2, v0
.LBB4_3177:                             ;   in Loop: Header=BB4_2477 Depth=4
	v_and_b32_e32 v2, 0x7f800000, v4
	v_cmp_ne_u64_e32 vcc, s[76:77], v[2:3]
                                        ; implicit-def: $vgpr23
	s_and_saveexec_b64 s[40:41], vcc
	s_xor_b64 s[48:49], exec, s[40:41]
	s_cbranch_execz .LBB4_3195
; %bb.3178:                             ;   in Loop: Header=BB4_2477 Depth=4
	v_and_b32_e32 v2, 0x7fffffff, v4
	v_cmp_gt_u64_e32 vcc, s[78:79], v[2:3]
	v_and_b32_sdwa v22, v4, s80 dst_sel:DWORD dst_unused:UNUSED_PAD src0_sel:BYTE_3 src1_sel:DWORD
                                        ; implicit-def: $vgpr23
	s_and_saveexec_b64 s[40:41], vcc
	s_xor_b64 s[50:51], exec, s[40:41]
	s_cbranch_execz .LBB4_3192
; %bb.3179:                             ;   in Loop: Header=BB4_2477 Depth=4
	v_cmp_ne_u32_e32 vcc, 0, v4
	v_mov_b32_e32 v23, 0
	s_and_saveexec_b64 s[52:53], vcc
	s_cbranch_execz .LBB4_3191
; %bb.3180:                             ;   in Loop: Header=BB4_2477 Depth=4
	v_bfe_u32 v23, v4, 23, 8
	v_cmp_gt_u32_e64 s[40:41], s83, v23
	v_sub_u32_e32 v0, 0x79, v23
	v_and_b32_e32 v2, 0x7fffff, v4
	v_cmp_eq_u32_e32 vcc, 0, v23
	v_cndmask_b32_e64 v0, 0, v0, s[40:41]
	v_mov_b32_e32 v5, 0x78
	v_or_b32_e32 v4, 0x800000, v2
	v_cndmask_b32_e32 v0, v0, v5, vcc
	v_cndmask_b32_e32 v2, v4, v2, vcc
	v_add_u32_e32 v4, 20, v0
	v_lshlrev_b64 v[4:5], v4, -1
	v_add_u32_e32 v14, 19, v0
	v_lshlrev_b64 v[14:15], v14, 1
	v_bfi_b32 v5, v5, 0, 0
	v_bfi_b32 v4, v4, 0, v2
	v_cmp_eq_u64_e64 s[40:41], v[4:5], v[14:15]
	v_lshrrev_b64 v[14:15], v0, v[2:3]
	v_mov_b32_e32 v4, v14
	v_mov_b32_e32 v5, v15
	s_and_saveexec_b64 s[54:55], s[40:41]
; %bb.3181:                             ;   in Loop: Header=BB4_2477 Depth=4
	v_bfe_u32 v2, v14, 20, 1
	v_add_co_u32_e64 v2, s[40:41], v14, v2
	v_add_co_u32_e64 v4, s[40:41], -1, v2
; %bb.3182:                             ;   in Loop: Header=BB4_2477 Depth=4
	s_or_b64 exec, exec, s[54:55]
	v_add_u32_e32 v2, 0xffffff81, v23
	v_mov_b32_e32 v5, 0xffffff82
	v_cndmask_b32_e32 v2, v2, v5, vcc
	v_lshrrev_b32_e32 v5, 23, v14
	v_add3_u32 v5, v0, v2, v5
	v_add_u32_e32 v0, 6, v5
	v_and_b32_e32 v2, 0xfffff, v4
	v_add_u32_e32 v2, v2, v14
	v_cmp_ne_u32_e32 vcc, 0, v0
                                        ; implicit-def: $vgpr14_vgpr15
                                        ; implicit-def: $vgpr4
	s_and_saveexec_b64 s[40:41], vcc
	s_xor_b64 s[40:41], exec, s[40:41]
; %bb.3183:                             ;   in Loop: Header=BB4_2477 Depth=4
	v_cmp_lt_u64_e32 vcc, s[88:89], v[2:3]
	v_add_u32_e32 v4, 7, v5
	v_cndmask_b32_e32 v4, v0, v4, vcc
	v_cndmask_b32_e64 v0, 0, 1, vcc
	v_lshrrev_b64 v[14:15], v0, v[2:3]
; %bb.3184:                             ;   in Loop: Header=BB4_2477 Depth=4
	s_andn2_saveexec_b64 s[40:41], s[40:41]
; %bb.3185:                             ;   in Loop: Header=BB4_2477 Depth=4
	v_mov_b32_e32 v15, v3
	v_bfe_u32 v4, v2, 23, 1
	v_mov_b32_e32 v14, v2
; %bb.3186:                             ;   in Loop: Header=BB4_2477 Depth=4
	s_or_b64 exec, exec, s[40:41]
	v_lshrrev_b64 v[14:15], 20, v[14:15]
	v_cmp_gt_i32_e32 vcc, 16, v4
	v_cndmask_b32_e32 v15, 0, v15, vcc
	v_cndmask_b32_e32 v14, 7, v14, vcc
	v_cmp_ne_u64_e32 vcc, 0, v[14:15]
	v_cmp_ne_u32_e64 s[40:41], 0, v4
	s_or_b64 s[40:41], s[40:41], vcc
                                        ; implicit-def: $vgpr23
	s_and_saveexec_b64 vcc, s[40:41]
	s_xor_b64 s[40:41], exec, vcc
; %bb.3187:                             ;   in Loop: Header=BB4_2477 Depth=4
	v_min_i32_e32 v0, 15, v4
	v_lshl_or_b32 v0, v0, 3, v22
	v_and_or_b32 v23, v14, 7, v0
                                        ; implicit-def: $vgpr22
; %bb.3188:                             ;   in Loop: Header=BB4_2477 Depth=4
	s_andn2_saveexec_b64 s[40:41], s[40:41]
; %bb.3189:                             ;   in Loop: Header=BB4_2477 Depth=4
	v_mov_b32_e32 v23, v22
; %bb.3190:                             ;   in Loop: Header=BB4_2477 Depth=4
	s_or_b64 exec, exec, s[40:41]
.LBB4_3191:                             ;   in Loop: Header=BB4_2477 Depth=4
	s_or_b64 exec, exec, s[52:53]
                                        ; implicit-def: $vgpr22
.LBB4_3192:                             ;   in Loop: Header=BB4_2477 Depth=4
	s_andn2_saveexec_b64 s[40:41], s[50:51]
; %bb.3193:                             ;   in Loop: Header=BB4_2477 Depth=4
	v_or_b32_e32 v23, 0x7e, v22
; %bb.3194:                             ;   in Loop: Header=BB4_2477 Depth=4
	s_or_b64 exec, exec, s[40:41]
                                        ; implicit-def: $vgpr4
.LBB4_3195:                             ;   in Loop: Header=BB4_2477 Depth=4
	s_andn2_saveexec_b64 s[40:41], s[48:49]
; %bb.3196:                             ;   in Loop: Header=BB4_2477 Depth=4
	v_or_b32_sdwa v23, v4, s81 dst_sel:DWORD dst_unused:UNUSED_PAD src0_sel:BYTE_3 src1_sel:DWORD
; %bb.3197:                             ;   in Loop: Header=BB4_2477 Depth=4
	s_or_b64 exec, exec, s[40:41]
	v_and_b32_e32 v2, 0xff, v21
	v_cmp_ne_u16_e64 s[40:41], 0, v2
	s_and_b64 vcc, exec, s[28:29]
	s_mov_b64 s[28:29], -1
                                        ; implicit-def: $vgpr4
	s_cbranch_vccnz .LBB4_3211
; %bb.3198:                             ;   in Loop: Header=BB4_2477 Depth=4
	v_mov_b32_e32 v5, 0
	v_mov_b32_e32 v4, 0
	s_and_saveexec_b64 s[28:29], s[40:41]
	s_cbranch_execz .LBB4_3204
; %bb.3199:                             ;   in Loop: Header=BB4_2477 Depth=4
	v_cmp_ne_u16_e32 vcc, s80, v2
	v_bfrev_b32_e32 v4, 1
	s_and_saveexec_b64 s[48:49], vcc
	s_cbranch_execz .LBB4_3203
; %bb.3200:                             ;   in Loop: Header=BB4_2477 Depth=4
	v_and_b32_e32 v0, 0x7f, v21
	v_cmp_ne_u32_e32 vcc, s81, v0
	v_mov_b32_e32 v4, 0x7f800001
	s_and_saveexec_b64 s[50:51], vcc
	s_cbranch_execz .LBB4_3202
; %bb.3201:                             ;   in Loop: Header=BB4_2477 Depth=4
	v_and_b32_e32 v4, 7, v2
	v_lshrrev_b32_e32 v22, 3, v0
	v_cmp_gt_u32_e32 vcc, 8, v0
	v_ffbh_u32_e32 v0, v4
	v_min_u32_e32 v0, 32, v0
	v_subrev_u32_e32 v14, 28, v0
	v_lshlrev_b64 v[14:15], v14, v[2:3]
	v_sub_u32_e32 v0, 29, v0
	v_and_b32_e32 v14, 7, v14
	v_cndmask_b32_e32 v0, v22, v0, vcc
	v_cndmask_b32_e32 v4, v4, v14, vcc
	v_lshlrev_b32_e32 v14, 24, v21
	v_lshlrev_b32_e32 v4, 20, v4
	v_and_b32_e32 v14, 0x80000000, v14
	v_lshl_add_u32 v0, v0, 23, v54
	v_or3_b32 v4, v14, v0, v4
.LBB4_3202:                             ;   in Loop: Header=BB4_2477 Depth=4
	s_or_b64 exec, exec, s[50:51]
.LBB4_3203:                             ;   in Loop: Header=BB4_2477 Depth=4
	s_or_b64 exec, exec, s[48:49]
.LBB4_3204:                             ;   in Loop: Header=BB4_2477 Depth=4
	s_or_b64 exec, exec, s[28:29]
	v_and_b32_e32 v14, 0xff, v20
	v_cmp_ne_u16_e32 vcc, 0, v14
	s_and_saveexec_b64 s[28:29], vcc
	s_cbranch_execz .LBB4_3210
; %bb.3205:                             ;   in Loop: Header=BB4_2477 Depth=4
	v_cmp_ne_u16_e32 vcc, s80, v14
	v_bfrev_b32_e32 v5, 1
	s_and_saveexec_b64 s[48:49], vcc
	s_cbranch_execz .LBB4_3209
; %bb.3206:                             ;   in Loop: Header=BB4_2477 Depth=4
	v_and_b32_e32 v0, 0x7f, v20
	v_cmp_ne_u32_e32 vcc, s81, v0
	v_mov_b32_e32 v5, 0x7f800001
	s_and_saveexec_b64 s[50:51], vcc
	s_cbranch_execz .LBB4_3208
; %bb.3207:                             ;   in Loop: Header=BB4_2477 Depth=4
	v_and_b32_e32 v5, 7, v14
	v_lshrrev_b32_e32 v22, 3, v0
	v_cmp_gt_u32_e32 vcc, 8, v0
	v_ffbh_u32_e32 v0, v5
	v_min_u32_e32 v0, 32, v0
	v_subrev_u32_e32 v15, 28, v0
	v_lshlrev_b64 v[14:15], v15, v[14:15]
	v_sub_u32_e32 v0, 29, v0
	v_and_b32_e32 v14, 7, v14
	v_cndmask_b32_e32 v0, v22, v0, vcc
	v_cndmask_b32_e32 v5, v5, v14, vcc
	v_lshlrev_b32_e32 v14, 24, v20
	v_lshlrev_b32_e32 v5, 20, v5
	v_and_b32_e32 v14, 0x80000000, v14
	v_lshl_add_u32 v0, v0, 23, v54
	v_or3_b32 v5, v14, v0, v5
.LBB4_3208:                             ;   in Loop: Header=BB4_2477 Depth=4
	s_or_b64 exec, exec, s[50:51]
.LBB4_3209:                             ;   in Loop: Header=BB4_2477 Depth=4
	s_or_b64 exec, exec, s[48:49]
.LBB4_3210:                             ;   in Loop: Header=BB4_2477 Depth=4
	s_or_b64 exec, exec, s[28:29]
	v_max_f32_e32 v0, v5, v5
	v_max_f32_e32 v4, v4, v4
	;; [unrolled: 1-line block ×3, first 2 shown]
	s_mov_b64 s[28:29], 0
.LBB4_3211:                             ;   in Loop: Header=BB4_2477 Depth=4
	s_and_b64 vcc, exec, s[28:29]
	s_cbranch_vccz .LBB4_3225
; %bb.3212:                             ;   in Loop: Header=BB4_2477 Depth=4
	v_mov_b32_e32 v5, 0
	v_mov_b32_e32 v4, 0
	s_and_saveexec_b64 s[28:29], s[40:41]
	s_cbranch_execz .LBB4_3218
; %bb.3213:                             ;   in Loop: Header=BB4_2477 Depth=4
	v_cmp_ne_u16_e32 vcc, s80, v2
	v_bfrev_b32_e32 v4, 1
	s_and_saveexec_b64 s[40:41], vcc
	s_cbranch_execz .LBB4_3217
; %bb.3214:                             ;   in Loop: Header=BB4_2477 Depth=4
	v_and_b32_e32 v0, 0x7f, v21
	v_cmp_ne_u32_e32 vcc, s81, v0
	v_mov_b32_e32 v4, 0x7f800001
	s_and_saveexec_b64 s[48:49], vcc
	s_cbranch_execz .LBB4_3216
; %bb.3215:                             ;   in Loop: Header=BB4_2477 Depth=4
	v_and_b32_e32 v4, 7, v2
	v_lshrrev_b32_e32 v22, 3, v0
	v_cmp_gt_u32_e32 vcc, 8, v0
	v_ffbh_u32_e32 v0, v4
	v_min_u32_e32 v0, 32, v0
	v_subrev_u32_e32 v14, 28, v0
	v_lshlrev_b64 v[14:15], v14, v[2:3]
	v_sub_u32_e32 v0, 29, v0
	v_and_b32_e32 v2, 7, v14
	v_cndmask_b32_e32 v0, v22, v0, vcc
	v_cndmask_b32_e32 v2, v4, v2, vcc
	v_lshlrev_b32_e32 v4, 24, v21
	v_lshlrev_b32_e32 v2, 20, v2
	v_and_b32_e32 v4, 0x80000000, v4
	v_lshl_add_u32 v0, v0, 23, v54
	v_or3_b32 v4, v4, v0, v2
.LBB4_3216:                             ;   in Loop: Header=BB4_2477 Depth=4
	s_or_b64 exec, exec, s[48:49]
.LBB4_3217:                             ;   in Loop: Header=BB4_2477 Depth=4
	s_or_b64 exec, exec, s[40:41]
.LBB4_3218:                             ;   in Loop: Header=BB4_2477 Depth=4
	s_or_b64 exec, exec, s[28:29]
	v_and_b32_e32 v2, 0xff, v20
	v_cmp_ne_u16_e32 vcc, 0, v2
	s_and_saveexec_b64 s[28:29], vcc
	s_cbranch_execz .LBB4_3224
; %bb.3219:                             ;   in Loop: Header=BB4_2477 Depth=4
	v_cmp_ne_u16_e32 vcc, s80, v2
	v_bfrev_b32_e32 v5, 1
	s_and_saveexec_b64 s[40:41], vcc
	s_cbranch_execz .LBB4_3223
; %bb.3220:                             ;   in Loop: Header=BB4_2477 Depth=4
	v_and_b32_e32 v0, 0x7f, v20
	v_cmp_ne_u32_e32 vcc, s81, v0
	v_mov_b32_e32 v5, 0x7f800001
	s_and_saveexec_b64 s[48:49], vcc
	s_cbranch_execz .LBB4_3222
; %bb.3221:                             ;   in Loop: Header=BB4_2477 Depth=4
	v_and_b32_e32 v5, 7, v2
	v_lshrrev_b32_e32 v21, 3, v0
	v_cmp_gt_u32_e32 vcc, 8, v0
	v_ffbh_u32_e32 v0, v5
	v_min_u32_e32 v0, 32, v0
	v_subrev_u32_e32 v14, 28, v0
	v_lshlrev_b64 v[14:15], v14, v[2:3]
	v_sub_u32_e32 v0, 29, v0
	v_and_b32_e32 v2, 7, v14
	v_cndmask_b32_e32 v0, v21, v0, vcc
	v_cndmask_b32_e32 v2, v5, v2, vcc
	v_lshlrev_b32_e32 v5, 24, v20
	v_lshlrev_b32_e32 v2, 20, v2
	v_and_b32_e32 v5, 0x80000000, v5
	v_lshl_add_u32 v0, v0, 23, v54
	v_or3_b32 v5, v5, v0, v2
.LBB4_3222:                             ;   in Loop: Header=BB4_2477 Depth=4
	s_or_b64 exec, exec, s[48:49]
.LBB4_3223:                             ;   in Loop: Header=BB4_2477 Depth=4
	s_or_b64 exec, exec, s[40:41]
.LBB4_3224:                             ;   in Loop: Header=BB4_2477 Depth=4
	s_or_b64 exec, exec, s[28:29]
	v_max_f32_e32 v0, v5, v5
	v_max_f32_e32 v2, v4, v4
	v_min_f32_e32 v4, v2, v0
.LBB4_3225:                             ;   in Loop: Header=BB4_2477 Depth=4
	v_and_b32_e32 v2, 0x7f800000, v4
	v_cmp_ne_u64_e32 vcc, s[76:77], v[2:3]
                                        ; implicit-def: $vgpr2
	s_and_saveexec_b64 s[28:29], vcc
	s_xor_b64 s[40:41], exec, s[28:29]
	s_cbranch_execz .LBB4_3243
; %bb.3226:                             ;   in Loop: Header=BB4_2477 Depth=4
	v_and_b32_e32 v2, 0x7fffffff, v4
	v_cmp_gt_u64_e32 vcc, s[78:79], v[2:3]
	v_and_b32_sdwa v20, v4, s80 dst_sel:DWORD dst_unused:UNUSED_PAD src0_sel:BYTE_3 src1_sel:DWORD
                                        ; implicit-def: $vgpr2
	s_and_saveexec_b64 s[28:29], vcc
	s_xor_b64 s[48:49], exec, s[28:29]
	s_cbranch_execz .LBB4_3240
; %bb.3227:                             ;   in Loop: Header=BB4_2477 Depth=4
	v_cmp_ne_u32_e32 vcc, 0, v4
	v_mov_b32_e32 v2, 0
	s_and_saveexec_b64 s[50:51], vcc
	s_cbranch_execz .LBB4_3239
; %bb.3228:                             ;   in Loop: Header=BB4_2477 Depth=4
	v_bfe_u32 v21, v4, 23, 8
	v_cmp_gt_u32_e64 s[28:29], s83, v21
	v_sub_u32_e32 v0, 0x79, v21
	v_and_b32_e32 v2, 0x7fffff, v4
	v_cmp_eq_u32_e32 vcc, 0, v21
	v_cndmask_b32_e64 v0, 0, v0, s[28:29]
	v_mov_b32_e32 v5, 0x78
	v_or_b32_e32 v4, 0x800000, v2
	v_cndmask_b32_e32 v0, v0, v5, vcc
	v_cndmask_b32_e32 v2, v4, v2, vcc
	v_add_u32_e32 v4, 20, v0
	v_lshlrev_b64 v[4:5], v4, -1
	v_add_u32_e32 v14, 19, v0
	v_lshlrev_b64 v[14:15], v14, 1
	v_bfi_b32 v5, v5, 0, 0
	v_bfi_b32 v4, v4, 0, v2
	v_cmp_eq_u64_e64 s[28:29], v[4:5], v[14:15]
	v_lshrrev_b64 v[14:15], v0, v[2:3]
	v_mov_b32_e32 v4, v14
	v_mov_b32_e32 v5, v15
	s_and_saveexec_b64 s[52:53], s[28:29]
; %bb.3229:                             ;   in Loop: Header=BB4_2477 Depth=4
	v_bfe_u32 v2, v14, 20, 1
	v_add_co_u32_e64 v2, s[28:29], v14, v2
	v_add_co_u32_e64 v4, s[28:29], -1, v2
; %bb.3230:                             ;   in Loop: Header=BB4_2477 Depth=4
	s_or_b64 exec, exec, s[52:53]
	v_add_u32_e32 v2, 0xffffff81, v21
	v_mov_b32_e32 v5, 0xffffff82
	v_cndmask_b32_e32 v2, v2, v5, vcc
	v_lshrrev_b32_e32 v5, 23, v14
	v_add3_u32 v5, v0, v2, v5
	v_add_u32_e32 v0, 6, v5
	v_and_b32_e32 v2, 0xfffff, v4
	v_add_u32_e32 v2, v2, v14
	v_cmp_ne_u32_e32 vcc, 0, v0
                                        ; implicit-def: $vgpr14_vgpr15
                                        ; implicit-def: $vgpr4
	s_and_saveexec_b64 s[28:29], vcc
	s_xor_b64 s[28:29], exec, s[28:29]
; %bb.3231:                             ;   in Loop: Header=BB4_2477 Depth=4
	v_cmp_lt_u64_e32 vcc, s[88:89], v[2:3]
	v_add_u32_e32 v4, 7, v5
	v_cndmask_b32_e32 v4, v0, v4, vcc
	v_cndmask_b32_e64 v0, 0, 1, vcc
	v_lshrrev_b64 v[14:15], v0, v[2:3]
; %bb.3232:                             ;   in Loop: Header=BB4_2477 Depth=4
	s_andn2_saveexec_b64 s[28:29], s[28:29]
; %bb.3233:                             ;   in Loop: Header=BB4_2477 Depth=4
	v_mov_b32_e32 v15, v3
	v_bfe_u32 v4, v2, 23, 1
	v_mov_b32_e32 v14, v2
; %bb.3234:                             ;   in Loop: Header=BB4_2477 Depth=4
	s_or_b64 exec, exec, s[28:29]
	v_lshrrev_b64 v[14:15], 20, v[14:15]
	v_cmp_gt_i32_e32 vcc, 16, v4
	v_cndmask_b32_e32 v15, 0, v15, vcc
	v_cndmask_b32_e32 v14, 7, v14, vcc
	v_cmp_ne_u64_e32 vcc, 0, v[14:15]
	v_cmp_ne_u32_e64 s[28:29], 0, v4
	s_or_b64 s[28:29], s[28:29], vcc
                                        ; implicit-def: $vgpr2
	s_and_saveexec_b64 vcc, s[28:29]
	s_xor_b64 s[28:29], exec, vcc
; %bb.3235:                             ;   in Loop: Header=BB4_2477 Depth=4
	v_min_i32_e32 v0, 15, v4
	v_lshl_or_b32 v0, v0, 3, v20
	v_and_or_b32 v2, v14, 7, v0
                                        ; implicit-def: $vgpr20
; %bb.3236:                             ;   in Loop: Header=BB4_2477 Depth=4
	s_andn2_saveexec_b64 s[28:29], s[28:29]
; %bb.3237:                             ;   in Loop: Header=BB4_2477 Depth=4
	v_mov_b32_e32 v2, v20
; %bb.3238:                             ;   in Loop: Header=BB4_2477 Depth=4
	s_or_b64 exec, exec, s[28:29]
.LBB4_3239:                             ;   in Loop: Header=BB4_2477 Depth=4
	s_or_b64 exec, exec, s[50:51]
                                        ; implicit-def: $vgpr20
.LBB4_3240:                             ;   in Loop: Header=BB4_2477 Depth=4
	s_andn2_saveexec_b64 s[28:29], s[48:49]
; %bb.3241:                             ;   in Loop: Header=BB4_2477 Depth=4
	v_or_b32_e32 v2, 0x7e, v20
; %bb.3242:                             ;   in Loop: Header=BB4_2477 Depth=4
	s_or_b64 exec, exec, s[28:29]
                                        ; implicit-def: $vgpr4
.LBB4_3243:                             ;   in Loop: Header=BB4_2477 Depth=4
	s_andn2_saveexec_b64 s[28:29], s[40:41]
	s_cbranch_execz .LBB4_2476
; %bb.3244:                             ;   in Loop: Header=BB4_2477 Depth=4
	v_or_b32_sdwa v2, v4, s81 dst_sel:DWORD dst_unused:UNUSED_PAD src0_sel:BYTE_3 src1_sel:DWORD
	s_branch .LBB4_2476
.LBB4_3245:                             ;   in Loop: Header=BB4_272 Depth=3
	s_or_b64 exec, exec, s[38:39]
	buffer_load_dword v46, off, s[0:3], s33 offset:76 ; 4-byte Folded Reload
	buffer_load_dword v20, off, s[0:3], s33 offset:188 ; 4-byte Folded Reload
	;; [unrolled: 1-line block ×4, first 2 shown]
.LBB4_3246:                             ;   in Loop: Header=BB4_272 Depth=3
	s_or_b64 exec, exec, s[42:43]
	v_lshlrev_b32_e32 v0, 10, v19
	v_cmp_ne_u32_e32 vcc, v7, v0
	s_and_b64 exec, exec, vcc
	s_cbranch_execz .LBB4_3298
; %bb.3247:                             ;   in Loop: Header=BB4_272 Depth=3
	s_waitcnt vmcnt(0)
	v_lshlrev_b32_e32 v2, 6, v4
	v_sub_u32_e32 v2, v16, v2
	v_lshlrev_b32_e32 v4, 6, v18
	v_sub_u32_e32 v2, v2, v4
	v_add_u32_e32 v0, v0, v2
	v_sub_u32_e32 v6, v7, v0
	v_cmp_lt_i32_e32 vcc, 0, v6
	s_and_b64 exec, exec, vcc
	s_cbranch_execz .LBB4_3298
; %bb.3248:                             ;   in Loop: Header=BB4_272 Depth=3
	s_trap 2
	ds_read_b128 v[8:11], v0
	v_add_u32_e32 v2, v0, v1
	ds_read_b64 v[0:1], v0
	v_ashrrev_i32_e32 v4, 31, v2
	s_bitcmp1_b32 s84, 0
	s_waitcnt lgkmcnt(0)
	v_add_co_u32_e32 v8, vcc, v8, v2
	v_addc_co_u32_e32 v9, vcc, v9, v4, vcc
	v_add_co_u32_e32 v10, vcc, v10, v2
	v_addc_co_u32_e32 v11, vcc, v11, v4, vcc
	;; [unrolled: 2-line block ×3, first 2 shown]
	s_mov_b64 s[46:47], 0
	s_cselect_b64 s[38:39], -1, 0
	s_branch .LBB4_3250
.LBB4_3249:                             ;   in Loop: Header=BB4_3250 Depth=4
	s_or_b64 exec, exec, s[28:29]
	buffer_load_dword v0, off, s[0:3], s33 offset:72 ; 4-byte Folded Reload
	s_waitcnt vmcnt(0)
	v_add_co_u32_e32 v8, vcc, v8, v0
	v_addc_co_u32_e32 v9, vcc, 0, v9, vcc
	v_add_co_u32_e32 v10, vcc, v10, v0
	v_addc_co_u32_e32 v11, vcc, 0, v11, vcc
	v_sub_u32_e32 v6, v6, v0
	v_cmp_gt_i32_e32 vcc, 1, v6
	flat_store_byte v[12:13], v2 glc slc
	s_or_b64 s[46:47], vcc, s[46:47]
	v_add_co_u32_e32 v12, vcc, v12, v0
	v_addc_co_u32_e32 v13, vcc, 0, v13, vcc
	s_andn2_b64 exec, exec, s[46:47]
	s_cbranch_execz .LBB4_3298
.LBB4_3250:                             ;   Parent Loop BB4_47 Depth=1
                                        ;     Parent Loop BB4_269 Depth=2
                                        ;       Parent Loop BB4_272 Depth=3
                                        ; =>      This Inner Loop Header: Depth=4
	flat_load_ubyte v4, v[10:11] glc slc
	flat_load_ubyte v5, v[8:9] glc slc
	s_mov_b64 s[48:49], -1
	s_and_b64 vcc, exec, s[38:39]
                                        ; implicit-def: $vgpr7
	s_waitcnt vmcnt(0) lgkmcnt(0)
	v_cmp_ne_u16_e64 s[40:41], 0, v4
	v_cmp_ne_u16_e64 s[28:29], s80, v4
	v_and_b32_sdwa v1, sext(v4), s82 dst_sel:DWORD dst_unused:UNUSED_PAD src0_sel:BYTE_0 src1_sel:DWORD
	v_cmp_ne_u16_e64 s[42:43], 0, v5
	s_cbranch_vccz .LBB4_3264
; %bb.3251:                             ;   in Loop: Header=BB4_3250 Depth=4
	v_mov_b32_e32 v7, 0
	v_mov_b32_e32 v14, 0
	s_and_saveexec_b64 s[48:49], s[42:43]
	s_cbranch_execz .LBB4_3257
; %bb.3252:                             ;   in Loop: Header=BB4_3250 Depth=4
	v_cmp_ne_u16_e32 vcc, s80, v5
	v_bfrev_b32_e32 v14, 1
	s_and_saveexec_b64 s[50:51], vcc
	s_cbranch_execz .LBB4_3256
; %bb.3253:                             ;   in Loop: Header=BB4_3250 Depth=4
	v_and_b32_e32 v2, 0xffff, v5
	v_and_b32_e32 v0, 0x7f, v2
	v_cmp_ne_u32_e32 vcc, s81, v0
	v_mov_b32_e32 v14, 0x7f800001
	s_and_saveexec_b64 s[52:53], vcc
	s_cbranch_execz .LBB4_3255
; %bb.3254:                             ;   in Loop: Header=BB4_3250 Depth=4
	v_and_b32_e32 v16, 7, v2
	v_lshrrev_b32_e32 v17, 3, v0
	v_cmp_gt_u32_e32 vcc, 8, v0
	v_ffbh_u32_e32 v0, v16
	v_min_u32_e32 v0, 32, v0
	v_subrev_u32_e32 v14, 28, v0
	v_lshlrev_b64 v[14:15], v14, v[2:3]
	v_sub_u32_e32 v0, 29, v0
	v_and_b32_e32 v2, 7, v14
	v_cndmask_b32_e32 v0, v17, v0, vcc
	v_cndmask_b32_e32 v2, v16, v2, vcc
	v_lshlrev_b32_e32 v14, 24, v5
	v_lshlrev_b32_e32 v2, 20, v2
	v_and_b32_e32 v14, 0x80000000, v14
	v_lshl_add_u32 v0, v0, 23, v54
	v_or3_b32 v14, v14, v0, v2
.LBB4_3255:                             ;   in Loop: Header=BB4_3250 Depth=4
	s_or_b64 exec, exec, s[52:53]
.LBB4_3256:                             ;   in Loop: Header=BB4_3250 Depth=4
	s_or_b64 exec, exec, s[50:51]
.LBB4_3257:                             ;   in Loop: Header=BB4_3250 Depth=4
	s_or_b64 exec, exec, s[48:49]
	s_and_saveexec_b64 s[48:49], s[40:41]
	s_cbranch_execz .LBB4_3263
; %bb.3258:                             ;   in Loop: Header=BB4_3250 Depth=4
	v_bfrev_b32_e32 v7, 1
	s_and_saveexec_b64 s[50:51], s[28:29]
	s_cbranch_execz .LBB4_3262
; %bb.3259:                             ;   in Loop: Header=BB4_3250 Depth=4
	v_and_b32_e32 v2, 0xffff, v4
	v_and_b32_e32 v0, 0x7f, v2
	v_cmp_ne_u32_e32 vcc, s81, v0
	v_mov_b32_e32 v7, 0x7f800001
	s_and_saveexec_b64 s[52:53], vcc
	s_cbranch_execz .LBB4_3261
; %bb.3260:                             ;   in Loop: Header=BB4_3250 Depth=4
	v_and_b32_e32 v7, 7, v2
	v_lshrrev_b32_e32 v17, 3, v0
	v_cmp_gt_u32_e32 vcc, 8, v0
	v_ffbh_u32_e32 v0, v7
	v_min_u32_e32 v0, 32, v0
	v_subrev_u32_e32 v15, 28, v0
	v_lshlrev_b64 v[15:16], v15, v[2:3]
	v_sub_u32_e32 v0, 29, v0
	v_and_b32_e32 v2, 7, v15
	v_cndmask_b32_e32 v2, v7, v2, vcc
	v_cndmask_b32_e32 v0, v17, v0, vcc
	v_lshlrev_b32_e32 v2, 20, v2
	v_lshl_or_b32 v0, v0, 23, v2
	v_add_u32_e32 v0, 0x3c000000, v0
	v_or_b32_e32 v7, v0, v1
.LBB4_3261:                             ;   in Loop: Header=BB4_3250 Depth=4
	s_or_b64 exec, exec, s[52:53]
.LBB4_3262:                             ;   in Loop: Header=BB4_3250 Depth=4
	s_or_b64 exec, exec, s[50:51]
.LBB4_3263:                             ;   in Loop: Header=BB4_3250 Depth=4
	s_or_b64 exec, exec, s[48:49]
	v_max_f32_e32 v0, v7, v7
	v_max_f32_e32 v2, v14, v14
	;; [unrolled: 1-line block ×3, first 2 shown]
	s_mov_b64 s[48:49], 0
.LBB4_3264:                             ;   in Loop: Header=BB4_3250 Depth=4
	s_and_b64 vcc, exec, s[48:49]
	s_cbranch_vccz .LBB4_3278
; %bb.3265:                             ;   in Loop: Header=BB4_3250 Depth=4
	v_mov_b32_e32 v7, 0
	v_mov_b32_e32 v14, 0
	s_and_saveexec_b64 s[48:49], s[42:43]
	s_cbranch_execz .LBB4_3271
; %bb.3266:                             ;   in Loop: Header=BB4_3250 Depth=4
	v_cmp_ne_u16_e32 vcc, s80, v5
	v_bfrev_b32_e32 v14, 1
	s_and_saveexec_b64 s[42:43], vcc
	s_cbranch_execz .LBB4_3270
; %bb.3267:                             ;   in Loop: Header=BB4_3250 Depth=4
	v_and_b32_e32 v2, 0xffff, v5
	v_and_b32_e32 v0, 0x7f, v2
	v_cmp_ne_u32_e32 vcc, s81, v0
	v_mov_b32_e32 v14, 0x7f800001
	s_and_saveexec_b64 s[50:51], vcc
	s_cbranch_execz .LBB4_3269
; %bb.3268:                             ;   in Loop: Header=BB4_3250 Depth=4
	v_and_b32_e32 v16, 7, v2
	v_lshrrev_b32_e32 v17, 3, v0
	v_cmp_gt_u32_e32 vcc, 8, v0
	v_ffbh_u32_e32 v0, v16
	v_min_u32_e32 v0, 32, v0
	v_subrev_u32_e32 v14, 28, v0
	v_lshlrev_b64 v[14:15], v14, v[2:3]
	v_sub_u32_e32 v0, 29, v0
	v_and_b32_e32 v2, 7, v14
	v_cndmask_b32_e32 v0, v17, v0, vcc
	v_cndmask_b32_e32 v2, v16, v2, vcc
	v_lshlrev_b32_e32 v5, 24, v5
	v_lshlrev_b32_e32 v2, 20, v2
	v_and_b32_e32 v5, 0x80000000, v5
	v_lshl_add_u32 v0, v0, 23, v54
	v_or3_b32 v14, v5, v0, v2
.LBB4_3269:                             ;   in Loop: Header=BB4_3250 Depth=4
	s_or_b64 exec, exec, s[50:51]
.LBB4_3270:                             ;   in Loop: Header=BB4_3250 Depth=4
	s_or_b64 exec, exec, s[42:43]
.LBB4_3271:                             ;   in Loop: Header=BB4_3250 Depth=4
	s_or_b64 exec, exec, s[48:49]
	s_and_saveexec_b64 s[42:43], s[40:41]
	s_cbranch_execz .LBB4_3277
; %bb.3272:                             ;   in Loop: Header=BB4_3250 Depth=4
	v_bfrev_b32_e32 v7, 1
	s_and_saveexec_b64 s[40:41], s[28:29]
	s_cbranch_execz .LBB4_3276
; %bb.3273:                             ;   in Loop: Header=BB4_3250 Depth=4
	v_and_b32_e32 v2, 0xffff, v4
	v_and_b32_e32 v0, 0x7f, v2
	v_cmp_ne_u32_e32 vcc, s81, v0
	v_mov_b32_e32 v7, 0x7f800001
	s_and_saveexec_b64 s[28:29], vcc
	s_cbranch_execz .LBB4_3275
; %bb.3274:                             ;   in Loop: Header=BB4_3250 Depth=4
	v_and_b32_e32 v7, 7, v2
	v_lshrrev_b32_e32 v15, 3, v0
	v_cmp_gt_u32_e32 vcc, 8, v0
	v_ffbh_u32_e32 v0, v7
	v_min_u32_e32 v0, 32, v0
	v_subrev_u32_e32 v4, 28, v0
	v_lshlrev_b64 v[4:5], v4, v[2:3]
	v_sub_u32_e32 v0, 29, v0
	v_and_b32_e32 v2, 7, v4
	v_cndmask_b32_e32 v2, v7, v2, vcc
	v_cndmask_b32_e32 v0, v15, v0, vcc
	v_lshlrev_b32_e32 v2, 20, v2
	v_lshl_or_b32 v0, v0, 23, v2
	v_add_u32_e32 v0, 0x3c000000, v0
	v_or_b32_e32 v7, v0, v1
.LBB4_3275:                             ;   in Loop: Header=BB4_3250 Depth=4
	s_or_b64 exec, exec, s[28:29]
.LBB4_3276:                             ;   in Loop: Header=BB4_3250 Depth=4
	s_or_b64 exec, exec, s[40:41]
.LBB4_3277:                             ;   in Loop: Header=BB4_3250 Depth=4
	s_or_b64 exec, exec, s[42:43]
	v_max_f32_e32 v0, v7, v7
	v_max_f32_e32 v1, v14, v14
	v_min_f32_e32 v7, v1, v0
.LBB4_3278:                             ;   in Loop: Header=BB4_3250 Depth=4
	v_and_b32_e32 v2, 0x7f800000, v7
	v_cmp_ne_u64_e32 vcc, s[76:77], v[2:3]
                                        ; implicit-def: $vgpr2
	s_and_saveexec_b64 s[28:29], vcc
	s_xor_b64 s[40:41], exec, s[28:29]
	s_cbranch_execz .LBB4_3296
; %bb.3279:                             ;   in Loop: Header=BB4_3250 Depth=4
	v_and_b32_e32 v2, 0x7fffffff, v7
	v_cmp_gt_u64_e32 vcc, s[78:79], v[2:3]
	v_and_b32_sdwa v1, v7, s80 dst_sel:DWORD dst_unused:UNUSED_PAD src0_sel:BYTE_3 src1_sel:DWORD
                                        ; implicit-def: $vgpr2
	s_and_saveexec_b64 s[28:29], vcc
	s_xor_b64 s[42:43], exec, s[28:29]
	s_cbranch_execz .LBB4_3293
; %bb.3280:                             ;   in Loop: Header=BB4_3250 Depth=4
	v_cmp_ne_u32_e32 vcc, 0, v7
	v_mov_b32_e32 v2, 0
	s_and_saveexec_b64 s[48:49], vcc
	s_cbranch_execz .LBB4_3292
; %bb.3281:                             ;   in Loop: Header=BB4_3250 Depth=4
	v_and_b32_e32 v2, 0x7fffff, v7
	v_bfe_u32 v7, v7, 23, 8
	v_cmp_gt_u32_e64 s[28:29], s83, v7
	v_sub_u32_e32 v0, 0x79, v7
	v_cmp_eq_u32_e32 vcc, 0, v7
	v_cndmask_b32_e64 v0, 0, v0, s[28:29]
	v_mov_b32_e32 v5, 0x78
	v_or_b32_e32 v4, 0x800000, v2
	v_cndmask_b32_e32 v0, v0, v5, vcc
	v_cndmask_b32_e32 v2, v4, v2, vcc
	v_add_u32_e32 v4, 20, v0
	v_lshlrev_b64 v[4:5], v4, -1
	v_add_u32_e32 v14, 19, v0
	v_lshlrev_b64 v[14:15], v14, 1
	v_bfi_b32 v5, v5, 0, 0
	v_bfi_b32 v4, v4, 0, v2
	v_cmp_eq_u64_e64 s[28:29], v[4:5], v[14:15]
	v_lshrrev_b64 v[14:15], v0, v[2:3]
	v_mov_b32_e32 v4, v14
	v_mov_b32_e32 v5, v15
	s_and_saveexec_b64 s[50:51], s[28:29]
; %bb.3282:                             ;   in Loop: Header=BB4_3250 Depth=4
	v_bfe_u32 v2, v14, 20, 1
	v_add_co_u32_e64 v2, s[28:29], v14, v2
	v_add_co_u32_e64 v4, s[28:29], -1, v2
; %bb.3283:                             ;   in Loop: Header=BB4_3250 Depth=4
	s_or_b64 exec, exec, s[50:51]
	v_add_u32_e32 v2, 0xffffff81, v7
	v_mov_b32_e32 v5, 0xffffff82
	v_cndmask_b32_e32 v2, v2, v5, vcc
	v_lshrrev_b32_e32 v5, 23, v14
	v_add3_u32 v5, v0, v2, v5
	v_add_u32_e32 v0, 6, v5
	v_and_b32_e32 v2, 0xfffff, v4
	v_add_u32_e32 v2, v2, v14
	v_cmp_ne_u32_e32 vcc, 0, v0
                                        ; implicit-def: $vgpr14_vgpr15
                                        ; implicit-def: $vgpr4
	s_and_saveexec_b64 s[28:29], vcc
	s_xor_b64 s[28:29], exec, s[28:29]
; %bb.3284:                             ;   in Loop: Header=BB4_3250 Depth=4
	v_cmp_lt_u64_e32 vcc, s[88:89], v[2:3]
	v_add_u32_e32 v4, 7, v5
	v_cndmask_b32_e32 v4, v0, v4, vcc
	v_cndmask_b32_e64 v0, 0, 1, vcc
	v_lshrrev_b64 v[14:15], v0, v[2:3]
; %bb.3285:                             ;   in Loop: Header=BB4_3250 Depth=4
	s_andn2_saveexec_b64 s[28:29], s[28:29]
; %bb.3286:                             ;   in Loop: Header=BB4_3250 Depth=4
	v_mov_b32_e32 v15, v3
	v_bfe_u32 v4, v2, 23, 1
	v_mov_b32_e32 v14, v2
; %bb.3287:                             ;   in Loop: Header=BB4_3250 Depth=4
	s_or_b64 exec, exec, s[28:29]
	v_lshrrev_b64 v[14:15], 20, v[14:15]
	v_cmp_gt_i32_e32 vcc, 16, v4
	v_cndmask_b32_e32 v15, 0, v15, vcc
	v_cndmask_b32_e32 v14, 7, v14, vcc
	v_cmp_ne_u64_e32 vcc, 0, v[14:15]
	v_cmp_ne_u32_e64 s[28:29], 0, v4
	s_or_b64 s[28:29], s[28:29], vcc
                                        ; implicit-def: $vgpr2
	s_and_saveexec_b64 vcc, s[28:29]
	s_xor_b64 s[28:29], exec, vcc
; %bb.3288:                             ;   in Loop: Header=BB4_3250 Depth=4
	v_min_i32_e32 v0, 15, v4
	v_lshl_or_b32 v0, v0, 3, v1
	v_and_or_b32 v2, v14, 7, v0
                                        ; implicit-def: $vgpr1
; %bb.3289:                             ;   in Loop: Header=BB4_3250 Depth=4
	s_andn2_saveexec_b64 s[28:29], s[28:29]
; %bb.3290:                             ;   in Loop: Header=BB4_3250 Depth=4
	v_mov_b32_e32 v2, v1
; %bb.3291:                             ;   in Loop: Header=BB4_3250 Depth=4
	s_or_b64 exec, exec, s[28:29]
.LBB4_3292:                             ;   in Loop: Header=BB4_3250 Depth=4
	s_or_b64 exec, exec, s[48:49]
                                        ; implicit-def: $vgpr1
.LBB4_3293:                             ;   in Loop: Header=BB4_3250 Depth=4
	s_andn2_saveexec_b64 s[28:29], s[42:43]
; %bb.3294:                             ;   in Loop: Header=BB4_3250 Depth=4
	v_or_b32_e32 v2, 0x7e, v1
; %bb.3295:                             ;   in Loop: Header=BB4_3250 Depth=4
	s_or_b64 exec, exec, s[28:29]
                                        ; implicit-def: $vgpr7
.LBB4_3296:                             ;   in Loop: Header=BB4_3250 Depth=4
	s_andn2_saveexec_b64 s[28:29], s[40:41]
	s_cbranch_execz .LBB4_3249
; %bb.3297:                             ;   in Loop: Header=BB4_3250 Depth=4
	v_or_b32_sdwa v2, v7, s81 dst_sel:DWORD dst_unused:UNUSED_PAD src0_sel:BYTE_3 src1_sel:DWORD
	s_branch .LBB4_3249
.LBB4_3298:                             ;   in Loop: Header=BB4_272 Depth=3
	s_or_b64 exec, exec, s[44:45]
	s_waitcnt vmcnt(0)
	v_cmp_lt_i32_e64 s[28:29], 0, v21
	s_and_saveexec_b64 s[40:41], s[10:11]
	s_cbranch_execz .LBB4_347
.LBB4_3299:                             ;   in Loop: Header=BB4_272 Depth=3
	s_and_saveexec_b64 s[42:43], s[72:73]
	s_xor_b64 s[42:43], exec, s[42:43]
	s_cbranch_execz .LBB4_3314
; %bb.3300:                             ;   in Loop: Header=BB4_272 Depth=3
	s_and_saveexec_b64 s[44:45], s[16:17]
	s_cbranch_execz .LBB4_3313
; %bb.3301:                             ;   in Loop: Header=BB4_272 Depth=3
	s_mov_b64 s[38:39], exec
	v_mbcnt_lo_u32_b32 v0, s38, 0
	v_mbcnt_hi_u32_b32 v0, s39, v0
	v_cmp_eq_u32_e32 vcc, 0, v0
	s_waitcnt vmcnt(0) lgkmcnt(0)
	buffer_wbinvl1_vol
	s_and_saveexec_b64 s[46:47], vcc
	s_cbranch_execz .LBB4_3303
; %bb.3302:                             ;   in Loop: Header=BB4_272 Depth=3
	s_bcnt1_i32_b64 vcc_lo, s[38:39]
	v_mov_b32_e32 v2, vcc_lo
	ds_add_u64 v0, v[2:3]
	s_trap 2
.LBB4_3303:                             ;   in Loop: Header=BB4_272 Depth=3
	s_or_b64 exec, exec, s[46:47]
	s_trap 2
	ds_read_b64 v[0:1], v0
	s_waitcnt lgkmcnt(0)
	v_add_co_u32_e32 v38, vcc, v38, v57
	v_addc_co_u32_e32 v39, vcc, 0, v39, vcc
	v_cmp_lt_u64_e32 vcc, v[0:1], v[38:39]
	s_and_saveexec_b64 s[46:47], vcc
	s_cbranch_execz .LBB4_3312
; %bb.3304:                             ;   in Loop: Header=BB4_272 Depth=3
	s_mov_b32 s64, 0
	s_mov_b64 s[38:39], 0
                                        ; implicit-def: $sgpr48_sgpr49
                                        ; implicit-def: $sgpr50_sgpr51
	s_branch .LBB4_3306
.LBB4_3305:                             ;   in Loop: Header=BB4_3306 Depth=4
	s_or_b64 exec, exec, s[54:55]
	s_and_b64 vcc, exec, vcc
	s_or_b64 s[38:39], vcc, s[38:39]
	s_andn2_b64 vcc, s[48:49], exec
	s_and_b64 s[48:49], s[50:51], exec
	s_or_b64 s[48:49], vcc, s[48:49]
	s_andn2_b64 exec, exec, s[38:39]
	s_cbranch_execz .LBB4_3310
.LBB4_3306:                             ;   Parent Loop BB4_47 Depth=1
                                        ;     Parent Loop BB4_269 Depth=2
                                        ;       Parent Loop BB4_272 Depth=3
                                        ; =>      This Inner Loop Header: Depth=4
	s_add_i32 s64, s64, 1
	s_cmpk_lg_i32 s64, 0x2710
	s_cselect_b64 s[52:53], -1, 0
	s_and_b64 vcc, exec, s[52:53]
	s_cbranch_vccz .LBB4_3308
; %bb.3307:                             ;   in Loop: Header=BB4_3306 Depth=4
	s_mov_b64 vcc, -1
	s_or_b64 s[50:51], s[50:51], exec
	s_and_saveexec_b64 s[54:55], s[52:53]
	s_cbranch_execz .LBB4_3305
	s_branch .LBB4_3309
.LBB4_3308:                             ;   in Loop: Header=BB4_3306 Depth=4
	s_trap 2
	ds_read_b64 v[0:1], v0
	s_andn2_b64 s[52:53], s[52:53], exec
	s_mov_b32 s64, 0
	s_waitcnt lgkmcnt(0)
	flat_load_dword v0, v[0:1] glc
	s_waitcnt vmcnt(0) lgkmcnt(0)
	buffer_wbinvl1_vol
	v_cmp_eq_u32_e32 vcc, 0, v0
	s_and_b64 vcc, vcc, exec
	s_or_b64 s[52:53], s[52:53], vcc
	s_mov_b64 vcc, -1
	s_or_b64 s[50:51], s[50:51], exec
	s_and_saveexec_b64 s[54:55], s[52:53]
	s_cbranch_execz .LBB4_3305
.LBB4_3309:                             ;   in Loop: Header=BB4_3306 Depth=4
	s_sleep 1
	s_trap 2
	ds_read_b64 v[0:1], v0
	s_waitcnt lgkmcnt(0)
	s_andn2_b64 s[50:51], s[50:51], exec
	v_cmp_ge_u64_e32 vcc, v[0:1], v[38:39]
	s_orn2_b64 vcc, vcc, exec
	s_branch .LBB4_3305
.LBB4_3310:                             ;   in Loop: Header=BB4_272 Depth=3
	s_or_b64 exec, exec, s[38:39]
	s_and_saveexec_b64 vcc, s[48:49]
	s_xor_b64 vcc, exec, vcc
	s_cbranch_execz .LBB4_3312
; %bb.3311:                             ;   in Loop: Header=BB4_272 Depth=3
	v_mov_b32_e32 v0, 1
	ds_write_b32 v0, v0
	s_trap 2
.LBB4_3312:                             ;   in Loop: Header=BB4_272 Depth=3
	s_or_b64 exec, exec, s[46:47]
	;;#ASMSTART
	s_wakeup
	;;#ASMEND
.LBB4_3313:                             ;   in Loop: Header=BB4_272 Depth=3
	s_or_b64 exec, exec, s[44:45]
.LBB4_3314:                             ;   in Loop: Header=BB4_272 Depth=3
	s_andn2_saveexec_b64 s[42:43], s[42:43]
	s_cbranch_execz .LBB4_3316
; %bb.3315:                             ;   in Loop: Header=BB4_272 Depth=3
	s_waitcnt vmcnt(0) lgkmcnt(0)
	buffer_wbinvl1_vol
	s_barrier
.LBB4_3316:                             ;   in Loop: Header=BB4_272 Depth=3
	s_or_b64 exec, exec, s[42:43]
	s_or_b64 exec, exec, s[40:41]
                                        ; implicit-def: $vgpr0
	s_and_saveexec_b64 s[40:41], s[24:25]
	s_xor_b64 s[40:41], exec, s[40:41]
	s_cbranch_execnz .LBB4_348
.LBB4_3317:                             ;   in Loop: Header=BB4_272 Depth=3
	s_andn2_saveexec_b64 s[28:29], s[40:41]
	s_cbranch_execz .LBB4_3336
.LBB4_3318:                             ;   in Loop: Header=BB4_272 Depth=3
	s_and_saveexec_b64 s[40:41], s[72:73]
	s_xor_b64 s[40:41], exec, s[40:41]
	s_cbranch_execz .LBB4_3333
; %bb.3319:                             ;   in Loop: Header=BB4_272 Depth=3
	s_and_saveexec_b64 s[42:43], s[16:17]
	s_cbranch_execz .LBB4_3332
; %bb.3320:                             ;   in Loop: Header=BB4_272 Depth=3
	s_mov_b64 s[46:47], exec
	v_mbcnt_lo_u32_b32 v0, s46, 0
	v_mbcnt_hi_u32_b32 v0, s47, v0
	v_cmp_eq_u32_e32 vcc, 0, v0
	;;#ASMSTART
	s_waitcnt lgkmcnt(0) vmcnt(0)
	;;#ASMEND
	s_and_saveexec_b64 s[44:45], vcc
	s_cbranch_execz .LBB4_3322
; %bb.3321:                             ;   in Loop: Header=BB4_272 Depth=3
	s_bcnt1_i32_b64 s46, s[46:47]
	v_mov_b32_e32 v2, s46
	s_waitcnt lgkmcnt(0)
	ds_add_u64 v0, v[2:3]
	s_trap 2
.LBB4_3322:                             ;   in Loop: Header=BB4_272 Depth=3
	s_or_b64 exec, exec, s[44:45]
	s_trap 2
	ds_read_b64 v[0:1], v0
	s_waitcnt lgkmcnt(0)
	v_add_co_u32_e32 v38, vcc, v38, v57
	v_addc_co_u32_e32 v39, vcc, 0, v39, vcc
	v_cmp_lt_u64_e32 vcc, v[0:1], v[38:39]
	s_and_saveexec_b64 s[44:45], vcc
	s_cbranch_execz .LBB4_3331
; %bb.3323:                             ;   in Loop: Header=BB4_272 Depth=3
	s_mov_b32 s54, 0
	s_mov_b64 s[46:47], 0
                                        ; implicit-def: $sgpr38_sgpr39
                                        ; implicit-def: $sgpr48_sgpr49
	s_branch .LBB4_3325
.LBB4_3324:                             ;   in Loop: Header=BB4_3325 Depth=4
	s_or_b64 exec, exec, s[52:53]
	s_and_b64 vcc, exec, vcc
	s_or_b64 s[46:47], vcc, s[46:47]
	s_andn2_b64 vcc, s[38:39], exec
	s_and_b64 s[38:39], s[48:49], exec
	s_or_b64 s[38:39], vcc, s[38:39]
	s_andn2_b64 exec, exec, s[46:47]
	s_cbranch_execz .LBB4_3329
.LBB4_3325:                             ;   Parent Loop BB4_47 Depth=1
                                        ;     Parent Loop BB4_269 Depth=2
                                        ;       Parent Loop BB4_272 Depth=3
                                        ; =>      This Inner Loop Header: Depth=4
	s_add_i32 s54, s54, 1
	s_cmpk_lg_i32 s54, 0x2710
	s_cselect_b64 s[50:51], -1, 0
	s_and_b64 vcc, exec, s[50:51]
	s_cbranch_vccz .LBB4_3327
; %bb.3326:                             ;   in Loop: Header=BB4_3325 Depth=4
	s_mov_b64 vcc, -1
	s_or_b64 s[48:49], s[48:49], exec
	s_and_saveexec_b64 s[52:53], s[50:51]
	s_cbranch_execz .LBB4_3324
	s_branch .LBB4_3328
.LBB4_3327:                             ;   in Loop: Header=BB4_3325 Depth=4
	s_trap 2
	ds_read_b64 v[0:1], v0
	s_andn2_b64 s[50:51], s[50:51], exec
	s_mov_b32 s54, 0
	s_waitcnt vmcnt(0) lgkmcnt(0)
	flat_load_dword v0, v[0:1] glc
	s_waitcnt vmcnt(0) lgkmcnt(0)
	buffer_wbinvl1_vol
	v_cmp_eq_u32_e32 vcc, 0, v0
	s_and_b64 vcc, vcc, exec
	s_or_b64 s[50:51], s[50:51], vcc
	s_mov_b64 vcc, -1
	s_or_b64 s[48:49], s[48:49], exec
	s_and_saveexec_b64 s[52:53], s[50:51]
	s_cbranch_execz .LBB4_3324
.LBB4_3328:                             ;   in Loop: Header=BB4_3325 Depth=4
	s_sleep 1
	s_trap 2
	ds_read_b64 v[0:1], v0
	s_waitcnt lgkmcnt(0)
	s_andn2_b64 s[48:49], s[48:49], exec
	v_cmp_ge_u64_e32 vcc, v[0:1], v[38:39]
	s_orn2_b64 vcc, vcc, exec
	s_branch .LBB4_3324
.LBB4_3329:                             ;   in Loop: Header=BB4_272 Depth=3
	s_or_b64 exec, exec, s[46:47]
	s_and_saveexec_b64 s[46:47], s[38:39]
	s_xor_b64 s[46:47], exec, s[46:47]
	s_cbranch_execz .LBB4_3331
; %bb.3330:                             ;   in Loop: Header=BB4_272 Depth=3
	v_mov_b32_e32 v0, 1
	ds_write_b32 v0, v0
	s_trap 2
.LBB4_3331:                             ;   in Loop: Header=BB4_272 Depth=3
	s_or_b64 exec, exec, s[44:45]
	;;#ASMSTART
	s_wakeup
	;;#ASMEND
.LBB4_3332:                             ;   in Loop: Header=BB4_272 Depth=3
	s_or_b64 exec, exec, s[42:43]
.LBB4_3333:                             ;   in Loop: Header=BB4_272 Depth=3
	s_andn2_saveexec_b64 s[40:41], s[40:41]
	s_cbranch_execz .LBB4_3335
; %bb.3334:                             ;   in Loop: Header=BB4_272 Depth=3
	;;#ASMSTART
	s_waitcnt lgkmcnt(0) vmcnt(0)
	;;#ASMEND
	s_waitcnt vmcnt(0) lgkmcnt(0)
	s_barrier
.LBB4_3335:                             ;   in Loop: Header=BB4_272 Depth=3
	s_or_b64 exec, exec, s[40:41]
	v_and_b32_e32 v0, 16, v52
.LBB4_3336:                             ;   in Loop: Header=BB4_272 Depth=3
	s_or_b64 exec, exec, s[28:29]
	v_cmp_ne_u32_e32 vcc, 0, v0
	s_xor_b64 s[28:29], s[12:13], -1
	s_and_b64 s[40:41], vcc, s[28:29]
	s_and_saveexec_b64 s[28:29], s[40:41]
	s_cbranch_execz .LBB4_3338
; %bb.3337:                             ;   in Loop: Header=BB4_272 Depth=3
	buffer_load_dword v0, off, s[0:3], s33 offset:104 ; 4-byte Folded Reload
	buffer_load_dword v1, off, s[0:3], s33 offset:108 ; 4-byte Folded Reload
	v_mov_b32_e32 v2, 1
	s_waitcnt vmcnt(0)
	flat_store_dword v[0:1], v2
.LBB4_3338:                             ;   in Loop: Header=BB4_272 Depth=3
	s_or_b64 exec, exec, s[28:29]
	v_and_b32_e32 v0, 48, v52
	v_cmp_ne_u32_e32 vcc, 0, v0
	s_and_saveexec_b64 s[28:29], vcc
	s_cbranch_execz .LBB4_271
; %bb.3339:                             ;   in Loop: Header=BB4_272 Depth=3
	buffer_load_dword v0, off, s[0:3], s33 offset:56 ; 4-byte Folded Reload
	buffer_load_dword v1, off, s[0:3], s33 offset:60 ; 4-byte Folded Reload
	s_waitcnt vmcnt(0)
	v_add_co_u32_e32 v0, vcc, 2, v0
	v_addc_co_u32_e32 v1, vcc, 0, v1, vcc
	buffer_store_dword v0, off, s[0:3], s33 offset:56 ; 4-byte Folded Spill
	s_nop 0
	buffer_store_dword v1, off, s[0:3], s33 offset:60 ; 4-byte Folded Spill
	flat_store_dwordx2 v[32:33], v[0:1]
	s_branch .LBB4_271
.LBB4_3340:                             ;   in Loop: Header=BB4_269 Depth=2
	s_or_b64 exec, exec, s[34:35]
.LBB4_3341:                             ;   in Loop: Header=BB4_269 Depth=2
	s_or_b64 exec, exec, s[30:31]
	v_cmp_gt_i32_e32 vcc, 2, v1
	s_and_saveexec_b64 s[40:41], vcc
	s_cbranch_execz .LBB4_268
; %bb.3342:                             ;   in Loop: Header=BB4_269 Depth=2
	v_cmp_eq_u32_e64 s[44:45], 0, v1
	s_mov_b64 s[42:43], 0
	s_branch .LBB4_3344
.LBB4_3343:                             ;   in Loop: Header=BB4_3344 Depth=3
	s_or_b64 exec, exec, s[28:29]
	v_add_u32_e32 v51, v44, v51
	s_mov_b64 s[44:45], 0
	s_andn2_b64 exec, exec, s[42:43]
	s_cbranch_execz .LBB4_267
.LBB4_3344:                             ;   Parent Loop BB4_47 Depth=1
                                        ;     Parent Loop BB4_269 Depth=2
                                        ; =>    This Loop Header: Depth=3
                                        ;         Child Loop BB4_3350 Depth 4
                                        ;         Child Loop BB4_3378 Depth 4
	;; [unrolled: 1-line block ×3, first 2 shown]
	v_sub_u32_e32 v0, v20, v51
	v_min_i32_e32 v44, v44, v0
	v_and_b32_e32 v0, 12, v52
	v_cmp_ne_u32_e32 vcc, 0, v0
	s_and_saveexec_b64 s[46:47], vcc
	s_cbranch_execz .LBB4_3370
; %bb.3345:                             ;   in Loop: Header=BB4_3344 Depth=3
	buffer_load_dword v6, off, s[0:3], s33 offset:56 ; 4-byte Folded Reload
	buffer_load_dword v7, off, s[0:3], s33 offset:60 ; 4-byte Folded Reload
	v_and_b32_e32 v1, 8, v52
	s_waitcnt lgkmcnt(0)
	v_add_co_u32_e32 v4, vcc, v48, v1
	v_addc_co_u32_e32 v5, vcc, 0, v49, vcc
	s_waitcnt vmcnt(0)
	v_add_co_u32_e32 v8, vcc, 2, v6
	v_addc_co_u32_e32 v9, vcc, 0, v7, vcc
	v_cmp_lt_u64_e32 vcc, v[4:5], v[8:9]
	s_and_saveexec_b64 s[30:31], vcc
	s_cbranch_execz .LBB4_3357
; %bb.3346:                             ;   in Loop: Header=BB4_3344 Depth=3
	v_and_b32_e32 v0, 64, v52
	s_mov_b32 s57, 0
	v_cmp_eq_u32_e32 vcc, 0, v0
	s_mov_b64 s[34:35], 0
                                        ; implicit-def: $sgpr36_sgpr37
                                        ; implicit-def: $sgpr38_sgpr39
                                        ; implicit-def: $sgpr48_sgpr49
	s_branch .LBB4_3350
.LBB4_3347:                             ;   in Loop: Header=BB4_3350 Depth=4
	s_waitcnt vmcnt(0) lgkmcnt(0)
	v_add_co_u32_e64 v4, s[28:29], v48, v1
	v_addc_co_u32_e64 v5, s[28:29], 0, v49, s[28:29]
	v_cmp_ge_u64_e64 s[28:29], v[4:5], v[8:9]
	s_or_b64 s[54:55], s[54:55], exec
	s_orn2_b64 s[52:53], s[28:29], exec
.LBB4_3348:                             ;   in Loop: Header=BB4_3350 Depth=4
	s_or_b64 exec, exec, s[66:67]
	s_andn2_b64 s[28:29], s[48:49], exec
	s_and_b64 s[48:49], s[54:55], exec
	s_or_b64 s[48:49], s[28:29], s[48:49]
	s_andn2_b64 s[28:29], s[38:39], exec
	s_and_b64 s[38:39], s[52:53], exec
	s_or_b64 s[38:39], s[28:29], s[38:39]
.LBB4_3349:                             ;   in Loop: Header=BB4_3350 Depth=4
	s_or_b64 exec, exec, s[50:51]
	s_and_b64 s[28:29], exec, s[38:39]
	s_or_b64 s[34:35], s[28:29], s[34:35]
	s_andn2_b64 s[28:29], s[36:37], exec
	s_and_b64 s[36:37], s[48:49], exec
	s_or_b64 s[36:37], s[28:29], s[36:37]
	s_andn2_b64 exec, exec, s[34:35]
	s_cbranch_execz .LBB4_3354
.LBB4_3350:                             ;   Parent Loop BB4_47 Depth=1
                                        ;     Parent Loop BB4_269 Depth=2
                                        ;       Parent Loop BB4_3344 Depth=3
                                        ; =>      This Inner Loop Header: Depth=4
	s_sleep 1
	s_waitcnt vmcnt(0) lgkmcnt(0)
	flat_load_dwordx2 v[48:49], v[32:33] glc
	s_or_b64 s[48:49], s[48:49], exec
	s_or_b64 s[38:39], s[38:39], exec
                                        ; implicit-def: $vgpr2
	s_and_saveexec_b64 s[50:51], vcc
	s_cbranch_execz .LBB4_3349
; %bb.3351:                             ;   in Loop: Header=BB4_3350 Depth=4
	s_cmpk_lt_i32 s57, 0x270f
	s_cselect_b64 s[64:65], -1, 0
	s_cmpk_gt_i32 s57, 0x270e
	s_mov_b64 s[52:53], -1
	s_cbranch_scc0 .LBB4_3353
; %bb.3352:                             ;   in Loop: Header=BB4_3350 Depth=4
	s_trap 2
	ds_read_b64 v[4:5], v0
	s_andn2_b64 s[64:65], s[64:65], exec
	s_mov_b32 s57, 0
	s_mov_b64 s[54:55], 0
	s_waitcnt vmcnt(0) lgkmcnt(0)
	flat_load_dword v2, v[4:5] glc
	s_waitcnt vmcnt(0) lgkmcnt(0)
	buffer_wbinvl1_vol
	v_cmp_eq_u32_e64 s[28:29], 0, v2
	s_and_b64 s[28:29], s[28:29], exec
	s_or_b64 s[64:65], s[64:65], s[28:29]
	s_and_saveexec_b64 s[66:67], s[64:65]
	s_cbranch_execz .LBB4_3348
	s_branch .LBB4_3347
.LBB4_3353:                             ;   in Loop: Header=BB4_3350 Depth=4
	s_add_i32 s57, s57, 1
	s_mov_b64 s[54:55], -1
                                        ; implicit-def: $vgpr2
	s_and_saveexec_b64 s[66:67], s[64:65]
	s_cbranch_execz .LBB4_3348
	s_branch .LBB4_3347
.LBB4_3354:                             ;   in Loop: Header=BB4_3344 Depth=3
	s_or_b64 exec, exec, s[34:35]
	s_xor_b64 s[28:29], s[36:37], -1
	s_and_saveexec_b64 vcc, s[28:29]
	s_xor_b64 s[28:29], exec, vcc
	s_cbranch_execz .LBB4_3356
; %bb.3355:                             ;   in Loop: Header=BB4_3344 Depth=3
	v_or_b32_e32 v52, 64, v52
	s_waitcnt lgkmcnt(0)
	ds_write_b32 v0, v2
	s_trap 2
.LBB4_3356:                             ;   in Loop: Header=BB4_3344 Depth=3
	s_or_b64 exec, exec, s[28:29]
.LBB4_3357:                             ;   in Loop: Header=BB4_3344 Depth=3
	s_or_b64 exec, exec, s[30:31]
	v_and_b32_e32 v0, 0x108, v52
	v_cmp_ne_u32_e32 vcc, s71, v0
	;;#ASMSTART
	s_wakeup
	;;#ASMEND
	s_and_saveexec_b64 s[28:29], vcc
	s_xor_b64 s[28:29], exec, s[28:29]
                                        ; implicit-def: $vgpr2
	s_cbranch_execz .LBB4_3359
; %bb.3358:                             ;   in Loop: Header=BB4_3344 Depth=3
	buffer_load_dword v4, off, s[0:3], s33 offset:56 ; 4-byte Folded Reload
	buffer_load_dword v5, off, s[0:3], s33 offset:60 ; 4-byte Folded Reload
	s_waitcnt vmcnt(0)
	v_and_b32_e32 v2, 7, v4
                                        ; implicit-def: $vgpr4_vgpr5
                                        ; kill: killed $vgpr4_vgpr5
.LBB4_3359:                             ;   in Loop: Header=BB4_3344 Depth=3
	s_andn2_saveexec_b64 s[28:29], s[28:29]
	s_cbranch_execz .LBB4_3361
; %bb.3360:                             ;   in Loop: Header=BB4_3344 Depth=3
	buffer_load_dword v4, off, s[0:3], s33 offset:56 ; 4-byte Folded Reload
	buffer_load_dword v5, off, s[0:3], s33 offset:60 ; 4-byte Folded Reload
	v_ashrrev_i32_e32 v45, 31, v44
	s_waitcnt vmcnt(0)
	v_and_b32_e32 v2, 7, v4
	buffer_load_dword v4, off, s[0:3], s33 offset:88 ; 4-byte Folded Reload
	buffer_load_dword v5, off, s[0:3], s33 offset:92 ; 4-byte Folded Reload
	;; [unrolled: 1-line block ×4, first 2 shown]
	s_waitcnt vmcnt(0)
	v_mad_u64_u32 v[4:5], vcc, v2, 24, v[4:5]
	flat_store_dwordx2 v[4:5], v[44:45] offset:8
.LBB4_3361:                             ;   in Loop: Header=BB4_3344 Depth=3
	s_or_b64 exec, exec, s[28:29]
	v_and_b32_e32 v0, 0x100, v52
	v_cmp_ne_u32_e32 vcc, 0, v0
	s_mov_b64 s[28:29], -1
                                        ; implicit-def: $vgpr10_vgpr11
	s_and_saveexec_b64 s[30:31], vcc
	s_cbranch_execz .LBB4_3365
; %bb.3362:                             ;   in Loop: Header=BB4_3344 Depth=3
	buffer_load_dword v4, off, s[0:3], s33 offset:88 ; 4-byte Folded Reload
	buffer_load_dword v5, off, s[0:3], s33 offset:92 ; 4-byte Folded Reload
	;; [unrolled: 1-line block ×4, first 2 shown]
                                        ; implicit-def: $vgpr10_vgpr11
	s_waitcnt vmcnt(0)
	v_mad_u64_u32 v[4:5], s[28:29], v2, 24, v[4:5]
	v_mov_b32_e32 v0, v5
	v_mad_u64_u32 v[5:6], s[28:29], v3, 24, v[0:1]
	flat_load_dword v0, v[4:5]
	s_waitcnt vmcnt(0) lgkmcnt(0)
	v_cmp_ne_u32_e32 vcc, 1, v0
	v_cmp_eq_u32_e64 s[28:29], 1, v0
	s_and_saveexec_b64 s[34:35], s[28:29]
	s_cbranch_execz .LBB4_3364
; %bb.3363:                             ;   in Loop: Header=BB4_3344 Depth=3
	flat_load_dword v10, v[4:5] offset:4 glc
	s_waitcnt vmcnt(0) lgkmcnt(0)
	v_ashrrev_i32_e32 v11, 31, v10
.LBB4_3364:                             ;   in Loop: Header=BB4_3344 Depth=3
	s_or_b64 exec, exec, s[34:35]
	s_orn2_b64 s[28:29], vcc, exec
.LBB4_3365:                             ;   in Loop: Header=BB4_3344 Depth=3
	s_or_b64 exec, exec, s[30:31]
	s_and_saveexec_b64 vcc, s[28:29]
	s_cbranch_execz .LBB4_3367
; %bb.3366:                             ;   in Loop: Header=BB4_3344 Depth=3
	buffer_load_dword v5, off, s[0:3], s33 offset:112 ; 4-byte Folded Reload
	buffer_load_dword v4, off, s[0:3], s33 offset:132 ; 4-byte Folded Reload
	s_waitcnt vmcnt(0)
	v_mul_lo_u32 v0, v3, v5
	v_mul_lo_u32 v4, v2, v4
	v_mad_u64_u32 v[10:11], s[28:29], v2, v5, 0
	v_add3_u32 v11, v11, v4, v0
.LBB4_3367:                             ;   in Loop: Header=BB4_3344 Depth=3
	s_or_b64 exec, exec, vcc
	v_cmp_eq_u32_e32 vcc, 0, v1
	v_mov_b32_e32 v0, 0xc8
	v_mov_b32_e32 v1, 0x90
	v_cndmask_b32_e32 v2, v0, v1, vcc
	buffer_load_dword v0, off, s[0:3], s33 offset:80 ; 4-byte Folded Reload
	buffer_load_dword v1, off, s[0:3], s33 offset:84 ; 4-byte Folded Reload
	s_waitcnt vmcnt(0)
	v_add_co_u32_e32 v0, vcc, v0, v10
	v_addc_co_u32_e32 v1, vcc, v1, v11, vcc
	v_add_u32_e32 v2, v0, v2
	ds_write_b64 v2, v[0:1] offset:584
	v_and_b32_e32 v0, 0x2000, v52
	v_cmp_ne_u32_e32 vcc, 0, v0
	s_and_saveexec_b64 s[28:29], vcc
	s_cbranch_execz .LBB4_3369
; %bb.3368:                             ;   in Loop: Header=BB4_3344 Depth=3
	ds_read_b64 v[0:1], v0 offset:872
	s_waitcnt lgkmcnt(0)
	v_add_co_u32_e32 v0, vcc, 1, v0
	v_addc_co_u32_e32 v1, vcc, 0, v1, vcc
	ds_write_b64 v0, v[0:1] offset:872
.LBB4_3369:                             ;   in Loop: Header=BB4_3344 Depth=3
	s_or_b64 exec, exec, s[28:29]
	buffer_store_dword v8, off, s[0:3], s33 offset:56 ; 4-byte Folded Spill
	s_nop 0
	buffer_store_dword v9, off, s[0:3], s33 offset:60 ; 4-byte Folded Spill
.LBB4_3370:                             ;   in Loop: Header=BB4_3344 Depth=3
	s_or_b64 exec, exec, s[46:47]
	s_xor_b64 s[28:29], s[44:45], -1
	s_and_b64 s[28:29], exec, s[28:29]
	s_or_b64 s[42:43], s[28:29], s[42:43]
	s_and_saveexec_b64 s[28:29], s[10:11]
	s_cbranch_execz .LBB4_3389
; %bb.3371:                             ;   in Loop: Header=BB4_3344 Depth=3
	s_and_saveexec_b64 s[44:45], s[72:73]
	s_xor_b64 s[44:45], exec, s[44:45]
	s_cbranch_execz .LBB4_3386
; %bb.3372:                             ;   in Loop: Header=BB4_3344 Depth=3
	s_and_saveexec_b64 s[46:47], s[16:17]
	s_cbranch_execz .LBB4_3385
; %bb.3373:                             ;   in Loop: Header=BB4_3344 Depth=3
	s_mov_b64 s[34:35], exec
	v_mbcnt_lo_u32_b32 v0, s34, 0
	v_mbcnt_hi_u32_b32 v0, s35, v0
	v_cmp_eq_u32_e32 vcc, 0, v0
	s_waitcnt vmcnt(0) lgkmcnt(0)
	buffer_wbinvl1_vol
	s_and_saveexec_b64 s[30:31], vcc
	s_cbranch_execz .LBB4_3375
; %bb.3374:                             ;   in Loop: Header=BB4_3344 Depth=3
	s_bcnt1_i32_b64 s57, s[34:35]
	v_mov_b32_e32 v2, s57
	ds_add_u64 v0, v[2:3]
	s_trap 2
.LBB4_3375:                             ;   in Loop: Header=BB4_3344 Depth=3
	s_or_b64 exec, exec, s[30:31]
	s_trap 2
	ds_read_b64 v[0:1], v0
	s_waitcnt lgkmcnt(0)
	v_add_co_u32_e32 v38, vcc, v38, v57
	v_addc_co_u32_e32 v39, vcc, 0, v39, vcc
	v_cmp_lt_u64_e32 vcc, v[0:1], v[38:39]
	s_and_saveexec_b64 s[30:31], vcc
	s_cbranch_execz .LBB4_3384
; %bb.3376:                             ;   in Loop: Header=BB4_3344 Depth=3
	s_mov_b32 s57, 0
	s_mov_b64 s[34:35], 0
                                        ; implicit-def: $sgpr36_sgpr37
                                        ; implicit-def: $sgpr38_sgpr39
	s_branch .LBB4_3378
.LBB4_3377:                             ;   in Loop: Header=BB4_3378 Depth=4
	s_or_b64 exec, exec, s[50:51]
	s_and_b64 vcc, exec, vcc
	s_or_b64 s[34:35], vcc, s[34:35]
	s_andn2_b64 vcc, s[36:37], exec
	s_and_b64 s[36:37], s[38:39], exec
	s_or_b64 s[36:37], vcc, s[36:37]
	s_andn2_b64 exec, exec, s[34:35]
	s_cbranch_execz .LBB4_3382
.LBB4_3378:                             ;   Parent Loop BB4_47 Depth=1
                                        ;     Parent Loop BB4_269 Depth=2
                                        ;       Parent Loop BB4_3344 Depth=3
                                        ; =>      This Inner Loop Header: Depth=4
	s_add_i32 s57, s57, 1
	s_cmpk_lg_i32 s57, 0x2710
	s_cselect_b64 s[48:49], -1, 0
	s_and_b64 vcc, exec, s[48:49]
	s_cbranch_vccz .LBB4_3380
; %bb.3379:                             ;   in Loop: Header=BB4_3378 Depth=4
	s_mov_b64 vcc, -1
	s_or_b64 s[38:39], s[38:39], exec
	s_and_saveexec_b64 s[50:51], s[48:49]
	s_cbranch_execz .LBB4_3377
	s_branch .LBB4_3381
.LBB4_3380:                             ;   in Loop: Header=BB4_3378 Depth=4
	s_trap 2
	ds_read_b64 v[0:1], v0
	s_andn2_b64 s[48:49], s[48:49], exec
	s_mov_b32 s57, 0
	s_waitcnt lgkmcnt(0)
	flat_load_dword v0, v[0:1] glc
	s_waitcnt vmcnt(0) lgkmcnt(0)
	buffer_wbinvl1_vol
	v_cmp_eq_u32_e32 vcc, 0, v0
	s_and_b64 vcc, vcc, exec
	s_or_b64 s[48:49], s[48:49], vcc
	s_mov_b64 vcc, -1
	s_or_b64 s[38:39], s[38:39], exec
	s_and_saveexec_b64 s[50:51], s[48:49]
	s_cbranch_execz .LBB4_3377
.LBB4_3381:                             ;   in Loop: Header=BB4_3378 Depth=4
	s_sleep 1
	s_trap 2
	ds_read_b64 v[0:1], v0
	s_waitcnt lgkmcnt(0)
	s_andn2_b64 s[38:39], s[38:39], exec
	v_cmp_ge_u64_e32 vcc, v[0:1], v[38:39]
	s_orn2_b64 vcc, vcc, exec
	s_branch .LBB4_3377
.LBB4_3382:                             ;   in Loop: Header=BB4_3344 Depth=3
	s_or_b64 exec, exec, s[34:35]
	s_and_saveexec_b64 vcc, s[36:37]
	s_xor_b64 vcc, exec, vcc
	s_cbranch_execz .LBB4_3384
; %bb.3383:                             ;   in Loop: Header=BB4_3344 Depth=3
	v_mov_b32_e32 v0, 1
	ds_write_b32 v0, v0
	s_trap 2
.LBB4_3384:                             ;   in Loop: Header=BB4_3344 Depth=3
	s_or_b64 exec, exec, s[30:31]
	;;#ASMSTART
	s_wakeup
	;;#ASMEND
.LBB4_3385:                             ;   in Loop: Header=BB4_3344 Depth=3
	s_or_b64 exec, exec, s[46:47]
.LBB4_3386:                             ;   in Loop: Header=BB4_3344 Depth=3
	s_andn2_saveexec_b64 s[44:45], s[44:45]
	s_cbranch_execz .LBB4_3388
; %bb.3387:                             ;   in Loop: Header=BB4_3344 Depth=3
	s_waitcnt vmcnt(0) lgkmcnt(0)
	buffer_wbinvl1_vol
	s_barrier
.LBB4_3388:                             ;   in Loop: Header=BB4_3344 Depth=3
	s_or_b64 exec, exec, s[44:45]
.LBB4_3389:                             ;   in Loop: Header=BB4_3344 Depth=3
	s_or_b64 exec, exec, s[28:29]
                                        ; implicit-def: $vgpr1
	s_and_saveexec_b64 s[28:29], s[92:93]
	s_xor_b64 s[28:29], exec, s[28:29]
	s_cbranch_execz .LBB4_3401
; %bb.3390:                             ;   in Loop: Header=BB4_3344 Depth=3
	s_and_saveexec_b64 s[44:45], s[72:73]
	s_xor_b64 s[44:45], exec, s[44:45]
	s_cbranch_execz .LBB4_3406
; %bb.3391:                             ;   in Loop: Header=BB4_3344 Depth=3
	s_and_saveexec_b64 s[46:47], s[16:17]
	s_cbranch_execz .LBB4_3405
; %bb.3392:                             ;   in Loop: Header=BB4_3344 Depth=3
	s_mov_b64 s[34:35], exec
	v_mbcnt_lo_u32_b32 v0, s34, 0
	v_mbcnt_hi_u32_b32 v0, s35, v0
	v_cmp_eq_u32_e32 vcc, 0, v0
	;;#ASMSTART
	s_waitcnt lgkmcnt(0) vmcnt(0)
	;;#ASMEND
	s_and_saveexec_b64 s[30:31], vcc
	s_cbranch_execz .LBB4_3394
; %bb.3393:                             ;   in Loop: Header=BB4_3344 Depth=3
	s_bcnt1_i32_b64 s57, s[34:35]
	v_mov_b32_e32 v2, s57
	s_waitcnt lgkmcnt(0)
	ds_add_u64 v0, v[2:3]
	s_trap 2
.LBB4_3394:                             ;   in Loop: Header=BB4_3344 Depth=3
	s_or_b64 exec, exec, s[30:31]
	s_trap 2
	ds_read_b64 v[0:1], v0
	s_waitcnt lgkmcnt(0)
	v_add_co_u32_e32 v38, vcc, v38, v57
	v_addc_co_u32_e32 v39, vcc, 0, v39, vcc
	v_cmp_lt_u64_e32 vcc, v[0:1], v[38:39]
	s_and_saveexec_b64 s[30:31], vcc
	s_cbranch_execz .LBB4_3404
; %bb.3395:                             ;   in Loop: Header=BB4_3344 Depth=3
	s_mov_b32 s57, 0
	s_mov_b64 s[34:35], 0
                                        ; implicit-def: $sgpr36_sgpr37
                                        ; implicit-def: $sgpr38_sgpr39
	s_branch .LBB4_3397
.LBB4_3396:                             ;   in Loop: Header=BB4_3397 Depth=4
	s_or_b64 exec, exec, s[50:51]
	s_and_b64 vcc, exec, vcc
	s_or_b64 s[34:35], vcc, s[34:35]
	s_andn2_b64 vcc, s[36:37], exec
	s_and_b64 s[36:37], s[38:39], exec
	s_or_b64 s[36:37], vcc, s[36:37]
	s_andn2_b64 exec, exec, s[34:35]
	s_cbranch_execz .LBB4_3402
.LBB4_3397:                             ;   Parent Loop BB4_47 Depth=1
                                        ;     Parent Loop BB4_269 Depth=2
                                        ;       Parent Loop BB4_3344 Depth=3
                                        ; =>      This Inner Loop Header: Depth=4
	s_add_i32 s57, s57, 1
	s_cmpk_lg_i32 s57, 0x2710
	s_cselect_b64 s[48:49], -1, 0
	s_and_b64 vcc, exec, s[48:49]
	s_cbranch_vccz .LBB4_3399
; %bb.3398:                             ;   in Loop: Header=BB4_3397 Depth=4
	s_mov_b64 vcc, -1
	s_or_b64 s[38:39], s[38:39], exec
	s_and_saveexec_b64 s[50:51], s[48:49]
	s_cbranch_execz .LBB4_3396
	s_branch .LBB4_3400
.LBB4_3399:                             ;   in Loop: Header=BB4_3397 Depth=4
	s_trap 2
	ds_read_b64 v[0:1], v0
	s_andn2_b64 s[48:49], s[48:49], exec
	s_mov_b32 s57, 0
	s_waitcnt vmcnt(0) lgkmcnt(0)
	flat_load_dword v0, v[0:1] glc
	s_waitcnt vmcnt(0) lgkmcnt(0)
	buffer_wbinvl1_vol
	v_cmp_eq_u32_e32 vcc, 0, v0
	s_and_b64 vcc, vcc, exec
	s_or_b64 s[48:49], s[48:49], vcc
	s_mov_b64 vcc, -1
	s_or_b64 s[38:39], s[38:39], exec
	s_and_saveexec_b64 s[50:51], s[48:49]
	s_cbranch_execz .LBB4_3396
.LBB4_3400:                             ;   in Loop: Header=BB4_3397 Depth=4
	s_sleep 1
	s_trap 2
	ds_read_b64 v[0:1], v0
	s_waitcnt lgkmcnt(0)
	s_andn2_b64 s[38:39], s[38:39], exec
	v_cmp_ge_u64_e32 vcc, v[0:1], v[38:39]
	s_orn2_b64 vcc, vcc, exec
	s_branch .LBB4_3396
.LBB4_3401:                             ;   in Loop: Header=BB4_3344 Depth=3
	s_andn2_saveexec_b64 s[28:29], s[28:29]
	s_cbranch_execnz .LBB4_3409
	s_branch .LBB4_3412
.LBB4_3402:                             ;   in Loop: Header=BB4_3344 Depth=3
	s_or_b64 exec, exec, s[34:35]
	s_and_saveexec_b64 vcc, s[36:37]
	s_xor_b64 vcc, exec, vcc
	s_cbranch_execz .LBB4_3404
; %bb.3403:                             ;   in Loop: Header=BB4_3344 Depth=3
	v_mov_b32_e32 v0, 1
	ds_write_b32 v0, v0
	s_trap 2
.LBB4_3404:                             ;   in Loop: Header=BB4_3344 Depth=3
	s_or_b64 exec, exec, s[30:31]
	;;#ASMSTART
	s_wakeup
	;;#ASMEND
.LBB4_3405:                             ;   in Loop: Header=BB4_3344 Depth=3
	s_or_b64 exec, exec, s[46:47]
.LBB4_3406:                             ;   in Loop: Header=BB4_3344 Depth=3
	s_andn2_saveexec_b64 s[44:45], s[44:45]
	s_cbranch_execz .LBB4_3408
; %bb.3407:                             ;   in Loop: Header=BB4_3344 Depth=3
	;;#ASMSTART
	s_waitcnt lgkmcnt(0) vmcnt(0)
	;;#ASMEND
	s_waitcnt vmcnt(0) lgkmcnt(0)
	s_barrier
.LBB4_3408:                             ;   in Loop: Header=BB4_3344 Depth=3
	s_or_b64 exec, exec, s[44:45]
	v_and_b32_e32 v1, 16, v52
	s_andn2_saveexec_b64 s[28:29], s[28:29]
	s_cbranch_execz .LBB4_3412
.LBB4_3409:                             ;   in Loop: Header=BB4_3344 Depth=3
	s_trap 2
	ds_read_b32 v0, v0
	v_cmp_lt_i32_e32 vcc, 0, v44
	v_and_b32_e32 v1, 16, v52
	s_waitcnt lgkmcnt(0)
	v_readfirstlane_b32 s44, v0
	s_cmp_eq_u32 s44, 0
	s_cselect_b64 s[44:45], -1, 0
	v_and_b32_e32 v0, 16, v52
	s_and_b64 s[44:45], vcc, s[44:45]
	v_cmp_ne_u32_e32 vcc, 0, v0
	s_and_b64 s[46:47], vcc, s[44:45]
	s_and_saveexec_b64 s[44:45], s[46:47]
	s_cbranch_execz .LBB4_3411
; %bb.3410:                             ;   in Loop: Header=BB4_3344 Depth=3
	v_mov_b32_e32 v1, 1
	s_waitcnt vmcnt(0)
	buffer_wbinvl1_vol
.LBB4_3411:                             ;   in Loop: Header=BB4_3344 Depth=3
	s_or_b64 exec, exec, s[44:45]
.LBB4_3412:                             ;   in Loop: Header=BB4_3344 Depth=3
	s_or_b64 exec, exec, s[28:29]
	v_cmp_ne_u32_e32 vcc, 0, v1
	s_xor_b64 s[28:29], s[12:13], -1
	s_and_b64 s[44:45], vcc, s[28:29]
	s_and_saveexec_b64 s[28:29], s[44:45]
	s_cbranch_execz .LBB4_3414
; %bb.3413:                             ;   in Loop: Header=BB4_3344 Depth=3
	buffer_load_dword v0, off, s[0:3], s33 offset:104 ; 4-byte Folded Reload
	buffer_load_dword v1, off, s[0:3], s33 offset:108 ; 4-byte Folded Reload
	v_mov_b32_e32 v2, 1
	s_waitcnt vmcnt(0)
	flat_store_dword v[0:1], v2
.LBB4_3414:                             ;   in Loop: Header=BB4_3344 Depth=3
	s_or_b64 exec, exec, s[28:29]
	v_and_b32_e32 v0, 48, v52
	v_cmp_ne_u32_e32 vcc, 0, v0
	s_and_saveexec_b64 s[28:29], vcc
	s_cbranch_execz .LBB4_3343
; %bb.3415:                             ;   in Loop: Header=BB4_3344 Depth=3
	buffer_load_dword v0, off, s[0:3], s33 offset:56 ; 4-byte Folded Reload
	buffer_load_dword v1, off, s[0:3], s33 offset:60 ; 4-byte Folded Reload
	s_waitcnt vmcnt(0)
	v_add_co_u32_e32 v0, vcc, 2, v0
	v_addc_co_u32_e32 v1, vcc, 0, v1, vcc
	buffer_store_dword v0, off, s[0:3], s33 offset:56 ; 4-byte Folded Spill
	s_nop 0
	buffer_store_dword v1, off, s[0:3], s33 offset:60 ; 4-byte Folded Spill
	flat_store_dwordx2 v[32:33], v[0:1]
	s_branch .LBB4_3343
.LBB4_3416:                             ;   in Loop: Header=BB4_47 Depth=1
	buffer_load_dword v4, off, s[0:3], s33 offset:224 ; 4-byte Folded Reload
	buffer_load_dword v5, off, s[0:3], s33 offset:228 ; 4-byte Folded Reload
	v_mov_b32_e32 v56, 0
	s_waitcnt vmcnt(0)
	v_mul_lo_u32 v1, v4, s69
	v_mul_lo_u32 v0, v5, s68
	v_mad_u64_u32 v[8:9], s[28:29], v4, s68, 0
	v_add3_u32 v9, v9, v1, v0
	buffer_load_dword v0, off, s[0:3], s33 offset:216 ; 4-byte Folded Reload
	buffer_load_dword v1, off, s[0:3], s33 offset:220 ; 4-byte Folded Reload
	s_waitcnt vmcnt(0)
	v_sub_co_u32_e32 v0, vcc, v0, v8
	v_subb_co_u32_e32 v1, vcc, v1, v9, vcc
	v_cmp_lt_i64_e32 vcc, v[4:5], v[0:1]
	v_mov_b32_e32 v1, 0
	v_cndmask_b32_e32 v0, v0, v4, vcc
	v_max_i32_e32 v41, 0, v0
	v_add_u32_e32 v2, 31, v41
	v_lshrrev_b32_e32 v2, 1, v2
	v_and_b32_e32 v2, 0x3ffffff0, v2
	v_cmp_lt_i32_e32 vcc, 0, v0
	v_max_i32_e32 v2, s97, v2
	s_and_b64 s[28:29], s[94:95], vcc
	buffer_store_dword v2, off, s[0:3], s33 offset:164 ; 4-byte Folded Spill
	s_nop 0
	buffer_store_dword v3, off, s[0:3], s33 offset:168 ; 4-byte Folded Spill
	s_and_saveexec_b64 s[30:31], s[28:29]
	s_cbranch_execnz .LBB4_3417
; %bb.10035:                            ;   in Loop: Header=BB4_47 Depth=1
	s_getpc_b64 s[98:99]
.Lpost_getpc9:
	s_add_u32 s98, s98, (.LBB4_9448-.Lpost_getpc9)&4294967295
	s_addc_u32 s99, s99, (.LBB4_9448-.Lpost_getpc9)>>32
	s_setpc_b64 s[98:99]
.LBB4_3417:                             ;   in Loop: Header=BB4_47 Depth=1
	buffer_load_dword v0, off, s[0:3], s33 offset:156 ; 4-byte Folded Reload
	s_mov_b32 s57, 1
	s_mov_b64 s[36:37], -1
	v_mov_b32_e32 v56, 0
	s_mov_b64 s[34:35], 0
	buffer_store_dword v41, off, s[0:3], s33 offset:200 ; 4-byte Folded Spill
	s_waitcnt vmcnt(0)
	v_add_co_u32_e32 v0, vcc, v8, v0
	buffer_store_dword v0, off, s[0:3], s33 offset:248 ; 4-byte Folded Spill
	buffer_load_dword v0, off, s[0:3], s33 offset:160 ; 4-byte Folded Reload
	s_waitcnt vmcnt(0)
	v_addc_co_u32_e32 v0, vcc, v9, v0, vcc
	buffer_store_dword v0, off, s[0:3], s33 offset:252 ; 4-byte Folded Spill
	s_branch .LBB4_3419
.LBB4_3418:                             ;   in Loop: Header=BB4_3419 Depth=2
	s_or_b64 exec, exec, s[28:29]
	buffer_load_dword v0, off, s[0:3], s33 offset:164 ; 4-byte Folded Reload
	buffer_load_dword v1, off, s[0:3], s33 offset:168 ; 4-byte Folded Reload
	s_xor_b64 s[28:29], s[36:37], -1
	s_mov_b64 s[36:37], 0
	s_waitcnt vmcnt(0)
	v_mov_b32_e32 v1, s57
	s_mov_b32 s57, 2
	v_add_u32_e32 v56, v0, v56
	v_cmp_ge_i32_e32 vcc, v56, v41
	s_or_b64 s[28:29], s[28:29], vcc
	s_and_b64 s[28:29], exec, s[28:29]
	s_or_b64 s[34:35], s[28:29], s[34:35]
	s_andn2_b64 exec, exec, s[34:35]
	s_cbranch_execnz .LBB4_3419
; %bb.10037:                            ;   in Loop: Header=BB4_47 Depth=1
	s_getpc_b64 s[98:99]
.Lpost_getpc10:
	s_add_u32 s98, s98, (.LBB4_9523-.Lpost_getpc10)&4294967295
	s_addc_u32 s99, s99, (.LBB4_9523-.Lpost_getpc10)>>32
	s_setpc_b64 s[98:99]
.LBB4_3419:                             ;   Parent Loop BB4_47 Depth=1
                                        ; =>  This Loop Header: Depth=2
                                        ;       Child Loop BB4_3427 Depth 3
                                        ;       Child Loop BB4_3455 Depth 3
	;; [unrolled: 1-line block ×9, first 2 shown]
                                        ;         Child Loop BB4_5572 Depth 4
                                        ;       Child Loop BB4_5629 Depth 3
                                        ;       Child Loop BB4_6401 Depth 3
                                        ;         Child Loop BB4_6450 Depth 4
                                        ;       Child Loop BB4_9414 Depth 3
                                        ;       Child Loop BB4_9433 Depth 3
	s_and_saveexec_b64 s[28:29], s[4:5]
	s_cbranch_execz .LBB4_3421
; %bb.3420:                             ;   in Loop: Header=BB4_3419 Depth=2
	s_trap 2
	buffer_load_dword v8, off, s[0:3], s33 offset:248 ; 4-byte Folded Reload
	buffer_load_dword v9, off, s[0:3], s33 offset:252 ; 4-byte Folded Reload
	ds_read2_b64 v[4:7], v0 offset1:1
	v_ashrrev_i32_e32 v2, 31, v56
	s_waitcnt vmcnt(0) lgkmcnt(0)
	v_add_co_u32_e32 v0, vcc, v4, v8
	v_addc_co_u32_e32 v1, vcc, v5, v9, vcc
	v_add_co_u32_e32 v0, vcc, v0, v56
	v_addc_co_u32_e32 v1, vcc, v1, v2, vcc
	ds_write_b64 v0, v[0:1]
	v_add_co_u32_e32 v0, vcc, v6, v8
	v_addc_co_u32_e32 v1, vcc, v7, v9, vcc
	v_add_co_u32_e32 v0, vcc, v0, v56
	v_addc_co_u32_e32 v1, vcc, v1, v2, vcc
	ds_write_b64 v0, v[0:1]
	ds_read_b64 v[0:1], v0
	s_waitcnt lgkmcnt(0)
	v_add_co_u32_e32 v4, vcc, v0, v8
	v_addc_co_u32_e32 v5, vcc, v1, v9, vcc
	v_add_co_u32_e32 v4, vcc, v4, v56
	v_addc_co_u32_e32 v2, vcc, v5, v2, vcc
	v_cmp_ne_u64_e32 vcc, 0, v[0:1]
	v_cndmask_b32_e32 v1, 0, v2, vcc
	v_cndmask_b32_e32 v0, 0, v4, vcc
	ds_write_b64 v0, v[0:1]
.LBB4_3421:                             ;   in Loop: Header=BB4_3419 Depth=2
	s_or_b64 exec, exec, s[28:29]
	buffer_load_dword v1, off, s[0:3], s33 offset:164 ; 4-byte Folded Reload
	buffer_load_dword v2, off, s[0:3], s33 offset:168 ; 4-byte Folded Reload
	v_sub_u32_e32 v0, v41, v56
	s_waitcnt vmcnt(0)
	v_min_i32_e32 v1, v1, v0
	v_and_b32_e32 v0, 12, v52
	v_cmp_ne_u32_e32 vcc, 0, v0
	buffer_store_dword v1, off, s[0:3], s33 offset:164 ; 4-byte Folded Spill
	s_nop 0
	buffer_store_dword v2, off, s[0:3], s33 offset:168 ; 4-byte Folded Spill
	s_and_saveexec_b64 s[40:41], vcc
	s_cbranch_execz .LBB4_3447
; %bb.3422:                             ;   in Loop: Header=BB4_3419 Depth=2
	buffer_load_dword v6, off, s[0:3], s33 offset:56 ; 4-byte Folded Reload
	buffer_load_dword v7, off, s[0:3], s33 offset:60 ; 4-byte Folded Reload
	v_and_b32_e32 v1, 8, v52
	s_waitcnt lgkmcnt(0)
	v_add_co_u32_e32 v4, vcc, v48, v1
	v_addc_co_u32_e32 v5, vcc, 0, v49, vcc
	s_waitcnt vmcnt(1)
	v_add_co_u32_e32 v8, vcc, 2, v6
	s_waitcnt vmcnt(0)
	v_addc_co_u32_e32 v9, vcc, 0, v7, vcc
	v_cmp_lt_u64_e32 vcc, v[4:5], v[8:9]
	s_and_saveexec_b64 s[42:43], vcc
	s_cbranch_execz .LBB4_3434
; %bb.3423:                             ;   in Loop: Header=BB4_3419 Depth=2
	v_and_b32_e32 v0, 64, v52
	s_mov_b32 s9, 0
	v_cmp_eq_u32_e32 vcc, 0, v0
	s_mov_b64 s[44:45], 0
                                        ; implicit-def: $sgpr46_sgpr47
                                        ; implicit-def: $sgpr38_sgpr39
                                        ; implicit-def: $sgpr48_sgpr49
	s_branch .LBB4_3427
.LBB4_3424:                             ;   in Loop: Header=BB4_3427 Depth=3
	s_waitcnt vmcnt(0) lgkmcnt(0)
	v_add_co_u32_e64 v4, s[28:29], v48, v1
	v_addc_co_u32_e64 v5, s[28:29], 0, v49, s[28:29]
	v_cmp_ge_u64_e64 s[28:29], v[4:5], v[8:9]
	s_or_b64 s[54:55], s[54:55], exec
	s_orn2_b64 s[52:53], s[28:29], exec
.LBB4_3425:                             ;   in Loop: Header=BB4_3427 Depth=3
	s_or_b64 exec, exec, s[66:67]
	s_andn2_b64 s[28:29], s[48:49], exec
	s_and_b64 s[48:49], s[54:55], exec
	s_or_b64 s[48:49], s[28:29], s[48:49]
	s_andn2_b64 s[28:29], s[38:39], exec
	s_and_b64 s[38:39], s[52:53], exec
	s_or_b64 s[38:39], s[28:29], s[38:39]
.LBB4_3426:                             ;   in Loop: Header=BB4_3427 Depth=3
	s_or_b64 exec, exec, s[50:51]
	s_and_b64 s[28:29], exec, s[38:39]
	s_or_b64 s[44:45], s[28:29], s[44:45]
	s_andn2_b64 s[28:29], s[46:47], exec
	s_and_b64 s[46:47], s[48:49], exec
	s_or_b64 s[46:47], s[28:29], s[46:47]
	s_andn2_b64 exec, exec, s[44:45]
	s_cbranch_execz .LBB4_3431
.LBB4_3427:                             ;   Parent Loop BB4_47 Depth=1
                                        ;     Parent Loop BB4_3419 Depth=2
                                        ; =>    This Inner Loop Header: Depth=3
	s_sleep 1
	s_waitcnt vmcnt(0) lgkmcnt(0)
	flat_load_dwordx2 v[48:49], v[32:33] glc
	s_or_b64 s[48:49], s[48:49], exec
	s_or_b64 s[38:39], s[38:39], exec
                                        ; implicit-def: $vgpr2
	s_and_saveexec_b64 s[50:51], vcc
	s_cbranch_execz .LBB4_3426
; %bb.3428:                             ;   in Loop: Header=BB4_3427 Depth=3
	s_cmpk_lt_i32 s9, 0x270f
	s_cselect_b64 s[64:65], -1, 0
	s_cmpk_gt_i32 s9, 0x270e
	s_mov_b64 s[52:53], -1
	s_cbranch_scc0 .LBB4_3430
; %bb.3429:                             ;   in Loop: Header=BB4_3427 Depth=3
	s_trap 2
	ds_read_b64 v[4:5], v0
	s_andn2_b64 s[64:65], s[64:65], exec
	s_mov_b32 s9, 0
	s_mov_b64 s[54:55], 0
	s_waitcnt vmcnt(0) lgkmcnt(0)
	flat_load_dword v2, v[4:5] glc
	s_waitcnt vmcnt(0) lgkmcnt(0)
	buffer_wbinvl1_vol
	v_cmp_eq_u32_e64 s[28:29], 0, v2
	s_and_b64 s[28:29], s[28:29], exec
	s_or_b64 s[64:65], s[64:65], s[28:29]
	s_and_saveexec_b64 s[66:67], s[64:65]
	s_cbranch_execz .LBB4_3425
	s_branch .LBB4_3424
.LBB4_3430:                             ;   in Loop: Header=BB4_3427 Depth=3
	s_add_i32 s9, s9, 1
	s_mov_b64 s[54:55], -1
                                        ; implicit-def: $vgpr2
	s_and_saveexec_b64 s[66:67], s[64:65]
	s_cbranch_execz .LBB4_3425
	s_branch .LBB4_3424
.LBB4_3431:                             ;   in Loop: Header=BB4_3419 Depth=2
	s_or_b64 exec, exec, s[44:45]
	s_xor_b64 s[28:29], s[46:47], -1
	s_and_saveexec_b64 s[44:45], s[28:29]
	s_xor_b64 s[28:29], exec, s[44:45]
	s_cbranch_execz .LBB4_3433
; %bb.3432:                             ;   in Loop: Header=BB4_3419 Depth=2
	v_or_b32_e32 v52, 64, v52
	s_waitcnt lgkmcnt(0)
	ds_write_b32 v0, v2
	s_trap 2
.LBB4_3433:                             ;   in Loop: Header=BB4_3419 Depth=2
	s_or_b64 exec, exec, s[28:29]
.LBB4_3434:                             ;   in Loop: Header=BB4_3419 Depth=2
	s_or_b64 exec, exec, s[42:43]
	v_and_b32_e32 v0, 0x108, v52
	v_cmp_ne_u32_e32 vcc, s71, v0
	;;#ASMSTART
	s_wakeup
	;;#ASMEND
	s_and_saveexec_b64 s[28:29], vcc
	s_xor_b64 s[28:29], exec, s[28:29]
                                        ; implicit-def: $vgpr2
	s_cbranch_execz .LBB4_3436
; %bb.3435:                             ;   in Loop: Header=BB4_3419 Depth=2
	buffer_load_dword v4, off, s[0:3], s33 offset:56 ; 4-byte Folded Reload
	buffer_load_dword v5, off, s[0:3], s33 offset:60 ; 4-byte Folded Reload
	s_waitcnt vmcnt(0)
	v_and_b32_e32 v2, 7, v4
                                        ; implicit-def: $vgpr4_vgpr5
                                        ; kill: killed $vgpr4_vgpr5
.LBB4_3436:                             ;   in Loop: Header=BB4_3419 Depth=2
	s_andn2_saveexec_b64 s[28:29], s[28:29]
	s_cbranch_execz .LBB4_3438
; %bb.3437:                             ;   in Loop: Header=BB4_3419 Depth=2
	buffer_load_dword v4, off, s[0:3], s33 offset:56 ; 4-byte Folded Reload
	buffer_load_dword v5, off, s[0:3], s33 offset:60 ; 4-byte Folded Reload
	s_waitcnt vmcnt(0)
	v_and_b32_e32 v2, 7, v4
	buffer_load_dword v4, off, s[0:3], s33 offset:88 ; 4-byte Folded Reload
	buffer_load_dword v5, off, s[0:3], s33 offset:92 ; 4-byte Folded Reload
	;; [unrolled: 1-line block ×6, first 2 shown]
	s_waitcnt vmcnt(0)
	v_mad_u64_u32 v[4:5], s[42:43], v2, 24, v[4:5]
	v_ashrrev_i32_e32 v7, 31, v6
	v_mov_b32_e32 v0, v6
	buffer_store_dword v0, off, s[0:3], s33 offset:164 ; 4-byte Folded Spill
	s_nop 0
	buffer_store_dword v1, off, s[0:3], s33 offset:168 ; 4-byte Folded Spill
	flat_store_dwordx2 v[4:5], v[6:7] offset:8
.LBB4_3438:                             ;   in Loop: Header=BB4_3419 Depth=2
	s_or_b64 exec, exec, s[28:29]
	v_and_b32_e32 v0, 0x100, v52
	v_cmp_ne_u32_e32 vcc, 0, v0
	s_mov_b64 s[28:29], -1
                                        ; implicit-def: $vgpr10_vgpr11
	s_and_saveexec_b64 s[42:43], vcc
	s_cbranch_execz .LBB4_3442
; %bb.3439:                             ;   in Loop: Header=BB4_3419 Depth=2
	buffer_load_dword v4, off, s[0:3], s33 offset:88 ; 4-byte Folded Reload
	buffer_load_dword v5, off, s[0:3], s33 offset:92 ; 4-byte Folded Reload
	;; [unrolled: 1-line block ×4, first 2 shown]
                                        ; implicit-def: $vgpr10_vgpr11
	s_waitcnt vmcnt(0)
	v_mad_u64_u32 v[4:5], s[28:29], v2, 24, v[4:5]
	v_mov_b32_e32 v0, v5
	v_mad_u64_u32 v[5:6], s[28:29], v3, 24, v[0:1]
	flat_load_dword v0, v[4:5]
	s_waitcnt vmcnt(0) lgkmcnt(0)
	v_cmp_ne_u32_e32 vcc, 1, v0
	v_cmp_eq_u32_e64 s[28:29], 1, v0
	s_and_saveexec_b64 s[44:45], s[28:29]
	s_cbranch_execz .LBB4_3441
; %bb.3440:                             ;   in Loop: Header=BB4_3419 Depth=2
	flat_load_dword v10, v[4:5] offset:4 glc
	s_waitcnt vmcnt(0) lgkmcnt(0)
	v_ashrrev_i32_e32 v11, 31, v10
.LBB4_3441:                             ;   in Loop: Header=BB4_3419 Depth=2
	s_or_b64 exec, exec, s[44:45]
	s_orn2_b64 s[28:29], vcc, exec
.LBB4_3442:                             ;   in Loop: Header=BB4_3419 Depth=2
	s_or_b64 exec, exec, s[42:43]
	s_and_saveexec_b64 s[42:43], s[28:29]
	s_cbranch_execz .LBB4_3444
; %bb.3443:                             ;   in Loop: Header=BB4_3419 Depth=2
	buffer_load_dword v5, off, s[0:3], s33 offset:112 ; 4-byte Folded Reload
	buffer_load_dword v4, off, s[0:3], s33 offset:132 ; 4-byte Folded Reload
	s_waitcnt vmcnt(0)
	v_mul_lo_u32 v0, v3, v5
	v_mul_lo_u32 v4, v2, v4
	v_mad_u64_u32 v[10:11], s[28:29], v2, v5, 0
	v_add3_u32 v11, v11, v4, v0
.LBB4_3444:                             ;   in Loop: Header=BB4_3419 Depth=2
	s_or_b64 exec, exec, s[42:43]
	v_cmp_eq_u32_e32 vcc, 0, v1
	v_mov_b32_e32 v0, 0x90
	v_mov_b32_e32 v1, 0xd0
	v_cndmask_b32_e32 v2, v1, v0, vcc
	buffer_load_dword v0, off, s[0:3], s33 offset:80 ; 4-byte Folded Reload
	buffer_load_dword v1, off, s[0:3], s33 offset:84 ; 4-byte Folded Reload
	s_waitcnt vmcnt(0)
	v_add_co_u32_e32 v0, vcc, v0, v10
	v_addc_co_u32_e32 v1, vcc, v1, v11, vcc
	v_add_u32_e32 v2, v0, v2
	ds_write_b64 v2, v[0:1] offset:584
	v_and_b32_e32 v0, 0x2000, v52
	v_cmp_ne_u32_e32 vcc, 0, v0
	s_and_saveexec_b64 s[28:29], vcc
	s_cbranch_execz .LBB4_3446
; %bb.3445:                             ;   in Loop: Header=BB4_3419 Depth=2
	ds_read_b64 v[0:1], v0 offset:872
	s_waitcnt lgkmcnt(0)
	v_add_co_u32_e32 v0, vcc, 1, v0
	v_addc_co_u32_e32 v1, vcc, 0, v1, vcc
	ds_write_b64 v0, v[0:1] offset:872
.LBB4_3446:                             ;   in Loop: Header=BB4_3419 Depth=2
	s_or_b64 exec, exec, s[28:29]
	buffer_store_dword v8, off, s[0:3], s33 offset:56 ; 4-byte Folded Spill
	s_nop 0
	buffer_store_dword v9, off, s[0:3], s33 offset:60 ; 4-byte Folded Spill
.LBB4_3447:                             ;   in Loop: Header=BB4_3419 Depth=2
	s_or_b64 exec, exec, s[40:41]
	s_and_saveexec_b64 s[28:29], s[10:11]
	s_cbranch_execz .LBB4_3466
; %bb.3448:                             ;   in Loop: Header=BB4_3419 Depth=2
	s_and_saveexec_b64 s[40:41], s[72:73]
	s_xor_b64 s[40:41], exec, s[40:41]
	s_cbranch_execz .LBB4_3463
; %bb.3449:                             ;   in Loop: Header=BB4_3419 Depth=2
	s_and_saveexec_b64 s[42:43], s[16:17]
	s_cbranch_execz .LBB4_3462
; %bb.3450:                             ;   in Loop: Header=BB4_3419 Depth=2
	s_mov_b64 s[46:47], exec
	v_mbcnt_lo_u32_b32 v0, s46, 0
	v_mbcnt_hi_u32_b32 v0, s47, v0
	v_cmp_eq_u32_e32 vcc, 0, v0
	s_waitcnt vmcnt(0) lgkmcnt(0)
	buffer_wbinvl1_vol
	s_and_saveexec_b64 s[44:45], vcc
	s_cbranch_execz .LBB4_3452
; %bb.3451:                             ;   in Loop: Header=BB4_3419 Depth=2
	s_bcnt1_i32_b64 s9, s[46:47]
	v_mov_b32_e32 v2, s9
	ds_add_u64 v0, v[2:3]
	s_trap 2
.LBB4_3452:                             ;   in Loop: Header=BB4_3419 Depth=2
	s_or_b64 exec, exec, s[44:45]
	s_trap 2
	ds_read_b64 v[0:1], v0
	s_waitcnt lgkmcnt(0)
	v_add_co_u32_e32 v38, vcc, v38, v57
	v_addc_co_u32_e32 v39, vcc, 0, v39, vcc
	v_cmp_lt_u64_e32 vcc, v[0:1], v[38:39]
	s_and_saveexec_b64 s[44:45], vcc
	s_cbranch_execz .LBB4_3461
; %bb.3453:                             ;   in Loop: Header=BB4_3419 Depth=2
	s_mov_b32 s9, 0
	s_mov_b64 s[46:47], 0
                                        ; implicit-def: $sgpr38_sgpr39
                                        ; implicit-def: $sgpr48_sgpr49
	s_branch .LBB4_3455
.LBB4_3454:                             ;   in Loop: Header=BB4_3455 Depth=3
	s_or_b64 exec, exec, s[52:53]
	s_and_b64 vcc, exec, vcc
	s_or_b64 s[46:47], vcc, s[46:47]
	s_andn2_b64 vcc, s[38:39], exec
	s_and_b64 s[38:39], s[48:49], exec
	s_or_b64 s[38:39], vcc, s[38:39]
	s_andn2_b64 exec, exec, s[46:47]
	s_cbranch_execz .LBB4_3459
.LBB4_3455:                             ;   Parent Loop BB4_47 Depth=1
                                        ;     Parent Loop BB4_3419 Depth=2
                                        ; =>    This Inner Loop Header: Depth=3
	s_add_i32 s9, s9, 1
	s_cmpk_lg_i32 s9, 0x2710
	s_cselect_b64 s[50:51], -1, 0
	s_and_b64 vcc, exec, s[50:51]
	s_cbranch_vccz .LBB4_3457
; %bb.3456:                             ;   in Loop: Header=BB4_3455 Depth=3
	s_mov_b64 vcc, -1
	s_or_b64 s[48:49], s[48:49], exec
	s_and_saveexec_b64 s[52:53], s[50:51]
	s_cbranch_execz .LBB4_3454
	s_branch .LBB4_3458
.LBB4_3457:                             ;   in Loop: Header=BB4_3455 Depth=3
	s_trap 2
	ds_read_b64 v[0:1], v0
	s_andn2_b64 s[50:51], s[50:51], exec
	s_mov_b32 s9, 0
	s_waitcnt lgkmcnt(0)
	flat_load_dword v0, v[0:1] glc
	s_waitcnt vmcnt(0) lgkmcnt(0)
	buffer_wbinvl1_vol
	v_cmp_eq_u32_e32 vcc, 0, v0
	s_and_b64 vcc, vcc, exec
	s_or_b64 s[50:51], s[50:51], vcc
	s_mov_b64 vcc, -1
	s_or_b64 s[48:49], s[48:49], exec
	s_and_saveexec_b64 s[52:53], s[50:51]
	s_cbranch_execz .LBB4_3454
.LBB4_3458:                             ;   in Loop: Header=BB4_3455 Depth=3
	s_sleep 1
	s_trap 2
	ds_read_b64 v[0:1], v0
	s_waitcnt lgkmcnt(0)
	s_andn2_b64 s[48:49], s[48:49], exec
	v_cmp_ge_u64_e32 vcc, v[0:1], v[38:39]
	s_orn2_b64 vcc, vcc, exec
	s_branch .LBB4_3454
.LBB4_3459:                             ;   in Loop: Header=BB4_3419 Depth=2
	s_or_b64 exec, exec, s[46:47]
	s_and_saveexec_b64 s[46:47], s[38:39]
	s_xor_b64 s[46:47], exec, s[46:47]
	s_cbranch_execz .LBB4_3461
; %bb.3460:                             ;   in Loop: Header=BB4_3419 Depth=2
	v_mov_b32_e32 v0, 1
	ds_write_b32 v0, v0
	s_trap 2
.LBB4_3461:                             ;   in Loop: Header=BB4_3419 Depth=2
	s_or_b64 exec, exec, s[44:45]
	;;#ASMSTART
	s_wakeup
	;;#ASMEND
.LBB4_3462:                             ;   in Loop: Header=BB4_3419 Depth=2
	s_or_b64 exec, exec, s[42:43]
.LBB4_3463:                             ;   in Loop: Header=BB4_3419 Depth=2
	s_andn2_saveexec_b64 s[40:41], s[40:41]
	s_cbranch_execz .LBB4_3465
; %bb.3464:                             ;   in Loop: Header=BB4_3419 Depth=2
	s_waitcnt vmcnt(0) lgkmcnt(0)
	buffer_wbinvl1_vol
	s_barrier
.LBB4_3465:                             ;   in Loop: Header=BB4_3419 Depth=2
	s_or_b64 exec, exec, s[40:41]
.LBB4_3466:                             ;   in Loop: Header=BB4_3419 Depth=2
	s_or_b64 exec, exec, s[28:29]
	s_trap 2
	ds_read_b32 v1, v0
	v_and_b32_e32 v0, 0x4000, v52
	v_cmp_ne_u32_e32 vcc, 0, v0
	s_xor_b64 s[28:29], s[6:7], -1
	s_and_b64 s[40:41], s[28:29], vcc
	s_and_saveexec_b64 s[28:29], s[40:41]
	s_cbranch_execz .LBB4_3485
; %bb.3467:                             ;   in Loop: Header=BB4_3419 Depth=2
	s_and_saveexec_b64 s[40:41], s[72:73]
	s_xor_b64 s[40:41], exec, s[40:41]
	s_cbranch_execz .LBB4_3482
; %bb.3468:                             ;   in Loop: Header=BB4_3419 Depth=2
	s_and_saveexec_b64 s[42:43], s[16:17]
	s_cbranch_execz .LBB4_3481
; %bb.3469:                             ;   in Loop: Header=BB4_3419 Depth=2
	s_mov_b64 s[46:47], exec
	v_mbcnt_lo_u32_b32 v0, s46, 0
	v_mbcnt_hi_u32_b32 v0, s47, v0
	v_cmp_eq_u32_e32 vcc, 0, v0
	s_waitcnt vmcnt(0) lgkmcnt(0)
	buffer_wbinvl1_vol
	s_and_saveexec_b64 s[44:45], vcc
	s_cbranch_execz .LBB4_3471
; %bb.3470:                             ;   in Loop: Header=BB4_3419 Depth=2
	s_bcnt1_i32_b64 s9, s[46:47]
	v_mov_b32_e32 v2, s9
	ds_add_u64 v0, v[2:3]
	s_trap 2
.LBB4_3471:                             ;   in Loop: Header=BB4_3419 Depth=2
	s_or_b64 exec, exec, s[44:45]
	s_trap 2
	ds_read_b64 v[4:5], v0
	s_waitcnt lgkmcnt(0)
	v_add_co_u32_e32 v38, vcc, v38, v57
	v_addc_co_u32_e32 v39, vcc, 0, v39, vcc
	v_cmp_lt_u64_e32 vcc, v[4:5], v[38:39]
	s_and_saveexec_b64 s[44:45], vcc
	s_cbranch_execz .LBB4_3480
; %bb.3472:                             ;   in Loop: Header=BB4_3419 Depth=2
	s_mov_b32 s9, 0
	s_mov_b64 s[46:47], 0
                                        ; implicit-def: $sgpr38_sgpr39
                                        ; implicit-def: $sgpr48_sgpr49
	s_branch .LBB4_3474
.LBB4_3473:                             ;   in Loop: Header=BB4_3474 Depth=3
	s_or_b64 exec, exec, s[52:53]
	s_and_b64 vcc, exec, vcc
	s_or_b64 s[46:47], vcc, s[46:47]
	s_andn2_b64 vcc, s[38:39], exec
	s_and_b64 s[38:39], s[48:49], exec
	s_or_b64 s[38:39], vcc, s[38:39]
	s_andn2_b64 exec, exec, s[46:47]
	s_cbranch_execz .LBB4_3478
.LBB4_3474:                             ;   Parent Loop BB4_47 Depth=1
                                        ;     Parent Loop BB4_3419 Depth=2
                                        ; =>    This Inner Loop Header: Depth=3
	s_add_i32 s9, s9, 1
	s_cmpk_lg_i32 s9, 0x2710
	s_cselect_b64 s[50:51], -1, 0
	s_and_b64 vcc, exec, s[50:51]
	s_cbranch_vccz .LBB4_3476
; %bb.3475:                             ;   in Loop: Header=BB4_3474 Depth=3
	s_mov_b64 vcc, -1
	s_or_b64 s[48:49], s[48:49], exec
	s_and_saveexec_b64 s[52:53], s[50:51]
	s_cbranch_execz .LBB4_3473
	s_branch .LBB4_3477
.LBB4_3476:                             ;   in Loop: Header=BB4_3474 Depth=3
	s_trap 2
	ds_read_b64 v[4:5], v0
	s_andn2_b64 s[50:51], s[50:51], exec
	s_mov_b32 s9, 0
	s_waitcnt lgkmcnt(0)
	flat_load_dword v0, v[4:5] glc
	s_waitcnt vmcnt(0) lgkmcnt(0)
	buffer_wbinvl1_vol
	v_cmp_eq_u32_e32 vcc, 0, v0
	s_and_b64 vcc, vcc, exec
	s_or_b64 s[50:51], s[50:51], vcc
	s_mov_b64 vcc, -1
	s_or_b64 s[48:49], s[48:49], exec
	s_and_saveexec_b64 s[52:53], s[50:51]
	s_cbranch_execz .LBB4_3473
.LBB4_3477:                             ;   in Loop: Header=BB4_3474 Depth=3
	s_sleep 1
	s_trap 2
	ds_read_b64 v[4:5], v0
	s_waitcnt lgkmcnt(0)
	s_andn2_b64 s[48:49], s[48:49], exec
	v_cmp_ge_u64_e32 vcc, v[4:5], v[38:39]
	s_orn2_b64 vcc, vcc, exec
	s_branch .LBB4_3473
.LBB4_3478:                             ;   in Loop: Header=BB4_3419 Depth=2
	s_or_b64 exec, exec, s[46:47]
	s_and_saveexec_b64 s[46:47], s[38:39]
	s_xor_b64 s[46:47], exec, s[46:47]
	s_cbranch_execz .LBB4_3480
; %bb.3479:                             ;   in Loop: Header=BB4_3419 Depth=2
	v_mov_b32_e32 v0, 1
	ds_write_b32 v0, v0
	s_trap 2
.LBB4_3480:                             ;   in Loop: Header=BB4_3419 Depth=2
	s_or_b64 exec, exec, s[44:45]
	;;#ASMSTART
	s_wakeup
	;;#ASMEND
.LBB4_3481:                             ;   in Loop: Header=BB4_3419 Depth=2
	s_or_b64 exec, exec, s[42:43]
.LBB4_3482:                             ;   in Loop: Header=BB4_3419 Depth=2
	s_andn2_saveexec_b64 s[40:41], s[40:41]
	s_cbranch_execz .LBB4_3484
; %bb.3483:                             ;   in Loop: Header=BB4_3419 Depth=2
	s_waitcnt vmcnt(0) lgkmcnt(0)
	buffer_wbinvl1_vol
	s_barrier
.LBB4_3484:                             ;   in Loop: Header=BB4_3419 Depth=2
	s_or_b64 exec, exec, s[40:41]
.LBB4_3485:                             ;   in Loop: Header=BB4_3419 Depth=2
	s_or_b64 exec, exec, s[28:29]
	s_trap 2
	ds_read_b64 v[4:5], v0
	s_waitcnt lgkmcnt(0)
	buffer_store_dword v4, off, s[0:3], s33 offset:188 ; 4-byte Folded Spill
	s_nop 0
	buffer_store_dword v5, off, s[0:3], s33 offset:192 ; 4-byte Folded Spill
	v_cmp_eq_u64_e32 vcc, 0, v[4:5]
	s_cbranch_vccnz .LBB4_4904
; %bb.3486:                             ;   in Loop: Header=BB4_3419 Depth=2
	s_trap 2
	ds_read_b64 v[4:5], v0
	s_waitcnt lgkmcnt(0)
	buffer_store_dword v4, off, s[0:3], s33 offset:208 ; 4-byte Folded Spill
	s_nop 0
	buffer_store_dword v5, off, s[0:3], s33 offset:212 ; 4-byte Folded Spill
	v_cmp_eq_u64_e32 vcc, 0, v[4:5]
	s_cbranch_vccnz .LBB4_4904
; %bb.3487:                             ;   in Loop: Header=BB4_3419 Depth=2
	v_cmp_eq_u32_e32 vcc, 0, v1
	buffer_load_dword v0, off, s[0:3], s33 offset:164 ; 4-byte Folded Reload
	buffer_load_dword v1, off, s[0:3], s33 offset:168 ; 4-byte Folded Reload
	s_trap 2
	s_waitcnt vmcnt(1)
	ds_read_b64 v[10:11], v0
	v_cndmask_b32_e32 v21, 0, v0, vcc
	s_waitcnt lgkmcnt(0)
	v_cmp_ne_u64_e32 vcc, 0, v[10:11]
	v_readfirstlane_b32 s84, v10
	s_cbranch_vccz .LBB4_4909
; %bb.3488:                             ;   in Loop: Header=BB4_3419 Depth=2
	s_mov_b64 s[40:41], -1
	s_and_saveexec_b64 s[28:29], s[22:23]
	s_cbranch_execz .LBB4_3490
; %bb.3489:                             ;   in Loop: Header=BB4_3419 Depth=2
	ds_read_b32 v0, v0 offset:720
	s_waitcnt lgkmcnt(0)
	v_and_b32_e32 v0, 15, v0
	v_cmp_eq_u32_e32 vcc, 0, v0
	s_orn2_b64 s[40:41], vcc, exec
.LBB4_3490:                             ;   in Loop: Header=BB4_3419 Depth=2
	s_or_b64 exec, exec, s[28:29]
	s_and_saveexec_b64 s[28:29], s[22:23]
	s_cbranch_execz .LBB4_3492
; %bb.3491:                             ;   in Loop: Header=BB4_3419 Depth=2
	ds_read_b32 v0, v0 offset:784
	s_waitcnt lgkmcnt(0)
	v_and_b32_e32 v0, 15, v0
	v_cmp_eq_u32_e32 vcc, 0, v0
	s_and_b64 s[42:43], s[40:41], vcc
	s_andn2_b64 s[40:41], s[40:41], exec
	s_and_b64 s[42:43], s[42:43], exec
	s_or_b64 s[40:41], s[40:41], s[42:43]
.LBB4_3492:                             ;   in Loop: Header=BB4_3419 Depth=2
	s_or_b64 exec, exec, s[28:29]
	buffer_load_dword v18, off, s[0:3], s33 offset:136 ; 4-byte Folded Reload
	s_xor_b64 s[40:41], s[40:41], -1
	v_cndmask_b32_e64 v0, 0, 1, s[40:41]
	s_mov_b64 s[28:29], -1
	v_mov_b32_e32 v4, 0
	v_cmp_ne_u32_e32 vcc, 0, v0
	v_mov_b32_e32 v7, v21
	s_cbranch_vccnz .LBB4_5625
; %bb.3493:                             ;   in Loop: Header=BB4_3419 Depth=2
	v_ashrrev_i32_e32 v0, 31, v21
	v_lshrrev_b32_e32 v0, 21, v0
	v_add_u32_e32 v0, v21, v0
	s_waitcnt vmcnt(1)
	v_ashrrev_i32_e32 v1, 11, v0
	buffer_load_dword v0, off, s[0:3], s33 offset:184 ; 4-byte Folded Reload
	s_waitcnt vmcnt(0)
	v_sub_u32_e32 v57, v1, v0
	v_cmp_lt_i32_e32 vcc, 0, v57
	s_and_saveexec_b64 s[42:43], vcc
	s_cbranch_execz .LBB4_4912
; %bb.3494:                             ;   in Loop: Header=BB4_3419 Depth=2
	buffer_store_dword v1, off, s[0:3], s33 offset:272 ; 4-byte Folded Spill
	buffer_store_dword v21, off, s[0:3], s33 offset:244 ; 4-byte Folded Spill
	buffer_load_dword v2, off, s[0:3], s33 offset:232 ; 4-byte Folded Reload
	s_nop 0
	buffer_load_dword v0, off, s[0:3], s33 offset:208 ; 4-byte Folded Reload
	buffer_load_dword v1, off, s[0:3], s33 offset:212 ; 4-byte Folded Reload
	s_bitcmp1_b32 s84, 0
	s_mov_b64 s[44:45], 0
	s_cselect_b64 s[46:47], -1, 0
	s_waitcnt vmcnt(1)
	v_add_co_u32_e32 v60, vcc, v0, v2
	s_waitcnt vmcnt(0)
	v_addc_co_u32_e32 v61, vcc, 0, v1, vcc
	v_add_co_u32_e32 v26, vcc, v10, v2
	buffer_store_dword v10, off, s[0:3], s33 offset:264 ; 4-byte Folded Spill
	s_nop 0
	buffer_store_dword v11, off, s[0:3], s33 offset:268 ; 4-byte Folded Spill
	s_trap 2
	ds_read_b64 v[0:1], v0
	buffer_load_dword v4, off, s[0:3], s33 offset:188 ; 4-byte Folded Reload
	buffer_load_dword v5, off, s[0:3], s33 offset:192 ; 4-byte Folded Reload
	v_addc_co_u32_e32 v27, vcc, 0, v11, vcc
	s_waitcnt vmcnt(1)
	v_add_co_u32_e32 v28, vcc, v4, v2
	s_waitcnt vmcnt(0)
	v_addc_co_u32_e32 v29, vcc, 0, v5, vcc
	s_waitcnt lgkmcnt(0)
	v_add_co_u32_e32 v30, vcc, v0, v2
	v_addc_co_u32_e32 v31, vcc, 0, v1, vcc
	s_branch .LBB4_3496
.LBB4_3495:                             ;   in Loop: Header=BB4_3496 Depth=3
	s_or_b64 exec, exec, s[28:29]
	v_lshl_or_b32 v0, v45, 8, v53
	v_lshlrev_b32_e32 v4, 16, v25
	v_lshlrev_b32_e32 v5, 24, v24
	v_or3_b32 v8, v0, v4, v5
	buffer_load_dword v4, off, s[0:3], s33 offset:172 ; 4-byte Folded Reload
	buffer_load_dword v5, off, s[0:3], s33 offset:180 ; 4-byte Folded Reload
	v_lshl_or_b32 v0, v41, 8, v40
	v_lshlrev_b32_e32 v1, 24, v1
	s_waitcnt vmcnt(1)
	v_lshlrev_b32_e32 v4, 16, v4
	s_waitcnt vmcnt(0)
	v_lshlrev_b32_e32 v5, 24, v5
	v_or3_b32 v7, v0, v4, v5
	v_lshl_or_b32 v0, v34, 8, v47
	v_lshlrev_b32_e32 v4, 16, v35
	v_or3_b32 v9, v0, v4, v1
	v_lshlrev_b32_e32 v0, 24, v19
	v_lshlrev_b32_e32 v1, 16, v36
	v_lshl_or_b32 v4, v20, 8, v21
	v_or3_b32 v10, v4, v1, v0
	v_lshl_or_b32 v0, v18, 8, v58
	v_lshlrev_b32_e32 v1, 16, v17
	v_lshlrev_b32_e32 v4, 24, v16
	v_or3_b32 v15, v0, v1, v4
	v_lshl_or_b32 v0, v23, 8, v22
	v_lshlrev_b32_e32 v1, 16, v46
	v_lshlrev_b32_e32 v4, 24, v6
	;; [unrolled: 4-line block ×3, first 2 shown]
	v_or3_b32 v16, v0, v1, v4
	v_lshlrev_b32_e32 v0, 24, v2
	v_lshlrev_b32_e32 v1, 16, v44
	v_lshl_or_b32 v2, v12, 8, v13
	v_or3_b32 v17, v2, v1, v0
	global_store_dwordx4 v[60:61], v[7:10], off glc slc
	global_store_dwordx4 v[60:61], v[14:17], off offset:1024 glc slc
	global_store_dwordx4 v[26:27], v[7:10], off glc slc
	global_store_dwordx4 v[26:27], v[14:17], off offset:1024 glc slc
	buffer_load_dword v46, off, s[0:3], s33 offset:76 ; 4-byte Folded Reload
	buffer_load_dword v0, off, s[0:3], s33 offset:68 ; 4-byte Folded Reload
	s_waitcnt vmcnt(1)
	v_add_co_u32_e32 v28, vcc, v28, v46
	v_addc_co_u32_e32 v29, vcc, 0, v29, vcc
	v_add_co_u32_e32 v30, vcc, v30, v46
	v_addc_co_u32_e32 v31, vcc, 0, v31, vcc
	;; [unrolled: 2-line block ×3, first 2 shown]
	s_waitcnt vmcnt(0)
	v_sub_u32_e32 v57, v57, v0
	v_cmp_gt_i32_e32 vcc, 1, v57
	s_or_b64 s[44:45], vcc, s[44:45]
	v_add_co_u32_e32 v26, vcc, v26, v46
	v_addc_co_u32_e32 v27, vcc, 0, v27, vcc
	s_andn2_b64 exec, exec, s[44:45]
	s_cbranch_execz .LBB4_4911
.LBB4_3496:                             ;   Parent Loop BB4_47 Depth=1
                                        ;     Parent Loop BB4_3419 Depth=2
                                        ; =>    This Inner Loop Header: Depth=3
	global_load_dwordx4 v[20:23], v[28:29], off glc slc
	global_load_dwordx4 v[12:15], v[28:29], off offset:1024 glc slc
	global_load_dwordx4 v[16:19], v[30:31], off glc slc
	global_load_dwordx4 v[8:11], v[30:31], off offset:1024 glc slc
	s_mov_b64 s[40:41], -1
	s_and_b64 vcc, exec, s[46:47]
                                        ; implicit-def: $vgpr4
	s_waitcnt vmcnt(3)
	v_cmp_ne_u16_sdwa s[28:29], v20, v3 src0_sel:BYTE_0 src1_sel:DWORD
	s_cbranch_vccz .LBB4_3510
; %bb.3497:                             ;   in Loop: Header=BB4_3496 Depth=3
	v_mov_b32_e32 v2, 0
	v_mov_b32_e32 v1, 0
	s_and_saveexec_b64 s[40:41], s[28:29]
	s_cbranch_execz .LBB4_3503
; %bb.3498:                             ;   in Loop: Header=BB4_3496 Depth=3
	v_cmp_ne_u16_sdwa vcc, v20, s80 src0_sel:BYTE_0 src1_sel:DWORD
	v_bfrev_b32_e32 v1, 1
	s_and_saveexec_b64 s[38:39], vcc
	s_cbranch_execz .LBB4_3502
; %bb.3499:                             ;   in Loop: Header=BB4_3496 Depth=3
	v_and_b32_e32 v0, 0x7f, v20
	v_cmp_ne_u32_e32 vcc, s81, v0
	v_mov_b32_e32 v1, 0x7f800001
	s_and_saveexec_b64 s[48:49], vcc
	s_cbranch_execz .LBB4_3501
; %bb.3500:                             ;   in Loop: Header=BB4_3496 Depth=3
	v_and_b32_e32 v1, 7, v20
	v_lshrrev_b32_e32 v4, 3, v0
	v_cmp_gt_u32_e32 vcc, 8, v0
	v_ffbh_u32_e32 v0, v1
	v_min_u32_e32 v0, 32, v0
	v_subrev_u32_e32 v1, 28, v0
	v_sub_u32_e32 v0, 29, v0
	v_cndmask_b32_e32 v4, v4, v0, vcc
	v_cndmask_b32_e32 v0, 0, v1, vcc
	v_lshlrev_b64 v[0:1], v0, v[20:21]
	v_lshlrev_b32_e32 v1, 24, v20
	v_lshlrev_b32_e32 v0, 20, v0
	v_and_b32_e32 v0, 0x700000, v0
	v_and_b32_e32 v1, 0x80000000, v1
	v_lshl_add_u32 v4, v4, 23, v54
	v_or3_b32 v1, v1, v4, v0
.LBB4_3501:                             ;   in Loop: Header=BB4_3496 Depth=3
	s_or_b64 exec, exec, s[48:49]
.LBB4_3502:                             ;   in Loop: Header=BB4_3496 Depth=3
	s_or_b64 exec, exec, s[38:39]
.LBB4_3503:                             ;   in Loop: Header=BB4_3496 Depth=3
	s_or_b64 exec, exec, s[40:41]
	s_waitcnt vmcnt(1)
	v_cmp_ne_u16_sdwa vcc, v16, v3 src0_sel:BYTE_0 src1_sel:DWORD
	s_and_saveexec_b64 s[40:41], vcc
	s_cbranch_execz .LBB4_3509
; %bb.3504:                             ;   in Loop: Header=BB4_3496 Depth=3
	v_cmp_ne_u16_sdwa vcc, v16, s80 src0_sel:BYTE_0 src1_sel:DWORD
	v_bfrev_b32_e32 v2, 1
	s_and_saveexec_b64 s[38:39], vcc
	s_cbranch_execz .LBB4_3508
; %bb.3505:                             ;   in Loop: Header=BB4_3496 Depth=3
	v_and_b32_e32 v0, 0x7f, v16
	v_cmp_ne_u32_e32 vcc, s81, v0
	v_mov_b32_e32 v2, 0x7f800001
	s_and_saveexec_b64 s[48:49], vcc
	s_cbranch_execz .LBB4_3507
; %bb.3506:                             ;   in Loop: Header=BB4_3496 Depth=3
	v_and_b32_e32 v2, 7, v16
	v_lshrrev_b32_e32 v4, 3, v0
	v_cmp_gt_u32_e32 vcc, 8, v0
	v_ffbh_u32_e32 v0, v2
	v_min_u32_e32 v0, 32, v0
	v_subrev_u32_e32 v2, 28, v0
	v_sub_u32_e32 v0, 29, v0
	v_cndmask_b32_e32 v2, 0, v2, vcc
	v_cndmask_b32_e32 v0, v4, v0, vcc
	v_lshlrev_b64 v[4:5], v2, v[16:17]
	v_lshl_add_u32 v0, v0, 23, v54
	v_lshlrev_b32_e32 v2, 20, v4
	v_lshlrev_b32_e32 v4, 24, v16
	v_and_b32_e32 v2, 0x700000, v2
	v_and_b32_e32 v4, 0x80000000, v4
	v_or3_b32 v2, v4, v0, v2
.LBB4_3507:                             ;   in Loop: Header=BB4_3496 Depth=3
	s_or_b64 exec, exec, s[48:49]
.LBB4_3508:                             ;   in Loop: Header=BB4_3496 Depth=3
	s_or_b64 exec, exec, s[38:39]
.LBB4_3509:                             ;   in Loop: Header=BB4_3496 Depth=3
	s_or_b64 exec, exec, s[40:41]
	v_max_f32_e32 v0, v2, v2
	v_max_f32_e32 v1, v1, v1
	v_max_f32_e32 v4, v1, v0
	s_mov_b64 s[40:41], 0
.LBB4_3510:                             ;   in Loop: Header=BB4_3496 Depth=3
	s_and_b64 vcc, exec, s[40:41]
	s_cbranch_vccz .LBB4_3524
; %bb.3511:                             ;   in Loop: Header=BB4_3496 Depth=3
	v_mov_b32_e32 v2, 0
	v_mov_b32_e32 v1, 0
	s_and_saveexec_b64 s[40:41], s[28:29]
	s_cbranch_execz .LBB4_3517
; %bb.3512:                             ;   in Loop: Header=BB4_3496 Depth=3
	v_cmp_ne_u16_sdwa vcc, v20, s80 src0_sel:BYTE_0 src1_sel:DWORD
	v_bfrev_b32_e32 v1, 1
	s_and_saveexec_b64 s[28:29], vcc
	s_cbranch_execz .LBB4_3516
; %bb.3513:                             ;   in Loop: Header=BB4_3496 Depth=3
	v_and_b32_e32 v0, 0x7f, v20
	v_cmp_ne_u32_e32 vcc, s81, v0
	v_mov_b32_e32 v1, 0x7f800001
	s_and_saveexec_b64 s[38:39], vcc
	s_cbranch_execz .LBB4_3515
; %bb.3514:                             ;   in Loop: Header=BB4_3496 Depth=3
	v_and_b32_e32 v1, 7, v20
	v_lshrrev_b32_e32 v4, 3, v0
	v_cmp_gt_u32_e32 vcc, 8, v0
	v_ffbh_u32_e32 v0, v1
	v_min_u32_e32 v0, 32, v0
	v_subrev_u32_e32 v1, 28, v0
	v_sub_u32_e32 v0, 29, v0
	v_cndmask_b32_e32 v4, v4, v0, vcc
	v_cndmask_b32_e32 v0, 0, v1, vcc
	v_lshlrev_b64 v[0:1], v0, v[20:21]
	v_lshlrev_b32_e32 v1, 24, v20
	v_lshlrev_b32_e32 v0, 20, v0
	v_and_b32_e32 v0, 0x700000, v0
	v_and_b32_e32 v1, 0x80000000, v1
	v_lshl_add_u32 v4, v4, 23, v54
	v_or3_b32 v1, v1, v4, v0
.LBB4_3515:                             ;   in Loop: Header=BB4_3496 Depth=3
	s_or_b64 exec, exec, s[38:39]
.LBB4_3516:                             ;   in Loop: Header=BB4_3496 Depth=3
	s_or_b64 exec, exec, s[28:29]
.LBB4_3517:                             ;   in Loop: Header=BB4_3496 Depth=3
	s_or_b64 exec, exec, s[40:41]
	s_waitcnt vmcnt(1)
	v_cmp_ne_u16_sdwa s[40:41], v16, v3 src0_sel:BYTE_0 src1_sel:DWORD
	s_and_saveexec_b64 s[28:29], s[40:41]
	s_cbranch_execz .LBB4_3523
; %bb.3518:                             ;   in Loop: Header=BB4_3496 Depth=3
	v_cmp_ne_u16_sdwa vcc, v16, s80 src0_sel:BYTE_0 src1_sel:DWORD
	v_bfrev_b32_e32 v2, 1
	s_and_saveexec_b64 s[40:41], vcc
	s_cbranch_execz .LBB4_3522
; %bb.3519:                             ;   in Loop: Header=BB4_3496 Depth=3
	v_and_b32_e32 v0, 0x7f, v16
	v_cmp_ne_u32_e32 vcc, s81, v0
	v_mov_b32_e32 v2, 0x7f800001
	s_and_saveexec_b64 s[38:39], vcc
	s_cbranch_execz .LBB4_3521
; %bb.3520:                             ;   in Loop: Header=BB4_3496 Depth=3
	v_and_b32_e32 v2, 7, v16
	v_lshrrev_b32_e32 v4, 3, v0
	v_cmp_gt_u32_e32 vcc, 8, v0
	v_ffbh_u32_e32 v0, v2
	v_min_u32_e32 v0, 32, v0
	v_subrev_u32_e32 v2, 28, v0
	v_sub_u32_e32 v0, 29, v0
	v_cndmask_b32_e32 v2, 0, v2, vcc
	v_cndmask_b32_e32 v0, v4, v0, vcc
	v_lshlrev_b64 v[4:5], v2, v[16:17]
	v_lshl_add_u32 v0, v0, 23, v54
	v_lshlrev_b32_e32 v2, 20, v4
	v_lshlrev_b32_e32 v4, 24, v16
	v_and_b32_e32 v2, 0x700000, v2
	v_and_b32_e32 v4, 0x80000000, v4
	v_or3_b32 v2, v4, v0, v2
.LBB4_3521:                             ;   in Loop: Header=BB4_3496 Depth=3
	s_or_b64 exec, exec, s[38:39]
.LBB4_3522:                             ;   in Loop: Header=BB4_3496 Depth=3
	s_or_b64 exec, exec, s[40:41]
.LBB4_3523:                             ;   in Loop: Header=BB4_3496 Depth=3
	s_or_b64 exec, exec, s[28:29]
	v_max_f32_e32 v0, v2, v2
	v_max_f32_e32 v1, v1, v1
	v_min_f32_e32 v4, v1, v0
.LBB4_3524:                             ;   in Loop: Header=BB4_3496 Depth=3
	v_and_b32_e32 v2, 0x7f800000, v4
	v_cmp_ne_u64_e32 vcc, s[76:77], v[2:3]
                                        ; implicit-def: $vgpr40
	s_and_saveexec_b64 s[28:29], vcc
	s_xor_b64 s[40:41], exec, s[28:29]
	s_cbranch_execz .LBB4_3538
; %bb.3525:                             ;   in Loop: Header=BB4_3496 Depth=3
	v_and_b32_e32 v2, 0x7fffffff, v4
	v_cmp_gt_u64_e32 vcc, s[78:79], v[2:3]
	v_and_b32_sdwa v1, v4, s80 dst_sel:DWORD dst_unused:UNUSED_PAD src0_sel:BYTE_3 src1_sel:DWORD
                                        ; implicit-def: $vgpr40
	s_and_saveexec_b64 s[28:29], vcc
	s_xor_b64 s[38:39], exec, s[28:29]
	s_cbranch_execz .LBB4_3535
; %bb.3526:                             ;   in Loop: Header=BB4_3496 Depth=3
	v_mov_b32_e32 v40, 0
	v_cmp_ne_u32_e32 vcc, 0, v4
	s_and_saveexec_b64 s[48:49], vcc
	s_cbranch_execz .LBB4_3534
; %bb.3527:                             ;   in Loop: Header=BB4_3496 Depth=3
	v_and_b32_e32 v0, 0x7fffff, v4
	v_bfe_u32 v4, v4, 23, 8
	v_cmp_gt_u32_e64 s[28:29], s83, v4
	v_sub_u32_e32 v2, 0x79, v4
	v_cmp_eq_u32_e32 vcc, 0, v4
	v_cndmask_b32_e64 v2, 0, v2, s[28:29]
	v_mov_b32_e32 v5, 0x78
	v_or_b32_e32 v6, 0x800000, v0
	v_cndmask_b32_e32 v5, v2, v5, vcc
	v_cndmask_b32_e32 v2, v6, v0, vcc
	v_add_u32_e32 v0, 20, v5
	v_lshlrev_b64 v[6:7], v0, -1
	v_add_u32_e32 v0, 19, v5
	v_lshlrev_b64 v[24:25], v0, 1
	v_bfi_b32 v7, v7, 0, 0
	v_bfi_b32 v6, v6, 0, v2
	v_cmp_eq_u64_e64 s[28:29], v[6:7], v[24:25]
	v_lshrrev_b64 v[24:25], v5, v[2:3]
	v_mov_b32_e32 v51, v25
	v_mov_b32_e32 v50, v24
	s_and_saveexec_b64 s[50:51], s[28:29]
; %bb.3528:                             ;   in Loop: Header=BB4_3496 Depth=3
	v_bfe_u32 v0, v24, 20, 1
	v_add_co_u32_e64 v0, s[28:29], v24, v0
	v_add_co_u32_e64 v50, s[28:29], -1, v0
; %bb.3529:                             ;   in Loop: Header=BB4_3496 Depth=3
	s_or_b64 exec, exec, s[50:51]
	v_add_u32_e32 v0, 0xffffff81, v4
	v_mov_b32_e32 v2, 0xffffff82
	v_cndmask_b32_e32 v0, v0, v2, vcc
	v_lshrrev_b32_e32 v2, 23, v24
	v_add3_u32 v5, v5, v0, v2
	v_add_u32_e32 v0, 6, v5
	v_and_b32_e32 v2, 0xfffff, v50
	v_add_u32_e32 v2, v2, v24
	v_cmp_ne_u32_e32 vcc, 0, v0
                                        ; implicit-def: $vgpr24_vgpr25
                                        ; implicit-def: $vgpr4
	s_and_saveexec_b64 s[28:29], vcc
	s_xor_b64 s[28:29], exec, s[28:29]
; %bb.3530:                             ;   in Loop: Header=BB4_3496 Depth=3
	v_cmp_lt_u64_e32 vcc, s[88:89], v[2:3]
	v_add_u32_e32 v4, 7, v5
	v_cndmask_b32_e32 v4, v0, v4, vcc
	v_cndmask_b32_e64 v0, 0, 1, vcc
	v_lshrrev_b64 v[24:25], v0, v[2:3]
; %bb.3531:                             ;   in Loop: Header=BB4_3496 Depth=3
	s_andn2_saveexec_b64 s[28:29], s[28:29]
; %bb.3532:                             ;   in Loop: Header=BB4_3496 Depth=3
	v_mov_b32_e32 v25, v3
	v_bfe_u32 v4, v2, 23, 1
	v_mov_b32_e32 v24, v2
; %bb.3533:                             ;   in Loop: Header=BB4_3496 Depth=3
	s_or_b64 exec, exec, s[28:29]
	v_lshrrev_b64 v[5:6], 20, v[24:25]
	v_cmp_gt_i32_e32 vcc, 16, v4
	v_cndmask_b32_e32 v6, 0, v6, vcc
	v_cndmask_b32_e32 v5, 7, v5, vcc
	v_min_i32_e32 v0, 15, v4
	v_cmp_eq_u64_e64 s[28:29], 0, v[5:6]
	v_lshlrev_b32_e32 v0, 3, v0
	v_cmp_eq_u32_e32 vcc, 0, v4
	v_and_b32_e32 v0, 0xf8, v0
	v_and_or_b32 v0, v5, 7, v0
	s_and_b64 s[28:29], vcc, s[28:29]
	v_cndmask_b32_e64 v0, v0, 0, s[28:29]
	v_or_b32_e32 v40, v0, v1
.LBB4_3534:                             ;   in Loop: Header=BB4_3496 Depth=3
	s_or_b64 exec, exec, s[48:49]
                                        ; implicit-def: $vgpr1
.LBB4_3535:                             ;   in Loop: Header=BB4_3496 Depth=3
	s_andn2_saveexec_b64 s[28:29], s[38:39]
; %bb.3536:                             ;   in Loop: Header=BB4_3496 Depth=3
	v_or_b32_e32 v40, 0x7e, v1
; %bb.3537:                             ;   in Loop: Header=BB4_3496 Depth=3
	s_or_b64 exec, exec, s[28:29]
                                        ; implicit-def: $vgpr4
.LBB4_3538:                             ;   in Loop: Header=BB4_3496 Depth=3
	s_andn2_saveexec_b64 s[28:29], s[40:41]
; %bb.3539:                             ;   in Loop: Header=BB4_3496 Depth=3
	v_or_b32_sdwa v40, v4, s81 dst_sel:DWORD dst_unused:UNUSED_PAD src0_sel:BYTE_3 src1_sel:DWORD
; %bb.3540:                             ;   in Loop: Header=BB4_3496 Depth=3
	s_or_b64 exec, exec, s[28:29]
	v_lshrrev_b16_e32 v24, 8, v20
	s_waitcnt vmcnt(1)
	v_lshrrev_b16_e32 v2, 8, v16
	v_cmp_ne_u16_e64 s[28:29], 0, v24
	s_mov_b64 s[40:41], -1
	s_and_b64 vcc, exec, s[46:47]
                                        ; implicit-def: $vgpr4
	s_cbranch_vccz .LBB4_3554
; %bb.3541:                             ;   in Loop: Header=BB4_3496 Depth=3
	v_mov_b32_e32 v4, 0
	v_mov_b32_e32 v1, 0
	s_and_saveexec_b64 s[40:41], s[28:29]
	s_cbranch_execz .LBB4_3547
; %bb.3542:                             ;   in Loop: Header=BB4_3496 Depth=3
	v_cmp_ne_u16_e32 vcc, s80, v24
	v_bfrev_b32_e32 v1, 1
	s_and_saveexec_b64 s[38:39], vcc
	s_cbranch_execz .LBB4_3546
; %bb.3543:                             ;   in Loop: Header=BB4_3496 Depth=3
	v_and_b32_e32 v0, 0x7f, v24
	v_cmp_ne_u32_e32 vcc, s81, v0
	v_mov_b32_e32 v1, 0x7f800001
	s_and_saveexec_b64 s[48:49], vcc
	s_cbranch_execz .LBB4_3545
; %bb.3544:                             ;   in Loop: Header=BB4_3496 Depth=3
	v_and_b32_e32 v5, 7, v24
	v_lshrrev_b32_e32 v6, 3, v0
	v_cmp_gt_u32_e32 vcc, 8, v0
	v_ffbh_u32_e32 v0, v5
	v_min_u32_e32 v7, 32, v0
	v_subrev_u32_e32 v0, 28, v7
	v_lshlrev_b64 v[0:1], v0, v[24:25]
	v_sub_u32_e32 v1, 29, v7
	v_and_b32_e32 v0, 7, v0
	v_cndmask_b32_e32 v1, v6, v1, vcc
	v_cndmask_b32_e32 v0, v5, v0, vcc
	v_lshlrev_b32_e32 v5, 16, v20
	v_lshlrev_b32_e32 v0, 20, v0
	v_and_b32_e32 v5, 0x80000000, v5
	v_lshl_add_u32 v1, v1, 23, v54
	v_or3_b32 v1, v5, v1, v0
.LBB4_3545:                             ;   in Loop: Header=BB4_3496 Depth=3
	s_or_b64 exec, exec, s[48:49]
.LBB4_3546:                             ;   in Loop: Header=BB4_3496 Depth=3
	s_or_b64 exec, exec, s[38:39]
.LBB4_3547:                             ;   in Loop: Header=BB4_3496 Depth=3
	s_or_b64 exec, exec, s[40:41]
	v_cmp_ne_u16_e32 vcc, 0, v2
	s_and_saveexec_b64 s[40:41], vcc
	s_cbranch_execz .LBB4_3553
; %bb.3548:                             ;   in Loop: Header=BB4_3496 Depth=3
	v_cmp_ne_u16_e32 vcc, s80, v2
	v_bfrev_b32_e32 v4, 1
	s_and_saveexec_b64 s[38:39], vcc
	s_cbranch_execz .LBB4_3552
; %bb.3549:                             ;   in Loop: Header=BB4_3496 Depth=3
	v_and_b32_e32 v0, 0x7f, v2
	v_cmp_ne_u32_e32 vcc, s81, v0
	v_mov_b32_e32 v4, 0x7f800001
	s_and_saveexec_b64 s[48:49], vcc
	s_cbranch_execz .LBB4_3551
; %bb.3550:                             ;   in Loop: Header=BB4_3496 Depth=3
	v_and_b32_e32 v6, 7, v2
	v_lshrrev_b32_e32 v7, 3, v0
	v_cmp_gt_u32_e32 vcc, 8, v0
	v_ffbh_u32_e32 v0, v6
	v_min_u32_e32 v0, 32, v0
	v_subrev_u32_e32 v4, 28, v0
	v_lshlrev_b64 v[4:5], v4, v[2:3]
	v_sub_u32_e32 v0, 29, v0
	v_and_b32_e32 v4, 7, v4
	v_cndmask_b32_e32 v0, v7, v0, vcc
	v_cndmask_b32_e32 v4, v6, v4, vcc
	v_lshlrev_b32_e32 v5, 16, v16
	v_lshlrev_b32_e32 v4, 20, v4
	v_and_b32_e32 v5, 0x80000000, v5
	v_lshl_add_u32 v0, v0, 23, v54
	v_or3_b32 v4, v5, v0, v4
.LBB4_3551:                             ;   in Loop: Header=BB4_3496 Depth=3
	s_or_b64 exec, exec, s[48:49]
.LBB4_3552:                             ;   in Loop: Header=BB4_3496 Depth=3
	s_or_b64 exec, exec, s[38:39]
.LBB4_3553:                             ;   in Loop: Header=BB4_3496 Depth=3
	s_or_b64 exec, exec, s[40:41]
	v_max_f32_e32 v0, v4, v4
	v_max_f32_e32 v1, v1, v1
	v_max_f32_e32 v4, v1, v0
	s_mov_b64 s[40:41], 0
.LBB4_3554:                             ;   in Loop: Header=BB4_3496 Depth=3
	s_and_b64 vcc, exec, s[40:41]
	s_cbranch_vccz .LBB4_3568
; %bb.3555:                             ;   in Loop: Header=BB4_3496 Depth=3
	v_mov_b32_e32 v4, 0
	v_mov_b32_e32 v1, 0
	s_and_saveexec_b64 s[40:41], s[28:29]
	s_cbranch_execz .LBB4_3561
; %bb.3556:                             ;   in Loop: Header=BB4_3496 Depth=3
	v_cmp_ne_u16_e32 vcc, s80, v24
	v_bfrev_b32_e32 v1, 1
	s_and_saveexec_b64 s[28:29], vcc
	s_cbranch_execz .LBB4_3560
; %bb.3557:                             ;   in Loop: Header=BB4_3496 Depth=3
	v_and_b32_e32 v0, 0x7f, v24
	v_cmp_ne_u32_e32 vcc, s81, v0
	v_mov_b32_e32 v1, 0x7f800001
	s_and_saveexec_b64 s[38:39], vcc
	s_cbranch_execz .LBB4_3559
; %bb.3558:                             ;   in Loop: Header=BB4_3496 Depth=3
	v_and_b32_e32 v5, 7, v24
	v_lshrrev_b32_e32 v6, 3, v0
	v_cmp_gt_u32_e32 vcc, 8, v0
	v_ffbh_u32_e32 v0, v5
	v_min_u32_e32 v7, 32, v0
	v_subrev_u32_e32 v0, 28, v7
	v_lshlrev_b64 v[0:1], v0, v[24:25]
	v_sub_u32_e32 v1, 29, v7
	v_and_b32_e32 v0, 7, v0
	v_cndmask_b32_e32 v1, v6, v1, vcc
	v_cndmask_b32_e32 v0, v5, v0, vcc
	v_lshlrev_b32_e32 v5, 16, v20
	v_lshlrev_b32_e32 v0, 20, v0
	v_and_b32_e32 v5, 0x80000000, v5
	v_lshl_add_u32 v1, v1, 23, v54
	v_or3_b32 v1, v5, v1, v0
.LBB4_3559:                             ;   in Loop: Header=BB4_3496 Depth=3
	s_or_b64 exec, exec, s[38:39]
.LBB4_3560:                             ;   in Loop: Header=BB4_3496 Depth=3
	s_or_b64 exec, exec, s[28:29]
.LBB4_3561:                             ;   in Loop: Header=BB4_3496 Depth=3
	s_or_b64 exec, exec, s[40:41]
	v_cmp_ne_u16_e32 vcc, 0, v2
	s_and_saveexec_b64 s[28:29], vcc
	s_cbranch_execz .LBB4_3567
; %bb.3562:                             ;   in Loop: Header=BB4_3496 Depth=3
	v_cmp_ne_u16_e32 vcc, s80, v2
	v_bfrev_b32_e32 v4, 1
	s_and_saveexec_b64 s[40:41], vcc
	s_cbranch_execz .LBB4_3566
; %bb.3563:                             ;   in Loop: Header=BB4_3496 Depth=3
	v_and_b32_e32 v0, 0x7f, v2
	v_cmp_ne_u32_e32 vcc, s81, v0
	v_mov_b32_e32 v4, 0x7f800001
	s_and_saveexec_b64 s[38:39], vcc
	s_cbranch_execz .LBB4_3565
; %bb.3564:                             ;   in Loop: Header=BB4_3496 Depth=3
	v_and_b32_e32 v6, 7, v2
	v_lshrrev_b32_e32 v7, 3, v0
	v_cmp_gt_u32_e32 vcc, 8, v0
	v_ffbh_u32_e32 v0, v6
	v_min_u32_e32 v0, 32, v0
	v_subrev_u32_e32 v4, 28, v0
	v_lshlrev_b64 v[4:5], v4, v[2:3]
	v_sub_u32_e32 v0, 29, v0
	v_and_b32_e32 v2, 7, v4
	v_cndmask_b32_e32 v0, v7, v0, vcc
	v_cndmask_b32_e32 v2, v6, v2, vcc
	v_lshlrev_b32_e32 v4, 16, v16
	v_lshlrev_b32_e32 v2, 20, v2
	v_and_b32_e32 v4, 0x80000000, v4
	v_lshl_add_u32 v0, v0, 23, v54
	v_or3_b32 v4, v4, v0, v2
.LBB4_3565:                             ;   in Loop: Header=BB4_3496 Depth=3
	s_or_b64 exec, exec, s[38:39]
.LBB4_3566:                             ;   in Loop: Header=BB4_3496 Depth=3
	s_or_b64 exec, exec, s[40:41]
.LBB4_3567:                             ;   in Loop: Header=BB4_3496 Depth=3
	s_or_b64 exec, exec, s[28:29]
	v_max_f32_e32 v0, v4, v4
	v_max_f32_e32 v1, v1, v1
	v_min_f32_e32 v4, v1, v0
.LBB4_3568:                             ;   in Loop: Header=BB4_3496 Depth=3
	v_and_b32_e32 v2, 0x7f800000, v4
	v_cmp_ne_u64_e32 vcc, s[76:77], v[2:3]
                                        ; implicit-def: $vgpr41
	s_and_saveexec_b64 s[28:29], vcc
	s_xor_b64 s[40:41], exec, s[28:29]
	s_cbranch_execz .LBB4_3582
; %bb.3569:                             ;   in Loop: Header=BB4_3496 Depth=3
	v_and_b32_e32 v2, 0x7fffffff, v4
	v_cmp_gt_u64_e32 vcc, s[78:79], v[2:3]
	v_and_b32_sdwa v1, v4, s80 dst_sel:DWORD dst_unused:UNUSED_PAD src0_sel:BYTE_3 src1_sel:DWORD
                                        ; implicit-def: $vgpr41
	s_and_saveexec_b64 s[28:29], vcc
	s_xor_b64 s[38:39], exec, s[28:29]
	s_cbranch_execz .LBB4_3579
; %bb.3570:                             ;   in Loop: Header=BB4_3496 Depth=3
	v_mov_b32_e32 v41, 0
	v_cmp_ne_u32_e32 vcc, 0, v4
	s_and_saveexec_b64 s[48:49], vcc
	s_cbranch_execz .LBB4_3578
; %bb.3571:                             ;   in Loop: Header=BB4_3496 Depth=3
	v_and_b32_e32 v0, 0x7fffff, v4
	v_bfe_u32 v4, v4, 23, 8
	v_cmp_gt_u32_e64 s[28:29], s83, v4
	v_sub_u32_e32 v2, 0x79, v4
	v_cmp_eq_u32_e32 vcc, 0, v4
	v_cndmask_b32_e64 v2, 0, v2, s[28:29]
	v_mov_b32_e32 v5, 0x78
	v_or_b32_e32 v6, 0x800000, v0
	v_cndmask_b32_e32 v5, v2, v5, vcc
	v_cndmask_b32_e32 v2, v6, v0, vcc
	v_add_u32_e32 v0, 20, v5
	v_lshlrev_b64 v[6:7], v0, -1
	v_add_u32_e32 v0, 19, v5
	v_lshlrev_b64 v[24:25], v0, 1
	v_bfi_b32 v7, v7, 0, 0
	v_bfi_b32 v6, v6, 0, v2
	v_cmp_eq_u64_e64 s[28:29], v[6:7], v[24:25]
	v_lshrrev_b64 v[24:25], v5, v[2:3]
	v_mov_b32_e32 v51, v25
	v_mov_b32_e32 v50, v24
	s_and_saveexec_b64 s[50:51], s[28:29]
; %bb.3572:                             ;   in Loop: Header=BB4_3496 Depth=3
	v_bfe_u32 v0, v24, 20, 1
	v_add_co_u32_e64 v0, s[28:29], v24, v0
	v_add_co_u32_e64 v50, s[28:29], -1, v0
; %bb.3573:                             ;   in Loop: Header=BB4_3496 Depth=3
	s_or_b64 exec, exec, s[50:51]
	v_add_u32_e32 v0, 0xffffff81, v4
	v_mov_b32_e32 v2, 0xffffff82
	v_cndmask_b32_e32 v0, v0, v2, vcc
	v_lshrrev_b32_e32 v2, 23, v24
	v_add3_u32 v5, v5, v0, v2
	v_add_u32_e32 v0, 6, v5
	v_and_b32_e32 v2, 0xfffff, v50
	v_add_u32_e32 v2, v2, v24
	v_cmp_ne_u32_e32 vcc, 0, v0
                                        ; implicit-def: $vgpr24_vgpr25
                                        ; implicit-def: $vgpr4
	s_and_saveexec_b64 s[28:29], vcc
	s_xor_b64 s[28:29], exec, s[28:29]
; %bb.3574:                             ;   in Loop: Header=BB4_3496 Depth=3
	v_cmp_lt_u64_e32 vcc, s[88:89], v[2:3]
	v_add_u32_e32 v4, 7, v5
	v_cndmask_b32_e32 v4, v0, v4, vcc
	v_cndmask_b32_e64 v0, 0, 1, vcc
	v_lshrrev_b64 v[24:25], v0, v[2:3]
; %bb.3575:                             ;   in Loop: Header=BB4_3496 Depth=3
	s_andn2_saveexec_b64 s[28:29], s[28:29]
; %bb.3576:                             ;   in Loop: Header=BB4_3496 Depth=3
	v_mov_b32_e32 v25, v3
	v_bfe_u32 v4, v2, 23, 1
	v_mov_b32_e32 v24, v2
; %bb.3577:                             ;   in Loop: Header=BB4_3496 Depth=3
	s_or_b64 exec, exec, s[28:29]
	v_lshrrev_b64 v[5:6], 20, v[24:25]
	v_cmp_gt_i32_e32 vcc, 16, v4
	v_cndmask_b32_e32 v6, 0, v6, vcc
	v_cndmask_b32_e32 v5, 7, v5, vcc
	v_min_i32_e32 v0, 15, v4
	v_cmp_eq_u64_e64 s[28:29], 0, v[5:6]
	v_lshlrev_b32_e32 v0, 3, v0
	v_cmp_eq_u32_e32 vcc, 0, v4
	v_and_b32_e32 v0, 0xf8, v0
	v_and_or_b32 v0, v5, 7, v0
	s_and_b64 s[28:29], vcc, s[28:29]
	v_cndmask_b32_e64 v0, v0, 0, s[28:29]
	v_or_b32_e32 v41, v0, v1
.LBB4_3578:                             ;   in Loop: Header=BB4_3496 Depth=3
	s_or_b64 exec, exec, s[48:49]
                                        ; implicit-def: $vgpr1
.LBB4_3579:                             ;   in Loop: Header=BB4_3496 Depth=3
	s_andn2_saveexec_b64 s[28:29], s[38:39]
; %bb.3580:                             ;   in Loop: Header=BB4_3496 Depth=3
	v_or_b32_e32 v41, 0x7e, v1
; %bb.3581:                             ;   in Loop: Header=BB4_3496 Depth=3
	s_or_b64 exec, exec, s[28:29]
                                        ; implicit-def: $vgpr4
.LBB4_3582:                             ;   in Loop: Header=BB4_3496 Depth=3
	s_andn2_saveexec_b64 s[28:29], s[40:41]
; %bb.3583:                             ;   in Loop: Header=BB4_3496 Depth=3
	v_or_b32_sdwa v41, v4, s81 dst_sel:DWORD dst_unused:UNUSED_PAD src0_sel:BYTE_3 src1_sel:DWORD
; %bb.3584:                             ;   in Loop: Header=BB4_3496 Depth=3
	s_or_b64 exec, exec, s[28:29]
	v_lshrrev_b32_e32 v24, 16, v20
	v_lshrrev_b32_e32 v2, 16, v16
	v_cmp_ne_u16_sdwa s[28:29], v24, v3 src0_sel:BYTE_0 src1_sel:DWORD
	s_mov_b64 s[40:41], -1
	s_and_b64 vcc, exec, s[46:47]
                                        ; implicit-def: $vgpr4
	s_cbranch_vccz .LBB4_3598
; %bb.3585:                             ;   in Loop: Header=BB4_3496 Depth=3
	v_mov_b32_e32 v4, 0
	v_mov_b32_e32 v1, 0
	s_and_saveexec_b64 s[40:41], s[28:29]
	s_cbranch_execz .LBB4_3591
; %bb.3586:                             ;   in Loop: Header=BB4_3496 Depth=3
	v_cmp_ne_u16_sdwa vcc, v24, s80 src0_sel:BYTE_0 src1_sel:DWORD
	v_bfrev_b32_e32 v1, 1
	s_and_saveexec_b64 s[38:39], vcc
	s_cbranch_execz .LBB4_3590
; %bb.3587:                             ;   in Loop: Header=BB4_3496 Depth=3
	v_bfe_u32 v0, v20, 16, 7
	v_cmp_ne_u32_e32 vcc, s81, v0
	v_mov_b32_e32 v1, 0x7f800001
	s_and_saveexec_b64 s[48:49], vcc
	s_cbranch_execz .LBB4_3589
; %bb.3588:                             ;   in Loop: Header=BB4_3496 Depth=3
	v_and_b32_e32 v5, 7, v24
	v_lshrrev_b32_e32 v6, 3, v0
	v_cmp_gt_u32_e32 vcc, 8, v0
	v_ffbh_u32_e32 v0, v5
	v_min_u32_e32 v7, 32, v0
	v_subrev_u32_e32 v0, 28, v7
	v_lshlrev_b64 v[0:1], v0, v[24:25]
	v_sub_u32_e32 v1, 29, v7
	v_and_b32_e32 v0, 7, v0
	v_cndmask_b32_e32 v1, v6, v1, vcc
	v_cndmask_b32_e32 v0, v5, v0, vcc
	v_lshlrev_b32_e32 v5, 24, v24
	v_lshlrev_b32_e32 v0, 20, v0
	v_and_b32_e32 v5, 0x80000000, v5
	v_lshl_add_u32 v1, v1, 23, v54
	v_or3_b32 v1, v5, v1, v0
.LBB4_3589:                             ;   in Loop: Header=BB4_3496 Depth=3
	s_or_b64 exec, exec, s[48:49]
.LBB4_3590:                             ;   in Loop: Header=BB4_3496 Depth=3
	s_or_b64 exec, exec, s[38:39]
.LBB4_3591:                             ;   in Loop: Header=BB4_3496 Depth=3
	s_or_b64 exec, exec, s[40:41]
	v_cmp_ne_u16_sdwa vcc, v2, v3 src0_sel:BYTE_0 src1_sel:DWORD
	s_and_saveexec_b64 s[40:41], vcc
	s_cbranch_execz .LBB4_3597
; %bb.3592:                             ;   in Loop: Header=BB4_3496 Depth=3
	v_cmp_ne_u16_sdwa vcc, v2, s80 src0_sel:BYTE_0 src1_sel:DWORD
	v_bfrev_b32_e32 v4, 1
	s_and_saveexec_b64 s[38:39], vcc
	s_cbranch_execz .LBB4_3596
; %bb.3593:                             ;   in Loop: Header=BB4_3496 Depth=3
	v_bfe_u32 v0, v16, 16, 7
	v_cmp_ne_u32_e32 vcc, s81, v0
	v_mov_b32_e32 v4, 0x7f800001
	s_and_saveexec_b64 s[48:49], vcc
	s_cbranch_execz .LBB4_3595
; %bb.3594:                             ;   in Loop: Header=BB4_3496 Depth=3
	v_and_b32_e32 v6, 7, v2
	v_lshrrev_b32_e32 v7, 3, v0
	v_cmp_gt_u32_e32 vcc, 8, v0
	v_ffbh_u32_e32 v0, v6
	v_min_u32_e32 v0, 32, v0
	v_subrev_u32_e32 v4, 28, v0
	v_lshlrev_b64 v[4:5], v4, v[2:3]
	v_sub_u32_e32 v0, 29, v0
	v_and_b32_e32 v4, 7, v4
	v_cndmask_b32_e32 v0, v7, v0, vcc
	v_cndmask_b32_e32 v4, v6, v4, vcc
	v_lshlrev_b32_e32 v5, 24, v2
	v_lshlrev_b32_e32 v4, 20, v4
	v_and_b32_e32 v5, 0x80000000, v5
	v_lshl_add_u32 v0, v0, 23, v54
	v_or3_b32 v4, v5, v0, v4
.LBB4_3595:                             ;   in Loop: Header=BB4_3496 Depth=3
	s_or_b64 exec, exec, s[48:49]
.LBB4_3596:                             ;   in Loop: Header=BB4_3496 Depth=3
	s_or_b64 exec, exec, s[38:39]
.LBB4_3597:                             ;   in Loop: Header=BB4_3496 Depth=3
	s_or_b64 exec, exec, s[40:41]
	v_max_f32_e32 v0, v4, v4
	v_max_f32_e32 v1, v1, v1
	;; [unrolled: 1-line block ×3, first 2 shown]
	s_mov_b64 s[40:41], 0
.LBB4_3598:                             ;   in Loop: Header=BB4_3496 Depth=3
	s_and_b64 vcc, exec, s[40:41]
	s_cbranch_vccz .LBB4_3612
; %bb.3599:                             ;   in Loop: Header=BB4_3496 Depth=3
	v_mov_b32_e32 v4, 0
	v_mov_b32_e32 v1, 0
	s_and_saveexec_b64 s[40:41], s[28:29]
	s_cbranch_execz .LBB4_3605
; %bb.3600:                             ;   in Loop: Header=BB4_3496 Depth=3
	v_cmp_ne_u16_sdwa vcc, v24, s80 src0_sel:BYTE_0 src1_sel:DWORD
	v_bfrev_b32_e32 v1, 1
	s_and_saveexec_b64 s[28:29], vcc
	s_cbranch_execz .LBB4_3604
; %bb.3601:                             ;   in Loop: Header=BB4_3496 Depth=3
	v_bfe_u32 v0, v20, 16, 7
	v_cmp_ne_u32_e32 vcc, s81, v0
	v_mov_b32_e32 v1, 0x7f800001
	s_and_saveexec_b64 s[38:39], vcc
	s_cbranch_execz .LBB4_3603
; %bb.3602:                             ;   in Loop: Header=BB4_3496 Depth=3
	v_and_b32_e32 v5, 7, v24
	v_lshrrev_b32_e32 v6, 3, v0
	v_cmp_gt_u32_e32 vcc, 8, v0
	v_ffbh_u32_e32 v0, v5
	v_min_u32_e32 v7, 32, v0
	v_subrev_u32_e32 v0, 28, v7
	v_lshlrev_b64 v[0:1], v0, v[24:25]
	v_sub_u32_e32 v1, 29, v7
	v_and_b32_e32 v0, 7, v0
	v_cndmask_b32_e32 v1, v6, v1, vcc
	v_cndmask_b32_e32 v0, v5, v0, vcc
	v_lshlrev_b32_e32 v5, 24, v24
	v_lshlrev_b32_e32 v0, 20, v0
	v_and_b32_e32 v5, 0x80000000, v5
	v_lshl_add_u32 v1, v1, 23, v54
	v_or3_b32 v1, v5, v1, v0
.LBB4_3603:                             ;   in Loop: Header=BB4_3496 Depth=3
	s_or_b64 exec, exec, s[38:39]
.LBB4_3604:                             ;   in Loop: Header=BB4_3496 Depth=3
	s_or_b64 exec, exec, s[28:29]
.LBB4_3605:                             ;   in Loop: Header=BB4_3496 Depth=3
	s_or_b64 exec, exec, s[40:41]
	v_cmp_ne_u16_sdwa s[40:41], v2, v3 src0_sel:BYTE_0 src1_sel:DWORD
	s_and_saveexec_b64 s[28:29], s[40:41]
	s_cbranch_execz .LBB4_3611
; %bb.3606:                             ;   in Loop: Header=BB4_3496 Depth=3
	v_cmp_ne_u16_sdwa vcc, v2, s80 src0_sel:BYTE_0 src1_sel:DWORD
	v_bfrev_b32_e32 v4, 1
	s_and_saveexec_b64 s[40:41], vcc
	s_cbranch_execz .LBB4_3610
; %bb.3607:                             ;   in Loop: Header=BB4_3496 Depth=3
	v_bfe_u32 v0, v16, 16, 7
	v_cmp_ne_u32_e32 vcc, s81, v0
	v_mov_b32_e32 v4, 0x7f800001
	s_and_saveexec_b64 s[38:39], vcc
	s_cbranch_execz .LBB4_3609
; %bb.3608:                             ;   in Loop: Header=BB4_3496 Depth=3
	v_and_b32_e32 v6, 7, v2
	v_lshrrev_b32_e32 v7, 3, v0
	v_cmp_gt_u32_e32 vcc, 8, v0
	v_ffbh_u32_e32 v0, v6
	v_min_u32_e32 v0, 32, v0
	v_subrev_u32_e32 v4, 28, v0
	v_lshlrev_b64 v[4:5], v4, v[2:3]
	v_sub_u32_e32 v0, 29, v0
	v_and_b32_e32 v4, 7, v4
	v_cndmask_b32_e32 v0, v7, v0, vcc
	v_cndmask_b32_e32 v4, v6, v4, vcc
	v_lshlrev_b32_e32 v2, 24, v2
	v_lshlrev_b32_e32 v4, 20, v4
	v_and_b32_e32 v2, 0x80000000, v2
	v_lshl_add_u32 v0, v0, 23, v54
	v_or3_b32 v4, v2, v0, v4
.LBB4_3609:                             ;   in Loop: Header=BB4_3496 Depth=3
	s_or_b64 exec, exec, s[38:39]
.LBB4_3610:                             ;   in Loop: Header=BB4_3496 Depth=3
	s_or_b64 exec, exec, s[40:41]
.LBB4_3611:                             ;   in Loop: Header=BB4_3496 Depth=3
	s_or_b64 exec, exec, s[28:29]
	v_max_f32_e32 v0, v4, v4
	v_max_f32_e32 v1, v1, v1
	v_min_f32_e32 v4, v1, v0
.LBB4_3612:                             ;   in Loop: Header=BB4_3496 Depth=3
	v_and_b32_e32 v2, 0x7f800000, v4
	v_cmp_ne_u64_e32 vcc, s[76:77], v[2:3]
                                        ; implicit-def: $vgpr34
	s_and_saveexec_b64 s[28:29], vcc
	s_xor_b64 s[40:41], exec, s[28:29]
	s_cbranch_execz .LBB4_3626
; %bb.3613:                             ;   in Loop: Header=BB4_3496 Depth=3
	v_and_b32_e32 v2, 0x7fffffff, v4
	v_cmp_gt_u64_e32 vcc, s[78:79], v[2:3]
	v_and_b32_sdwa v1, v4, s80 dst_sel:DWORD dst_unused:UNUSED_PAD src0_sel:BYTE_3 src1_sel:DWORD
                                        ; implicit-def: $vgpr34
	s_and_saveexec_b64 s[28:29], vcc
	s_xor_b64 s[38:39], exec, s[28:29]
	s_cbranch_execz .LBB4_3623
; %bb.3614:                             ;   in Loop: Header=BB4_3496 Depth=3
	v_mov_b32_e32 v34, 0
	v_cmp_ne_u32_e32 vcc, 0, v4
	s_and_saveexec_b64 s[48:49], vcc
	s_cbranch_execz .LBB4_3622
; %bb.3615:                             ;   in Loop: Header=BB4_3496 Depth=3
	v_and_b32_e32 v0, 0x7fffff, v4
	v_bfe_u32 v4, v4, 23, 8
	v_cmp_gt_u32_e64 s[28:29], s83, v4
	v_sub_u32_e32 v2, 0x79, v4
	v_cmp_eq_u32_e32 vcc, 0, v4
	v_cndmask_b32_e64 v2, 0, v2, s[28:29]
	v_mov_b32_e32 v5, 0x78
	v_or_b32_e32 v6, 0x800000, v0
	v_cndmask_b32_e32 v5, v2, v5, vcc
	v_cndmask_b32_e32 v2, v6, v0, vcc
	v_add_u32_e32 v0, 20, v5
	v_lshlrev_b64 v[6:7], v0, -1
	v_add_u32_e32 v0, 19, v5
	v_lshlrev_b64 v[24:25], v0, 1
	v_bfi_b32 v7, v7, 0, 0
	v_bfi_b32 v6, v6, 0, v2
	v_cmp_eq_u64_e64 s[28:29], v[6:7], v[24:25]
	v_lshrrev_b64 v[24:25], v5, v[2:3]
	v_mov_b32_e32 v51, v25
	v_mov_b32_e32 v50, v24
	s_and_saveexec_b64 s[50:51], s[28:29]
; %bb.3616:                             ;   in Loop: Header=BB4_3496 Depth=3
	v_bfe_u32 v0, v24, 20, 1
	v_add_co_u32_e64 v0, s[28:29], v24, v0
	v_add_co_u32_e64 v50, s[28:29], -1, v0
; %bb.3617:                             ;   in Loop: Header=BB4_3496 Depth=3
	s_or_b64 exec, exec, s[50:51]
	v_add_u32_e32 v0, 0xffffff81, v4
	v_mov_b32_e32 v2, 0xffffff82
	v_cndmask_b32_e32 v0, v0, v2, vcc
	v_lshrrev_b32_e32 v2, 23, v24
	v_add3_u32 v5, v5, v0, v2
	v_add_u32_e32 v0, 6, v5
	v_and_b32_e32 v2, 0xfffff, v50
	v_add_u32_e32 v2, v2, v24
	v_cmp_ne_u32_e32 vcc, 0, v0
                                        ; implicit-def: $vgpr24_vgpr25
                                        ; implicit-def: $vgpr4
	s_and_saveexec_b64 s[28:29], vcc
	s_xor_b64 s[28:29], exec, s[28:29]
; %bb.3618:                             ;   in Loop: Header=BB4_3496 Depth=3
	v_cmp_lt_u64_e32 vcc, s[88:89], v[2:3]
	v_add_u32_e32 v4, 7, v5
	v_cndmask_b32_e32 v4, v0, v4, vcc
	v_cndmask_b32_e64 v0, 0, 1, vcc
	v_lshrrev_b64 v[24:25], v0, v[2:3]
; %bb.3619:                             ;   in Loop: Header=BB4_3496 Depth=3
	s_andn2_saveexec_b64 s[28:29], s[28:29]
; %bb.3620:                             ;   in Loop: Header=BB4_3496 Depth=3
	v_mov_b32_e32 v25, v3
	v_bfe_u32 v4, v2, 23, 1
	v_mov_b32_e32 v24, v2
; %bb.3621:                             ;   in Loop: Header=BB4_3496 Depth=3
	s_or_b64 exec, exec, s[28:29]
	v_lshrrev_b64 v[5:6], 20, v[24:25]
	v_cmp_gt_i32_e32 vcc, 16, v4
	v_cndmask_b32_e32 v6, 0, v6, vcc
	v_cndmask_b32_e32 v5, 7, v5, vcc
	v_min_i32_e32 v0, 15, v4
	v_cmp_eq_u64_e64 s[28:29], 0, v[5:6]
	v_lshlrev_b32_e32 v0, 3, v0
	v_cmp_eq_u32_e32 vcc, 0, v4
	v_and_b32_e32 v0, 0xf8, v0
	v_and_or_b32 v0, v5, 7, v0
	s_and_b64 s[28:29], vcc, s[28:29]
	v_cndmask_b32_e64 v0, v0, 0, s[28:29]
	v_or_b32_e32 v34, v0, v1
.LBB4_3622:                             ;   in Loop: Header=BB4_3496 Depth=3
	s_or_b64 exec, exec, s[48:49]
                                        ; implicit-def: $vgpr1
.LBB4_3623:                             ;   in Loop: Header=BB4_3496 Depth=3
	s_andn2_saveexec_b64 s[28:29], s[38:39]
; %bb.3624:                             ;   in Loop: Header=BB4_3496 Depth=3
	v_or_b32_e32 v34, 0x7e, v1
; %bb.3625:                             ;   in Loop: Header=BB4_3496 Depth=3
	s_or_b64 exec, exec, s[28:29]
                                        ; implicit-def: $vgpr4
.LBB4_3626:                             ;   in Loop: Header=BB4_3496 Depth=3
	s_andn2_saveexec_b64 s[28:29], s[40:41]
; %bb.3627:                             ;   in Loop: Header=BB4_3496 Depth=3
	v_or_b32_sdwa v34, v4, s81 dst_sel:DWORD dst_unused:UNUSED_PAD src0_sel:BYTE_3 src1_sel:DWORD
; %bb.3628:                             ;   in Loop: Header=BB4_3496 Depth=3
	s_or_b64 exec, exec, s[28:29]
	v_lshrrev_b32_e32 v24, 24, v20
	v_lshrrev_b32_e32 v2, 24, v16
	v_cmp_lt_u32_e64 s[28:29], s63, v20
	s_mov_b64 s[40:41], -1
	s_and_b64 vcc, exec, s[46:47]
                                        ; implicit-def: $vgpr4
	s_cbranch_vccz .LBB4_3642
; %bb.3629:                             ;   in Loop: Header=BB4_3496 Depth=3
	v_mov_b32_e32 v4, 0
	v_mov_b32_e32 v1, 0
	s_and_saveexec_b64 s[40:41], s[28:29]
	s_cbranch_execz .LBB4_3635
; %bb.3630:                             ;   in Loop: Header=BB4_3496 Depth=3
	v_cmp_ne_u32_e32 vcc, s80, v24
	v_bfrev_b32_e32 v1, 1
	s_and_saveexec_b64 s[38:39], vcc
	s_cbranch_execz .LBB4_3634
; %bb.3631:                             ;   in Loop: Header=BB4_3496 Depth=3
	v_bfe_u32 v0, v20, 24, 7
	v_cmp_ne_u32_e32 vcc, s81, v0
	v_mov_b32_e32 v1, 0x7f800001
	s_and_saveexec_b64 s[48:49], vcc
	s_cbranch_execz .LBB4_3633
; %bb.3632:                             ;   in Loop: Header=BB4_3496 Depth=3
	v_and_b32_e32 v5, 7, v24
	v_lshrrev_b32_e32 v6, 3, v0
	v_cmp_gt_u32_e32 vcc, 8, v0
	v_ffbh_u32_e32 v0, v5
	v_min_u32_e32 v7, 32, v0
	v_subrev_u32_e32 v0, 28, v7
	v_lshlrev_b64 v[0:1], v0, v[24:25]
	v_sub_u32_e32 v1, 29, v7
	v_and_b32_e32 v0, 7, v0
	v_cndmask_b32_e32 v1, v6, v1, vcc
	v_cndmask_b32_e32 v0, v5, v0, vcc
	v_lshlrev_b32_e32 v5, 24, v24
	v_lshlrev_b32_e32 v0, 20, v0
	v_and_b32_e32 v5, 0x80000000, v5
	v_lshl_add_u32 v1, v1, 23, v54
	v_or3_b32 v1, v5, v1, v0
.LBB4_3633:                             ;   in Loop: Header=BB4_3496 Depth=3
	s_or_b64 exec, exec, s[48:49]
.LBB4_3634:                             ;   in Loop: Header=BB4_3496 Depth=3
	s_or_b64 exec, exec, s[38:39]
.LBB4_3635:                             ;   in Loop: Header=BB4_3496 Depth=3
	s_or_b64 exec, exec, s[40:41]
	v_cmp_lt_u32_e32 vcc, s63, v16
	s_and_saveexec_b64 s[40:41], vcc
	s_cbranch_execz .LBB4_3641
; %bb.3636:                             ;   in Loop: Header=BB4_3496 Depth=3
	v_cmp_ne_u32_e32 vcc, s80, v2
	v_bfrev_b32_e32 v4, 1
	s_and_saveexec_b64 s[38:39], vcc
	s_cbranch_execz .LBB4_3640
; %bb.3637:                             ;   in Loop: Header=BB4_3496 Depth=3
	v_bfe_u32 v0, v16, 24, 7
	v_cmp_ne_u32_e32 vcc, s81, v0
	v_mov_b32_e32 v4, 0x7f800001
	s_and_saveexec_b64 s[48:49], vcc
	s_cbranch_execz .LBB4_3639
; %bb.3638:                             ;   in Loop: Header=BB4_3496 Depth=3
	v_and_b32_e32 v6, 7, v2
	v_lshrrev_b32_e32 v7, 3, v0
	v_cmp_gt_u32_e32 vcc, 8, v0
	v_ffbh_u32_e32 v0, v6
	v_min_u32_e32 v0, 32, v0
	v_subrev_u32_e32 v4, 28, v0
	v_lshlrev_b64 v[4:5], v4, v[2:3]
	v_sub_u32_e32 v0, 29, v0
	v_and_b32_e32 v4, 7, v4
	v_cndmask_b32_e32 v0, v7, v0, vcc
	v_cndmask_b32_e32 v4, v6, v4, vcc
	v_lshlrev_b32_e32 v5, 24, v2
	v_lshlrev_b32_e32 v4, 20, v4
	v_and_b32_e32 v5, 0x80000000, v5
	v_lshl_add_u32 v0, v0, 23, v54
	v_or3_b32 v4, v5, v0, v4
.LBB4_3639:                             ;   in Loop: Header=BB4_3496 Depth=3
	s_or_b64 exec, exec, s[48:49]
.LBB4_3640:                             ;   in Loop: Header=BB4_3496 Depth=3
	s_or_b64 exec, exec, s[38:39]
.LBB4_3641:                             ;   in Loop: Header=BB4_3496 Depth=3
	s_or_b64 exec, exec, s[40:41]
	v_max_f32_e32 v0, v4, v4
	v_max_f32_e32 v1, v1, v1
	;; [unrolled: 1-line block ×3, first 2 shown]
	s_mov_b64 s[40:41], 0
.LBB4_3642:                             ;   in Loop: Header=BB4_3496 Depth=3
	s_and_b64 vcc, exec, s[40:41]
	s_cbranch_vccz .LBB4_3656
; %bb.3643:                             ;   in Loop: Header=BB4_3496 Depth=3
	v_mov_b32_e32 v4, 0
	v_mov_b32_e32 v1, 0
	s_and_saveexec_b64 s[40:41], s[28:29]
	s_cbranch_execz .LBB4_3649
; %bb.3644:                             ;   in Loop: Header=BB4_3496 Depth=3
	v_cmp_ne_u32_e32 vcc, s80, v24
	v_bfrev_b32_e32 v1, 1
	s_and_saveexec_b64 s[28:29], vcc
	s_cbranch_execz .LBB4_3648
; %bb.3645:                             ;   in Loop: Header=BB4_3496 Depth=3
	v_bfe_u32 v0, v20, 24, 7
	v_cmp_ne_u32_e32 vcc, s81, v0
	v_mov_b32_e32 v1, 0x7f800001
	s_and_saveexec_b64 s[38:39], vcc
	s_cbranch_execz .LBB4_3647
; %bb.3646:                             ;   in Loop: Header=BB4_3496 Depth=3
	v_and_b32_e32 v5, 7, v24
	v_lshrrev_b32_e32 v6, 3, v0
	v_cmp_gt_u32_e32 vcc, 8, v0
	v_ffbh_u32_e32 v0, v5
	v_min_u32_e32 v7, 32, v0
	v_subrev_u32_e32 v0, 28, v7
	v_lshlrev_b64 v[0:1], v0, v[24:25]
	v_sub_u32_e32 v1, 29, v7
	v_and_b32_e32 v0, 7, v0
	v_cndmask_b32_e32 v1, v6, v1, vcc
	v_cndmask_b32_e32 v0, v5, v0, vcc
	v_lshlrev_b32_e32 v5, 24, v24
	v_lshlrev_b32_e32 v0, 20, v0
	v_and_b32_e32 v5, 0x80000000, v5
	v_lshl_add_u32 v1, v1, 23, v54
	v_or3_b32 v1, v5, v1, v0
.LBB4_3647:                             ;   in Loop: Header=BB4_3496 Depth=3
	s_or_b64 exec, exec, s[38:39]
.LBB4_3648:                             ;   in Loop: Header=BB4_3496 Depth=3
	s_or_b64 exec, exec, s[28:29]
.LBB4_3649:                             ;   in Loop: Header=BB4_3496 Depth=3
	s_or_b64 exec, exec, s[40:41]
	v_cmp_lt_u32_e32 vcc, s63, v16
	s_and_saveexec_b64 s[28:29], vcc
	s_cbranch_execz .LBB4_3655
; %bb.3650:                             ;   in Loop: Header=BB4_3496 Depth=3
	v_cmp_ne_u32_e32 vcc, s80, v2
	v_bfrev_b32_e32 v4, 1
	s_and_saveexec_b64 s[40:41], vcc
	s_cbranch_execz .LBB4_3654
; %bb.3651:                             ;   in Loop: Header=BB4_3496 Depth=3
	v_bfe_u32 v0, v16, 24, 7
	v_cmp_ne_u32_e32 vcc, s81, v0
	v_mov_b32_e32 v4, 0x7f800001
	s_and_saveexec_b64 s[38:39], vcc
	s_cbranch_execz .LBB4_3653
; %bb.3652:                             ;   in Loop: Header=BB4_3496 Depth=3
	v_and_b32_e32 v6, 7, v2
	v_lshrrev_b32_e32 v7, 3, v0
	v_cmp_gt_u32_e32 vcc, 8, v0
	v_ffbh_u32_e32 v0, v6
	v_min_u32_e32 v0, 32, v0
	v_subrev_u32_e32 v4, 28, v0
	v_lshlrev_b64 v[4:5], v4, v[2:3]
	v_sub_u32_e32 v0, 29, v0
	v_and_b32_e32 v4, 7, v4
	v_cndmask_b32_e32 v0, v7, v0, vcc
	v_cndmask_b32_e32 v4, v6, v4, vcc
	v_lshlrev_b32_e32 v2, 24, v2
	v_lshlrev_b32_e32 v4, 20, v4
	v_and_b32_e32 v2, 0x80000000, v2
	v_lshl_add_u32 v0, v0, 23, v54
	v_or3_b32 v4, v2, v0, v4
.LBB4_3653:                             ;   in Loop: Header=BB4_3496 Depth=3
	s_or_b64 exec, exec, s[38:39]
.LBB4_3654:                             ;   in Loop: Header=BB4_3496 Depth=3
	s_or_b64 exec, exec, s[40:41]
.LBB4_3655:                             ;   in Loop: Header=BB4_3496 Depth=3
	s_or_b64 exec, exec, s[28:29]
	v_max_f32_e32 v0, v4, v4
	v_max_f32_e32 v1, v1, v1
	v_min_f32_e32 v4, v1, v0
.LBB4_3656:                             ;   in Loop: Header=BB4_3496 Depth=3
	v_and_b32_e32 v2, 0x7f800000, v4
	v_cmp_ne_u64_e32 vcc, s[76:77], v[2:3]
                                        ; implicit-def: $vgpr6
	s_and_saveexec_b64 s[28:29], vcc
	s_xor_b64 s[40:41], exec, s[28:29]
	s_cbranch_execz .LBB4_3670
; %bb.3657:                             ;   in Loop: Header=BB4_3496 Depth=3
	v_and_b32_e32 v2, 0x7fffffff, v4
	v_cmp_gt_u64_e32 vcc, s[78:79], v[2:3]
	v_and_b32_sdwa v1, v4, s80 dst_sel:DWORD dst_unused:UNUSED_PAD src0_sel:BYTE_3 src1_sel:DWORD
                                        ; implicit-def: $vgpr6
	s_and_saveexec_b64 s[28:29], vcc
	s_xor_b64 s[38:39], exec, s[28:29]
	s_cbranch_execz .LBB4_3667
; %bb.3658:                             ;   in Loop: Header=BB4_3496 Depth=3
	v_mov_b32_e32 v6, 0
	v_cmp_ne_u32_e32 vcc, 0, v4
	s_and_saveexec_b64 s[48:49], vcc
	s_cbranch_execz .LBB4_3666
; %bb.3659:                             ;   in Loop: Header=BB4_3496 Depth=3
	v_and_b32_e32 v0, 0x7fffff, v4
	v_bfe_u32 v4, v4, 23, 8
	v_cmp_gt_u32_e64 s[28:29], s83, v4
	v_sub_u32_e32 v2, 0x79, v4
	v_cmp_eq_u32_e32 vcc, 0, v4
	v_cndmask_b32_e64 v2, 0, v2, s[28:29]
	v_mov_b32_e32 v5, 0x78
	v_or_b32_e32 v6, 0x800000, v0
	v_cndmask_b32_e32 v5, v2, v5, vcc
	v_cndmask_b32_e32 v2, v6, v0, vcc
	v_add_u32_e32 v0, 20, v5
	v_lshlrev_b64 v[6:7], v0, -1
	v_add_u32_e32 v0, 19, v5
	v_lshlrev_b64 v[24:25], v0, 1
	v_bfi_b32 v7, v7, 0, 0
	v_bfi_b32 v6, v6, 0, v2
	v_cmp_eq_u64_e64 s[28:29], v[6:7], v[24:25]
	v_lshrrev_b64 v[24:25], v5, v[2:3]
	v_mov_b32_e32 v51, v25
	v_mov_b32_e32 v50, v24
	s_and_saveexec_b64 s[50:51], s[28:29]
; %bb.3660:                             ;   in Loop: Header=BB4_3496 Depth=3
	v_bfe_u32 v0, v24, 20, 1
	v_add_co_u32_e64 v0, s[28:29], v24, v0
	v_add_co_u32_e64 v50, s[28:29], -1, v0
; %bb.3661:                             ;   in Loop: Header=BB4_3496 Depth=3
	s_or_b64 exec, exec, s[50:51]
	v_add_u32_e32 v0, 0xffffff81, v4
	v_mov_b32_e32 v2, 0xffffff82
	v_cndmask_b32_e32 v0, v0, v2, vcc
	v_lshrrev_b32_e32 v2, 23, v24
	v_add3_u32 v5, v5, v0, v2
	v_add_u32_e32 v0, 6, v5
	v_and_b32_e32 v2, 0xfffff, v50
	v_add_u32_e32 v2, v2, v24
	v_cmp_ne_u32_e32 vcc, 0, v0
                                        ; implicit-def: $vgpr24_vgpr25
                                        ; implicit-def: $vgpr4
	s_and_saveexec_b64 s[28:29], vcc
	s_xor_b64 s[28:29], exec, s[28:29]
; %bb.3662:                             ;   in Loop: Header=BB4_3496 Depth=3
	v_cmp_lt_u64_e32 vcc, s[88:89], v[2:3]
	v_add_u32_e32 v4, 7, v5
	v_cndmask_b32_e32 v4, v0, v4, vcc
	v_cndmask_b32_e64 v0, 0, 1, vcc
	v_lshrrev_b64 v[24:25], v0, v[2:3]
; %bb.3663:                             ;   in Loop: Header=BB4_3496 Depth=3
	s_andn2_saveexec_b64 s[28:29], s[28:29]
; %bb.3664:                             ;   in Loop: Header=BB4_3496 Depth=3
	v_mov_b32_e32 v25, v3
	v_bfe_u32 v4, v2, 23, 1
	v_mov_b32_e32 v24, v2
; %bb.3665:                             ;   in Loop: Header=BB4_3496 Depth=3
	s_or_b64 exec, exec, s[28:29]
	v_lshrrev_b64 v[5:6], 20, v[24:25]
	v_cmp_gt_i32_e32 vcc, 16, v4
	v_cndmask_b32_e32 v6, 0, v6, vcc
	v_cndmask_b32_e32 v5, 7, v5, vcc
	v_min_i32_e32 v0, 15, v4
	v_cmp_eq_u64_e64 s[28:29], 0, v[5:6]
	v_lshlrev_b32_e32 v0, 3, v0
	v_cmp_eq_u32_e32 vcc, 0, v4
	v_and_b32_e32 v0, 0xf8, v0
	v_and_or_b32 v0, v5, 7, v0
	s_and_b64 s[28:29], vcc, s[28:29]
	v_cndmask_b32_e64 v0, v0, 0, s[28:29]
	v_or_b32_e32 v6, v0, v1
.LBB4_3666:                             ;   in Loop: Header=BB4_3496 Depth=3
	s_or_b64 exec, exec, s[48:49]
                                        ; implicit-def: $vgpr1
.LBB4_3667:                             ;   in Loop: Header=BB4_3496 Depth=3
	s_andn2_saveexec_b64 s[28:29], s[38:39]
; %bb.3668:                             ;   in Loop: Header=BB4_3496 Depth=3
	v_or_b32_e32 v6, 0x7e, v1
; %bb.3669:                             ;   in Loop: Header=BB4_3496 Depth=3
	s_or_b64 exec, exec, s[28:29]
                                        ; implicit-def: $vgpr4
.LBB4_3670:                             ;   in Loop: Header=BB4_3496 Depth=3
	s_andn2_saveexec_b64 s[28:29], s[40:41]
; %bb.3671:                             ;   in Loop: Header=BB4_3496 Depth=3
	v_or_b32_sdwa v6, v4, s81 dst_sel:DWORD dst_unused:UNUSED_PAD src0_sel:BYTE_3 src1_sel:DWORD
; %bb.3672:                             ;   in Loop: Header=BB4_3496 Depth=3
	s_or_b64 exec, exec, s[28:29]
	v_mov_b32_e32 v2, v21
	v_mov_b32_e32 v24, v17
	;; [unrolled: 1-line block ×3, first 2 shown]
	v_cmp_ne_u16_sdwa s[28:29], v21, v3 src0_sel:BYTE_0 src1_sel:DWORD
	s_mov_b64 s[40:41], -1
	s_and_b64 vcc, exec, s[46:47]
                                        ; implicit-def: $vgpr4
	s_cbranch_vccz .LBB4_3686
; %bb.3673:                             ;   in Loop: Header=BB4_3496 Depth=3
	v_mov_b32_e32 v4, 0
	v_mov_b32_e32 v1, 0
	s_and_saveexec_b64 s[40:41], s[28:29]
	s_cbranch_execz .LBB4_3679
; %bb.3674:                             ;   in Loop: Header=BB4_3496 Depth=3
	v_cmp_ne_u16_sdwa vcc, v21, s80 src0_sel:BYTE_0 src1_sel:DWORD
	v_bfrev_b32_e32 v1, 1
	s_and_saveexec_b64 s[38:39], vcc
	s_cbranch_execz .LBB4_3678
; %bb.3675:                             ;   in Loop: Header=BB4_3496 Depth=3
	v_and_b32_e32 v0, 0x7f, v21
	v_cmp_ne_u32_e32 vcc, s81, v0
	v_mov_b32_e32 v1, 0x7f800001
	s_and_saveexec_b64 s[48:49], vcc
	s_cbranch_execz .LBB4_3677
; %bb.3676:                             ;   in Loop: Header=BB4_3496 Depth=3
	v_and_b32_e32 v1, 7, v21
	v_lshrrev_b32_e32 v5, 3, v0
	v_cmp_gt_u32_e32 vcc, 8, v0
	v_ffbh_u32_e32 v0, v1
	v_min_u32_e32 v0, 32, v0
	v_subrev_u32_e32 v1, 28, v0
	v_sub_u32_e32 v0, 29, v0
	v_cndmask_b32_e32 v5, v5, v0, vcc
	v_cndmask_b32_e32 v0, 0, v1, vcc
	v_lshlrev_b64 v[0:1], v0, v[2:3]
	v_lshlrev_b32_e32 v1, 24, v2
	v_lshlrev_b32_e32 v0, 20, v0
	v_and_b32_e32 v0, 0x700000, v0
	v_and_b32_e32 v1, 0x80000000, v1
	v_lshl_add_u32 v5, v5, 23, v54
	v_or3_b32 v1, v1, v5, v0
.LBB4_3677:                             ;   in Loop: Header=BB4_3496 Depth=3
	s_or_b64 exec, exec, s[48:49]
.LBB4_3678:                             ;   in Loop: Header=BB4_3496 Depth=3
	s_or_b64 exec, exec, s[38:39]
.LBB4_3679:                             ;   in Loop: Header=BB4_3496 Depth=3
	s_or_b64 exec, exec, s[40:41]
	v_cmp_ne_u16_sdwa vcc, v17, v3 src0_sel:BYTE_0 src1_sel:DWORD
	s_and_saveexec_b64 s[40:41], vcc
	s_cbranch_execz .LBB4_3685
; %bb.3680:                             ;   in Loop: Header=BB4_3496 Depth=3
	v_cmp_ne_u16_sdwa vcc, v17, s80 src0_sel:BYTE_0 src1_sel:DWORD
	v_bfrev_b32_e32 v4, 1
	s_and_saveexec_b64 s[38:39], vcc
	s_cbranch_execz .LBB4_3684
; %bb.3681:                             ;   in Loop: Header=BB4_3496 Depth=3
	v_and_b32_e32 v0, 0x7f, v17
	v_cmp_ne_u32_e32 vcc, s81, v0
	v_mov_b32_e32 v4, 0x7f800001
	s_and_saveexec_b64 s[48:49], vcc
	s_cbranch_execz .LBB4_3683
; %bb.3682:                             ;   in Loop: Header=BB4_3496 Depth=3
	v_and_b32_e32 v4, 7, v17
	v_lshrrev_b32_e32 v5, 3, v0
	v_cmp_gt_u32_e32 vcc, 8, v0
	v_ffbh_u32_e32 v0, v4
	v_min_u32_e32 v0, 32, v0
	v_subrev_u32_e32 v4, 28, v0
	v_sub_u32_e32 v0, 29, v0
	v_cndmask_b32_e32 v4, 0, v4, vcc
	v_cndmask_b32_e32 v0, v5, v0, vcc
	v_lshlrev_b64 v[4:5], v4, v[24:25]
	v_lshlrev_b32_e32 v5, 24, v24
	v_lshlrev_b32_e32 v4, 20, v4
	v_and_b32_e32 v4, 0x700000, v4
	v_and_b32_e32 v5, 0x80000000, v5
	v_lshl_add_u32 v0, v0, 23, v54
	v_or3_b32 v4, v5, v0, v4
.LBB4_3683:                             ;   in Loop: Header=BB4_3496 Depth=3
	s_or_b64 exec, exec, s[48:49]
.LBB4_3684:                             ;   in Loop: Header=BB4_3496 Depth=3
	s_or_b64 exec, exec, s[38:39]
.LBB4_3685:                             ;   in Loop: Header=BB4_3496 Depth=3
	s_or_b64 exec, exec, s[40:41]
	v_max_f32_e32 v0, v4, v4
	v_max_f32_e32 v1, v1, v1
	;; [unrolled: 1-line block ×3, first 2 shown]
	s_mov_b64 s[40:41], 0
.LBB4_3686:                             ;   in Loop: Header=BB4_3496 Depth=3
	s_and_b64 vcc, exec, s[40:41]
	s_cbranch_vccz .LBB4_3700
; %bb.3687:                             ;   in Loop: Header=BB4_3496 Depth=3
	v_mov_b32_e32 v4, 0
	v_mov_b32_e32 v1, 0
	s_and_saveexec_b64 s[40:41], s[28:29]
	s_cbranch_execz .LBB4_3693
; %bb.3688:                             ;   in Loop: Header=BB4_3496 Depth=3
	v_cmp_ne_u16_sdwa vcc, v21, s80 src0_sel:BYTE_0 src1_sel:DWORD
	v_bfrev_b32_e32 v1, 1
	s_and_saveexec_b64 s[28:29], vcc
	s_cbranch_execz .LBB4_3692
; %bb.3689:                             ;   in Loop: Header=BB4_3496 Depth=3
	v_and_b32_e32 v0, 0x7f, v21
	v_cmp_ne_u32_e32 vcc, s81, v0
	v_mov_b32_e32 v1, 0x7f800001
	s_and_saveexec_b64 s[38:39], vcc
	s_cbranch_execz .LBB4_3691
; %bb.3690:                             ;   in Loop: Header=BB4_3496 Depth=3
	v_and_b32_e32 v1, 7, v21
	v_lshrrev_b32_e32 v5, 3, v0
	v_cmp_gt_u32_e32 vcc, 8, v0
	v_ffbh_u32_e32 v0, v1
	v_min_u32_e32 v0, 32, v0
	v_subrev_u32_e32 v1, 28, v0
	v_sub_u32_e32 v0, 29, v0
	v_cndmask_b32_e32 v5, v5, v0, vcc
	v_cndmask_b32_e32 v0, 0, v1, vcc
	v_lshlrev_b64 v[0:1], v0, v[2:3]
	v_lshlrev_b32_e32 v1, 24, v2
	v_lshlrev_b32_e32 v0, 20, v0
	v_and_b32_e32 v0, 0x700000, v0
	v_and_b32_e32 v1, 0x80000000, v1
	v_lshl_add_u32 v5, v5, 23, v54
	v_or3_b32 v1, v1, v5, v0
.LBB4_3691:                             ;   in Loop: Header=BB4_3496 Depth=3
	s_or_b64 exec, exec, s[38:39]
.LBB4_3692:                             ;   in Loop: Header=BB4_3496 Depth=3
	s_or_b64 exec, exec, s[28:29]
.LBB4_3693:                             ;   in Loop: Header=BB4_3496 Depth=3
	s_or_b64 exec, exec, s[40:41]
	v_cmp_ne_u16_sdwa s[40:41], v17, v3 src0_sel:BYTE_0 src1_sel:DWORD
	s_and_saveexec_b64 s[28:29], s[40:41]
	s_cbranch_execz .LBB4_3699
; %bb.3694:                             ;   in Loop: Header=BB4_3496 Depth=3
	v_cmp_ne_u16_sdwa vcc, v17, s80 src0_sel:BYTE_0 src1_sel:DWORD
	v_bfrev_b32_e32 v4, 1
	s_and_saveexec_b64 s[40:41], vcc
	s_cbranch_execz .LBB4_3698
; %bb.3695:                             ;   in Loop: Header=BB4_3496 Depth=3
	v_and_b32_e32 v0, 0x7f, v17
	v_cmp_ne_u32_e32 vcc, s81, v0
	v_mov_b32_e32 v4, 0x7f800001
	s_and_saveexec_b64 s[38:39], vcc
	s_cbranch_execz .LBB4_3697
; %bb.3696:                             ;   in Loop: Header=BB4_3496 Depth=3
	v_and_b32_e32 v4, 7, v17
	v_lshrrev_b32_e32 v5, 3, v0
	v_cmp_gt_u32_e32 vcc, 8, v0
	v_ffbh_u32_e32 v0, v4
	v_min_u32_e32 v0, 32, v0
	v_subrev_u32_e32 v4, 28, v0
	v_sub_u32_e32 v0, 29, v0
	v_cndmask_b32_e32 v4, 0, v4, vcc
	v_cndmask_b32_e32 v0, v5, v0, vcc
	v_lshlrev_b64 v[4:5], v4, v[24:25]
	v_lshlrev_b32_e32 v5, 24, v24
	v_lshlrev_b32_e32 v4, 20, v4
	v_and_b32_e32 v4, 0x700000, v4
	v_and_b32_e32 v5, 0x80000000, v5
	v_lshl_add_u32 v0, v0, 23, v54
	v_or3_b32 v4, v5, v0, v4
.LBB4_3697:                             ;   in Loop: Header=BB4_3496 Depth=3
	s_or_b64 exec, exec, s[38:39]
.LBB4_3698:                             ;   in Loop: Header=BB4_3496 Depth=3
	s_or_b64 exec, exec, s[40:41]
.LBB4_3699:                             ;   in Loop: Header=BB4_3496 Depth=3
	s_or_b64 exec, exec, s[28:29]
	v_max_f32_e32 v0, v4, v4
	v_max_f32_e32 v1, v1, v1
	v_min_f32_e32 v4, v1, v0
.LBB4_3700:                             ;   in Loop: Header=BB4_3496 Depth=3
	v_and_b32_e32 v0, 0x7f800000, v4
	v_mov_b32_e32 v1, v3
	v_cmp_ne_u64_e32 vcc, s[76:77], v[0:1]
	buffer_store_dword v6, off, s[0:3], s33 offset:180 ; 4-byte Folded Spill
	buffer_store_dword v34, off, s[0:3], s33 offset:172 ; 4-byte Folded Spill
                                        ; implicit-def: $vgpr53
	s_and_saveexec_b64 s[28:29], vcc
	s_xor_b64 s[40:41], exec, s[28:29]
	s_cbranch_execz .LBB4_3714
; %bb.3701:                             ;   in Loop: Header=BB4_3496 Depth=3
	v_and_b32_e32 v0, 0x7fffffff, v4
	v_mov_b32_e32 v1, v3
	v_cmp_gt_u64_e32 vcc, s[78:79], v[0:1]
	v_and_b32_sdwa v1, v4, s80 dst_sel:DWORD dst_unused:UNUSED_PAD src0_sel:BYTE_3 src1_sel:DWORD
                                        ; implicit-def: $vgpr53
	s_and_saveexec_b64 s[28:29], vcc
	s_xor_b64 s[38:39], exec, s[28:29]
	s_cbranch_execz .LBB4_3711
; %bb.3702:                             ;   in Loop: Header=BB4_3496 Depth=3
	v_mov_b32_e32 v53, 0
	v_cmp_ne_u32_e32 vcc, 0, v4
	s_and_saveexec_b64 s[48:49], vcc
	s_cbranch_execz .LBB4_3710
; %bb.3703:                             ;   in Loop: Header=BB4_3496 Depth=3
	v_bfe_u32 v6, v4, 23, 8
	v_and_b32_e32 v0, 0x7fffff, v4
	v_cmp_gt_u32_e64 s[28:29], s83, v6
	v_sub_u32_e32 v4, 0x79, v6
	v_cmp_eq_u32_e32 vcc, 0, v6
	v_cndmask_b32_e64 v4, 0, v4, s[28:29]
	v_mov_b32_e32 v7, 0x78
	v_or_b32_e32 v5, 0x800000, v0
	v_cndmask_b32_e32 v7, v4, v7, vcc
	v_cndmask_b32_e32 v4, v5, v0, vcc
	v_add_u32_e32 v0, 20, v7
	v_lshlrev_b64 v[34:35], v0, -1
	v_add_u32_e32 v0, 19, v7
	v_mov_b32_e32 v5, v3
	v_lshlrev_b64 v[36:37], v0, 1
	v_bfi_b32 v35, v35, 0, 0
	v_bfi_b32 v34, v34, 0, v4
	v_lshrrev_b64 v[50:51], v7, v[4:5]
	v_cmp_eq_u64_e64 s[28:29], v[34:35], v[36:37]
	v_mov_b32_e32 v4, v50
	v_mov_b32_e32 v5, v51
	s_and_saveexec_b64 s[50:51], s[28:29]
; %bb.3704:                             ;   in Loop: Header=BB4_3496 Depth=3
	v_bfe_u32 v0, v50, 20, 1
	v_add_co_u32_e64 v0, s[28:29], v50, v0
	v_add_co_u32_e64 v4, s[28:29], -1, v0
; %bb.3705:                             ;   in Loop: Header=BB4_3496 Depth=3
	s_or_b64 exec, exec, s[50:51]
	v_add_u32_e32 v0, 0xffffff81, v6
	v_mov_b32_e32 v5, 0xffffff82
	v_cndmask_b32_e32 v0, v0, v5, vcc
	v_lshrrev_b32_e32 v5, 23, v50
	v_add3_u32 v5, v7, v0, v5
	v_add_u32_e32 v0, 6, v5
	v_and_b32_e32 v4, 0xfffff, v4
	v_add_u32_e32 v50, v4, v50
	v_mov_b32_e32 v51, v3
	v_cmp_ne_u32_e32 vcc, 0, v0
                                        ; implicit-def: $vgpr4
	s_and_saveexec_b64 s[28:29], vcc
	s_xor_b64 s[28:29], exec, s[28:29]
; %bb.3706:                             ;   in Loop: Header=BB4_3496 Depth=3
	v_cmp_lt_u64_e32 vcc, s[88:89], v[50:51]
	v_add_u32_e32 v4, 7, v5
	v_cndmask_b32_e32 v4, v0, v4, vcc
	v_cndmask_b32_e64 v0, 0, 1, vcc
	v_lshrrev_b64 v[50:51], v0, v[50:51]
; %bb.3707:                             ;   in Loop: Header=BB4_3496 Depth=3
	s_andn2_saveexec_b64 s[28:29], s[28:29]
; %bb.3708:                             ;   in Loop: Header=BB4_3496 Depth=3
	v_bfe_u32 v4, v50, 23, 1
; %bb.3709:                             ;   in Loop: Header=BB4_3496 Depth=3
	s_or_b64 exec, exec, s[28:29]
	v_lshrrev_b64 v[5:6], 20, v[50:51]
	v_cmp_gt_i32_e32 vcc, 16, v4
	v_cndmask_b32_e32 v6, 0, v6, vcc
	v_cndmask_b32_e32 v5, 7, v5, vcc
	v_min_i32_e32 v0, 15, v4
	v_cmp_eq_u64_e64 s[28:29], 0, v[5:6]
	v_lshlrev_b32_e32 v0, 3, v0
	v_cmp_eq_u32_e32 vcc, 0, v4
	v_and_b32_e32 v0, 0xf8, v0
	v_and_or_b32 v0, v5, 7, v0
	s_and_b64 s[28:29], vcc, s[28:29]
	v_cndmask_b32_e64 v0, v0, 0, s[28:29]
	v_or_b32_e32 v53, v0, v1
.LBB4_3710:                             ;   in Loop: Header=BB4_3496 Depth=3
	s_or_b64 exec, exec, s[48:49]
                                        ; implicit-def: $vgpr1
.LBB4_3711:                             ;   in Loop: Header=BB4_3496 Depth=3
	s_andn2_saveexec_b64 s[28:29], s[38:39]
; %bb.3712:                             ;   in Loop: Header=BB4_3496 Depth=3
	v_or_b32_e32 v53, 0x7e, v1
; %bb.3713:                             ;   in Loop: Header=BB4_3496 Depth=3
	s_or_b64 exec, exec, s[28:29]
                                        ; implicit-def: $vgpr4
.LBB4_3714:                             ;   in Loop: Header=BB4_3496 Depth=3
	s_andn2_saveexec_b64 s[28:29], s[40:41]
; %bb.3715:                             ;   in Loop: Header=BB4_3496 Depth=3
	v_or_b32_sdwa v53, v4, s81 dst_sel:DWORD dst_unused:UNUSED_PAD src0_sel:BYTE_3 src1_sel:DWORD
; %bb.3716:                             ;   in Loop: Header=BB4_3496 Depth=3
	s_or_b64 exec, exec, s[28:29]
	v_lshrrev_b16_e32 v47, 8, v2
	v_lshrrev_b16_e32 v25, 8, v24
	v_cmp_ne_u16_e64 s[28:29], 0, v47
	s_mov_b64 s[40:41], -1
	s_and_b64 vcc, exec, s[46:47]
                                        ; implicit-def: $vgpr4
	s_cbranch_vccz .LBB4_3730
; %bb.3717:                             ;   in Loop: Header=BB4_3496 Depth=3
	v_mov_b32_e32 v4, 0
	v_mov_b32_e32 v1, 0
	s_and_saveexec_b64 s[40:41], s[28:29]
	s_cbranch_execz .LBB4_3723
; %bb.3718:                             ;   in Loop: Header=BB4_3496 Depth=3
	v_cmp_ne_u16_e32 vcc, s80, v47
	v_bfrev_b32_e32 v1, 1
	s_and_saveexec_b64 s[38:39], vcc
	s_cbranch_execz .LBB4_3722
; %bb.3719:                             ;   in Loop: Header=BB4_3496 Depth=3
	v_and_b32_e32 v0, 0x7f, v47
	v_cmp_ne_u32_e32 vcc, s81, v0
	v_mov_b32_e32 v1, 0x7f800001
	s_and_saveexec_b64 s[48:49], vcc
	s_cbranch_execz .LBB4_3721
; %bb.3720:                             ;   in Loop: Header=BB4_3496 Depth=3
	v_and_b32_e32 v5, 7, v47
	v_lshrrev_b32_e32 v6, 3, v0
	v_cmp_gt_u32_e32 vcc, 8, v0
	v_ffbh_u32_e32 v0, v5
	v_min_u32_e32 v7, 32, v0
	v_subrev_u32_e32 v0, 28, v7
	v_lshlrev_b64 v[0:1], v0, v[47:48]
	v_sub_u32_e32 v1, 29, v7
	v_and_b32_e32 v0, 7, v0
	v_cndmask_b32_e32 v1, v6, v1, vcc
	v_cndmask_b32_e32 v0, v5, v0, vcc
	v_lshlrev_b32_e32 v5, 16, v2
	v_lshlrev_b32_e32 v0, 20, v0
	v_and_b32_e32 v5, 0x80000000, v5
	v_lshl_add_u32 v1, v1, 23, v54
	v_or3_b32 v1, v5, v1, v0
.LBB4_3721:                             ;   in Loop: Header=BB4_3496 Depth=3
	s_or_b64 exec, exec, s[48:49]
.LBB4_3722:                             ;   in Loop: Header=BB4_3496 Depth=3
	s_or_b64 exec, exec, s[38:39]
.LBB4_3723:                             ;   in Loop: Header=BB4_3496 Depth=3
	s_or_b64 exec, exec, s[40:41]
	v_cmp_ne_u16_e32 vcc, 0, v25
	s_and_saveexec_b64 s[40:41], vcc
	s_cbranch_execz .LBB4_3729
; %bb.3724:                             ;   in Loop: Header=BB4_3496 Depth=3
	v_cmp_ne_u16_e32 vcc, s80, v25
	v_bfrev_b32_e32 v4, 1
	s_and_saveexec_b64 s[38:39], vcc
	s_cbranch_execz .LBB4_3728
; %bb.3725:                             ;   in Loop: Header=BB4_3496 Depth=3
	v_and_b32_e32 v0, 0x7f, v25
	v_cmp_ne_u32_e32 vcc, s81, v0
	v_mov_b32_e32 v4, 0x7f800001
	s_and_saveexec_b64 s[48:49], vcc
	s_cbranch_execz .LBB4_3727
; %bb.3726:                             ;   in Loop: Header=BB4_3496 Depth=3
	v_and_b32_e32 v6, 7, v25
	v_lshrrev_b32_e32 v7, 3, v0
	v_cmp_gt_u32_e32 vcc, 8, v0
	v_ffbh_u32_e32 v0, v6
	v_min_u32_e32 v0, 32, v0
	v_subrev_u32_e32 v4, 28, v0
	v_lshlrev_b64 v[4:5], v4, v[25:26]
	v_sub_u32_e32 v0, 29, v0
	v_and_b32_e32 v4, 7, v4
	v_cndmask_b32_e32 v0, v7, v0, vcc
	v_cndmask_b32_e32 v4, v6, v4, vcc
	v_lshlrev_b32_e32 v5, 16, v24
	v_lshlrev_b32_e32 v4, 20, v4
	v_and_b32_e32 v5, 0x80000000, v5
	v_lshl_add_u32 v0, v0, 23, v54
	v_or3_b32 v4, v5, v0, v4
.LBB4_3727:                             ;   in Loop: Header=BB4_3496 Depth=3
	s_or_b64 exec, exec, s[48:49]
.LBB4_3728:                             ;   in Loop: Header=BB4_3496 Depth=3
	s_or_b64 exec, exec, s[38:39]
.LBB4_3729:                             ;   in Loop: Header=BB4_3496 Depth=3
	s_or_b64 exec, exec, s[40:41]
	v_max_f32_e32 v0, v4, v4
	v_max_f32_e32 v1, v1, v1
	;; [unrolled: 1-line block ×3, first 2 shown]
	s_mov_b64 s[40:41], 0
.LBB4_3730:                             ;   in Loop: Header=BB4_3496 Depth=3
	s_and_b64 vcc, exec, s[40:41]
	s_cbranch_vccz .LBB4_3744
; %bb.3731:                             ;   in Loop: Header=BB4_3496 Depth=3
	v_mov_b32_e32 v4, 0
	v_mov_b32_e32 v1, 0
	s_and_saveexec_b64 s[40:41], s[28:29]
	s_cbranch_execz .LBB4_3737
; %bb.3732:                             ;   in Loop: Header=BB4_3496 Depth=3
	v_cmp_ne_u16_e32 vcc, s80, v47
	v_bfrev_b32_e32 v1, 1
	s_and_saveexec_b64 s[28:29], vcc
	s_cbranch_execz .LBB4_3736
; %bb.3733:                             ;   in Loop: Header=BB4_3496 Depth=3
	v_and_b32_e32 v0, 0x7f, v47
	v_cmp_ne_u32_e32 vcc, s81, v0
	v_mov_b32_e32 v1, 0x7f800001
	s_and_saveexec_b64 s[38:39], vcc
	s_cbranch_execz .LBB4_3735
; %bb.3734:                             ;   in Loop: Header=BB4_3496 Depth=3
	v_and_b32_e32 v5, 7, v47
	v_lshrrev_b32_e32 v6, 3, v0
	v_cmp_gt_u32_e32 vcc, 8, v0
	v_ffbh_u32_e32 v0, v5
	v_min_u32_e32 v7, 32, v0
	v_subrev_u32_e32 v0, 28, v7
	v_lshlrev_b64 v[0:1], v0, v[47:48]
	v_sub_u32_e32 v1, 29, v7
	v_and_b32_e32 v0, 7, v0
	v_cndmask_b32_e32 v1, v6, v1, vcc
	v_cndmask_b32_e32 v0, v5, v0, vcc
	v_lshlrev_b32_e32 v2, 16, v2
	v_lshlrev_b32_e32 v0, 20, v0
	v_and_b32_e32 v2, 0x80000000, v2
	v_lshl_add_u32 v1, v1, 23, v54
	v_or3_b32 v1, v2, v1, v0
.LBB4_3735:                             ;   in Loop: Header=BB4_3496 Depth=3
	s_or_b64 exec, exec, s[38:39]
.LBB4_3736:                             ;   in Loop: Header=BB4_3496 Depth=3
	s_or_b64 exec, exec, s[28:29]
.LBB4_3737:                             ;   in Loop: Header=BB4_3496 Depth=3
	s_or_b64 exec, exec, s[40:41]
	v_cmp_ne_u16_e32 vcc, 0, v25
	s_and_saveexec_b64 s[28:29], vcc
	s_cbranch_execz .LBB4_3743
; %bb.3738:                             ;   in Loop: Header=BB4_3496 Depth=3
	v_cmp_ne_u16_e32 vcc, s80, v25
	v_bfrev_b32_e32 v4, 1
	s_and_saveexec_b64 s[40:41], vcc
	s_cbranch_execz .LBB4_3742
; %bb.3739:                             ;   in Loop: Header=BB4_3496 Depth=3
	v_and_b32_e32 v0, 0x7f, v25
	v_cmp_ne_u32_e32 vcc, s81, v0
	v_mov_b32_e32 v4, 0x7f800001
	s_and_saveexec_b64 s[38:39], vcc
	s_cbranch_execz .LBB4_3741
; %bb.3740:                             ;   in Loop: Header=BB4_3496 Depth=3
	v_and_b32_e32 v2, 7, v25
	v_lshrrev_b32_e32 v6, 3, v0
	v_cmp_gt_u32_e32 vcc, 8, v0
	v_ffbh_u32_e32 v0, v2
	v_min_u32_e32 v0, 32, v0
	v_subrev_u32_e32 v4, 28, v0
	v_lshlrev_b64 v[4:5], v4, v[25:26]
	v_sub_u32_e32 v0, 29, v0
	v_and_b32_e32 v4, 7, v4
	v_cndmask_b32_e32 v0, v6, v0, vcc
	v_cndmask_b32_e32 v2, v2, v4, vcc
	v_lshlrev_b32_e32 v4, 16, v24
	v_lshlrev_b32_e32 v2, 20, v2
	v_and_b32_e32 v4, 0x80000000, v4
	v_lshl_add_u32 v0, v0, 23, v54
	v_or3_b32 v4, v4, v0, v2
.LBB4_3741:                             ;   in Loop: Header=BB4_3496 Depth=3
	s_or_b64 exec, exec, s[38:39]
.LBB4_3742:                             ;   in Loop: Header=BB4_3496 Depth=3
	s_or_b64 exec, exec, s[40:41]
.LBB4_3743:                             ;   in Loop: Header=BB4_3496 Depth=3
	s_or_b64 exec, exec, s[28:29]
	v_max_f32_e32 v0, v4, v4
	v_max_f32_e32 v1, v1, v1
	v_min_f32_e32 v4, v1, v0
.LBB4_3744:                             ;   in Loop: Header=BB4_3496 Depth=3
	v_and_b32_e32 v2, 0x7f800000, v4
	v_cmp_ne_u64_e32 vcc, s[76:77], v[2:3]
                                        ; implicit-def: $vgpr45
	s_and_saveexec_b64 s[28:29], vcc
	s_xor_b64 s[40:41], exec, s[28:29]
	s_cbranch_execz .LBB4_3758
; %bb.3745:                             ;   in Loop: Header=BB4_3496 Depth=3
	v_and_b32_e32 v2, 0x7fffffff, v4
	v_cmp_gt_u64_e32 vcc, s[78:79], v[2:3]
	v_and_b32_sdwa v1, v4, s80 dst_sel:DWORD dst_unused:UNUSED_PAD src0_sel:BYTE_3 src1_sel:DWORD
                                        ; implicit-def: $vgpr45
	s_and_saveexec_b64 s[28:29], vcc
	s_xor_b64 s[38:39], exec, s[28:29]
	s_cbranch_execz .LBB4_3755
; %bb.3746:                             ;   in Loop: Header=BB4_3496 Depth=3
	v_mov_b32_e32 v45, 0
	v_cmp_ne_u32_e32 vcc, 0, v4
	s_and_saveexec_b64 s[48:49], vcc
	s_cbranch_execz .LBB4_3754
; %bb.3747:                             ;   in Loop: Header=BB4_3496 Depth=3
	v_bfe_u32 v6, v4, 23, 8
	v_cmp_gt_u32_e64 s[28:29], s83, v6
	v_sub_u32_e32 v2, 0x79, v6
	v_and_b32_e32 v0, 0x7fffff, v4
	v_cmp_eq_u32_e32 vcc, 0, v6
	v_cndmask_b32_e64 v2, 0, v2, s[28:29]
	v_mov_b32_e32 v5, 0x78
	v_or_b32_e32 v4, 0x800000, v0
	v_cndmask_b32_e32 v7, v2, v5, vcc
	v_cndmask_b32_e32 v2, v4, v0, vcc
	v_add_u32_e32 v0, 20, v7
	v_lshlrev_b64 v[4:5], v0, -1
	v_add_u32_e32 v0, 19, v7
	v_lshlrev_b64 v[24:25], v0, 1
	v_bfi_b32 v5, v5, 0, 0
	v_bfi_b32 v4, v4, 0, v2
	v_cmp_eq_u64_e64 s[28:29], v[4:5], v[24:25]
	v_lshrrev_b64 v[24:25], v7, v[2:3]
	v_mov_b32_e32 v4, v24
	v_mov_b32_e32 v5, v25
	s_and_saveexec_b64 s[50:51], s[28:29]
; %bb.3748:                             ;   in Loop: Header=BB4_3496 Depth=3
	v_bfe_u32 v0, v24, 20, 1
	v_add_co_u32_e64 v0, s[28:29], v24, v0
	v_add_co_u32_e64 v4, s[28:29], -1, v0
; %bb.3749:                             ;   in Loop: Header=BB4_3496 Depth=3
	s_or_b64 exec, exec, s[50:51]
	v_add_u32_e32 v0, 0xffffff81, v6
	v_mov_b32_e32 v2, 0xffffff82
	v_cndmask_b32_e32 v0, v0, v2, vcc
	v_lshrrev_b32_e32 v2, 23, v24
	v_add3_u32 v5, v7, v0, v2
	v_add_u32_e32 v0, 6, v5
	v_and_b32_e32 v2, 0xfffff, v4
	v_add_u32_e32 v2, v2, v24
	v_cmp_ne_u32_e32 vcc, 0, v0
                                        ; implicit-def: $vgpr24_vgpr25
                                        ; implicit-def: $vgpr4
	s_and_saveexec_b64 s[28:29], vcc
	s_xor_b64 s[28:29], exec, s[28:29]
; %bb.3750:                             ;   in Loop: Header=BB4_3496 Depth=3
	v_cmp_lt_u64_e32 vcc, s[88:89], v[2:3]
	v_add_u32_e32 v4, 7, v5
	v_cndmask_b32_e32 v4, v0, v4, vcc
	v_cndmask_b32_e64 v0, 0, 1, vcc
	v_lshrrev_b64 v[24:25], v0, v[2:3]
; %bb.3751:                             ;   in Loop: Header=BB4_3496 Depth=3
	s_andn2_saveexec_b64 s[28:29], s[28:29]
; %bb.3752:                             ;   in Loop: Header=BB4_3496 Depth=3
	v_mov_b32_e32 v25, v3
	v_bfe_u32 v4, v2, 23, 1
	v_mov_b32_e32 v24, v2
; %bb.3753:                             ;   in Loop: Header=BB4_3496 Depth=3
	s_or_b64 exec, exec, s[28:29]
	v_lshrrev_b64 v[5:6], 20, v[24:25]
	v_cmp_gt_i32_e32 vcc, 16, v4
	v_cndmask_b32_e32 v6, 0, v6, vcc
	v_cndmask_b32_e32 v5, 7, v5, vcc
	v_min_i32_e32 v0, 15, v4
	v_cmp_eq_u64_e64 s[28:29], 0, v[5:6]
	v_lshlrev_b32_e32 v0, 3, v0
	v_cmp_eq_u32_e32 vcc, 0, v4
	v_and_b32_e32 v0, 0xf8, v0
	v_and_or_b32 v0, v5, 7, v0
	s_and_b64 s[28:29], vcc, s[28:29]
	v_cndmask_b32_e64 v0, v0, 0, s[28:29]
	v_or_b32_e32 v45, v0, v1
.LBB4_3754:                             ;   in Loop: Header=BB4_3496 Depth=3
	s_or_b64 exec, exec, s[48:49]
                                        ; implicit-def: $vgpr1
.LBB4_3755:                             ;   in Loop: Header=BB4_3496 Depth=3
	s_andn2_saveexec_b64 s[28:29], s[38:39]
; %bb.3756:                             ;   in Loop: Header=BB4_3496 Depth=3
	v_or_b32_e32 v45, 0x7e, v1
; %bb.3757:                             ;   in Loop: Header=BB4_3496 Depth=3
	s_or_b64 exec, exec, s[28:29]
                                        ; implicit-def: $vgpr4
.LBB4_3758:                             ;   in Loop: Header=BB4_3496 Depth=3
	s_andn2_saveexec_b64 s[28:29], s[40:41]
; %bb.3759:                             ;   in Loop: Header=BB4_3496 Depth=3
	v_or_b32_sdwa v45, v4, s81 dst_sel:DWORD dst_unused:UNUSED_PAD src0_sel:BYTE_3 src1_sel:DWORD
; %bb.3760:                             ;   in Loop: Header=BB4_3496 Depth=3
	s_or_b64 exec, exec, s[28:29]
	v_lshrrev_b32_e32 v24, 16, v21
	v_lshrrev_b32_e32 v2, 16, v17
	v_cmp_ne_u16_sdwa s[28:29], v24, v3 src0_sel:BYTE_0 src1_sel:DWORD
	s_mov_b64 s[40:41], -1
	s_and_b64 vcc, exec, s[46:47]
                                        ; implicit-def: $vgpr4
	s_cbranch_vccz .LBB4_3774
; %bb.3761:                             ;   in Loop: Header=BB4_3496 Depth=3
	v_mov_b32_e32 v4, 0
	v_mov_b32_e32 v1, 0
	s_and_saveexec_b64 s[40:41], s[28:29]
	s_cbranch_execz .LBB4_3767
; %bb.3762:                             ;   in Loop: Header=BB4_3496 Depth=3
	v_cmp_ne_u16_sdwa vcc, v24, s80 src0_sel:BYTE_0 src1_sel:DWORD
	v_bfrev_b32_e32 v1, 1
	s_and_saveexec_b64 s[38:39], vcc
	s_cbranch_execz .LBB4_3766
; %bb.3763:                             ;   in Loop: Header=BB4_3496 Depth=3
	v_bfe_u32 v0, v21, 16, 7
	v_cmp_ne_u32_e32 vcc, s81, v0
	v_mov_b32_e32 v1, 0x7f800001
	s_and_saveexec_b64 s[48:49], vcc
	s_cbranch_execz .LBB4_3765
; %bb.3764:                             ;   in Loop: Header=BB4_3496 Depth=3
	v_and_b32_e32 v5, 7, v24
	v_lshrrev_b32_e32 v6, 3, v0
	v_cmp_gt_u32_e32 vcc, 8, v0
	v_ffbh_u32_e32 v0, v5
	v_min_u32_e32 v7, 32, v0
	v_subrev_u32_e32 v0, 28, v7
	v_lshlrev_b64 v[0:1], v0, v[24:25]
	v_sub_u32_e32 v1, 29, v7
	v_and_b32_e32 v0, 7, v0
	v_cndmask_b32_e32 v1, v6, v1, vcc
	v_cndmask_b32_e32 v0, v5, v0, vcc
	v_lshlrev_b32_e32 v5, 24, v24
	v_lshlrev_b32_e32 v0, 20, v0
	v_and_b32_e32 v5, 0x80000000, v5
	v_lshl_add_u32 v1, v1, 23, v54
	v_or3_b32 v1, v5, v1, v0
.LBB4_3765:                             ;   in Loop: Header=BB4_3496 Depth=3
	s_or_b64 exec, exec, s[48:49]
.LBB4_3766:                             ;   in Loop: Header=BB4_3496 Depth=3
	s_or_b64 exec, exec, s[38:39]
.LBB4_3767:                             ;   in Loop: Header=BB4_3496 Depth=3
	s_or_b64 exec, exec, s[40:41]
	v_cmp_ne_u16_sdwa vcc, v2, v3 src0_sel:BYTE_0 src1_sel:DWORD
	s_and_saveexec_b64 s[40:41], vcc
	s_cbranch_execz .LBB4_3773
; %bb.3768:                             ;   in Loop: Header=BB4_3496 Depth=3
	v_cmp_ne_u16_sdwa vcc, v2, s80 src0_sel:BYTE_0 src1_sel:DWORD
	v_bfrev_b32_e32 v4, 1
	s_and_saveexec_b64 s[38:39], vcc
	s_cbranch_execz .LBB4_3772
; %bb.3769:                             ;   in Loop: Header=BB4_3496 Depth=3
	v_bfe_u32 v0, v17, 16, 7
	v_cmp_ne_u32_e32 vcc, s81, v0
	v_mov_b32_e32 v4, 0x7f800001
	s_and_saveexec_b64 s[48:49], vcc
	s_cbranch_execz .LBB4_3771
; %bb.3770:                             ;   in Loop: Header=BB4_3496 Depth=3
	v_and_b32_e32 v6, 7, v2
	v_lshrrev_b32_e32 v7, 3, v0
	v_cmp_gt_u32_e32 vcc, 8, v0
	v_ffbh_u32_e32 v0, v6
	v_min_u32_e32 v0, 32, v0
	v_subrev_u32_e32 v4, 28, v0
	v_lshlrev_b64 v[4:5], v4, v[2:3]
	v_sub_u32_e32 v0, 29, v0
	v_and_b32_e32 v4, 7, v4
	v_cndmask_b32_e32 v0, v7, v0, vcc
	v_cndmask_b32_e32 v4, v6, v4, vcc
	v_lshlrev_b32_e32 v5, 24, v2
	v_lshlrev_b32_e32 v4, 20, v4
	v_and_b32_e32 v5, 0x80000000, v5
	v_lshl_add_u32 v0, v0, 23, v54
	v_or3_b32 v4, v5, v0, v4
.LBB4_3771:                             ;   in Loop: Header=BB4_3496 Depth=3
	s_or_b64 exec, exec, s[48:49]
.LBB4_3772:                             ;   in Loop: Header=BB4_3496 Depth=3
	s_or_b64 exec, exec, s[38:39]
.LBB4_3773:                             ;   in Loop: Header=BB4_3496 Depth=3
	s_or_b64 exec, exec, s[40:41]
	v_max_f32_e32 v0, v4, v4
	v_max_f32_e32 v1, v1, v1
	;; [unrolled: 1-line block ×3, first 2 shown]
	s_mov_b64 s[40:41], 0
.LBB4_3774:                             ;   in Loop: Header=BB4_3496 Depth=3
	s_and_b64 vcc, exec, s[40:41]
	s_cbranch_vccz .LBB4_3788
; %bb.3775:                             ;   in Loop: Header=BB4_3496 Depth=3
	v_mov_b32_e32 v4, 0
	v_mov_b32_e32 v1, 0
	s_and_saveexec_b64 s[40:41], s[28:29]
	s_cbranch_execz .LBB4_3781
; %bb.3776:                             ;   in Loop: Header=BB4_3496 Depth=3
	v_cmp_ne_u16_sdwa vcc, v24, s80 src0_sel:BYTE_0 src1_sel:DWORD
	v_bfrev_b32_e32 v1, 1
	s_and_saveexec_b64 s[28:29], vcc
	s_cbranch_execz .LBB4_3780
; %bb.3777:                             ;   in Loop: Header=BB4_3496 Depth=3
	v_bfe_u32 v0, v21, 16, 7
	v_cmp_ne_u32_e32 vcc, s81, v0
	v_mov_b32_e32 v1, 0x7f800001
	s_and_saveexec_b64 s[38:39], vcc
	s_cbranch_execz .LBB4_3779
; %bb.3778:                             ;   in Loop: Header=BB4_3496 Depth=3
	v_and_b32_e32 v5, 7, v24
	v_lshrrev_b32_e32 v6, 3, v0
	v_cmp_gt_u32_e32 vcc, 8, v0
	v_ffbh_u32_e32 v0, v5
	v_min_u32_e32 v7, 32, v0
	v_subrev_u32_e32 v0, 28, v7
	v_lshlrev_b64 v[0:1], v0, v[24:25]
	v_sub_u32_e32 v1, 29, v7
	v_and_b32_e32 v0, 7, v0
	v_cndmask_b32_e32 v1, v6, v1, vcc
	v_cndmask_b32_e32 v0, v5, v0, vcc
	v_lshlrev_b32_e32 v5, 24, v24
	v_lshlrev_b32_e32 v0, 20, v0
	v_and_b32_e32 v5, 0x80000000, v5
	v_lshl_add_u32 v1, v1, 23, v54
	v_or3_b32 v1, v5, v1, v0
.LBB4_3779:                             ;   in Loop: Header=BB4_3496 Depth=3
	s_or_b64 exec, exec, s[38:39]
.LBB4_3780:                             ;   in Loop: Header=BB4_3496 Depth=3
	s_or_b64 exec, exec, s[28:29]
.LBB4_3781:                             ;   in Loop: Header=BB4_3496 Depth=3
	s_or_b64 exec, exec, s[40:41]
	v_cmp_ne_u16_sdwa s[40:41], v2, v3 src0_sel:BYTE_0 src1_sel:DWORD
	s_and_saveexec_b64 s[28:29], s[40:41]
	s_cbranch_execz .LBB4_3787
; %bb.3782:                             ;   in Loop: Header=BB4_3496 Depth=3
	v_cmp_ne_u16_sdwa vcc, v2, s80 src0_sel:BYTE_0 src1_sel:DWORD
	v_bfrev_b32_e32 v4, 1
	s_and_saveexec_b64 s[40:41], vcc
	s_cbranch_execz .LBB4_3786
; %bb.3783:                             ;   in Loop: Header=BB4_3496 Depth=3
	v_bfe_u32 v0, v17, 16, 7
	v_cmp_ne_u32_e32 vcc, s81, v0
	v_mov_b32_e32 v4, 0x7f800001
	s_and_saveexec_b64 s[38:39], vcc
	s_cbranch_execz .LBB4_3785
; %bb.3784:                             ;   in Loop: Header=BB4_3496 Depth=3
	v_and_b32_e32 v6, 7, v2
	v_lshrrev_b32_e32 v7, 3, v0
	v_cmp_gt_u32_e32 vcc, 8, v0
	v_ffbh_u32_e32 v0, v6
	v_min_u32_e32 v0, 32, v0
	v_subrev_u32_e32 v4, 28, v0
	v_lshlrev_b64 v[4:5], v4, v[2:3]
	v_sub_u32_e32 v0, 29, v0
	v_and_b32_e32 v4, 7, v4
	v_cndmask_b32_e32 v0, v7, v0, vcc
	v_cndmask_b32_e32 v4, v6, v4, vcc
	v_lshlrev_b32_e32 v2, 24, v2
	v_lshlrev_b32_e32 v4, 20, v4
	v_and_b32_e32 v2, 0x80000000, v2
	v_lshl_add_u32 v0, v0, 23, v54
	v_or3_b32 v4, v2, v0, v4
.LBB4_3785:                             ;   in Loop: Header=BB4_3496 Depth=3
	s_or_b64 exec, exec, s[38:39]
.LBB4_3786:                             ;   in Loop: Header=BB4_3496 Depth=3
	s_or_b64 exec, exec, s[40:41]
.LBB4_3787:                             ;   in Loop: Header=BB4_3496 Depth=3
	s_or_b64 exec, exec, s[28:29]
	v_max_f32_e32 v0, v4, v4
	v_max_f32_e32 v1, v1, v1
	v_min_f32_e32 v4, v1, v0
.LBB4_3788:                             ;   in Loop: Header=BB4_3496 Depth=3
	v_and_b32_e32 v2, 0x7f800000, v4
	v_cmp_ne_u64_e32 vcc, s[76:77], v[2:3]
                                        ; implicit-def: $vgpr25
	s_and_saveexec_b64 s[28:29], vcc
	s_xor_b64 s[40:41], exec, s[28:29]
	s_cbranch_execz .LBB4_3802
; %bb.3789:                             ;   in Loop: Header=BB4_3496 Depth=3
	v_and_b32_e32 v2, 0x7fffffff, v4
	v_cmp_gt_u64_e32 vcc, s[78:79], v[2:3]
	v_and_b32_sdwa v1, v4, s80 dst_sel:DWORD dst_unused:UNUSED_PAD src0_sel:BYTE_3 src1_sel:DWORD
                                        ; implicit-def: $vgpr25
	s_and_saveexec_b64 s[28:29], vcc
	s_xor_b64 s[38:39], exec, s[28:29]
	s_cbranch_execz .LBB4_3799
; %bb.3790:                             ;   in Loop: Header=BB4_3496 Depth=3
	v_mov_b32_e32 v25, 0
	v_cmp_ne_u32_e32 vcc, 0, v4
	s_and_saveexec_b64 s[48:49], vcc
	s_cbranch_execz .LBB4_3798
; %bb.3791:                             ;   in Loop: Header=BB4_3496 Depth=3
	v_bfe_u32 v6, v4, 23, 8
	v_cmp_gt_u32_e64 s[28:29], s83, v6
	v_sub_u32_e32 v2, 0x79, v6
	v_and_b32_e32 v0, 0x7fffff, v4
	v_cmp_eq_u32_e32 vcc, 0, v6
	v_cndmask_b32_e64 v2, 0, v2, s[28:29]
	v_mov_b32_e32 v5, 0x78
	v_or_b32_e32 v4, 0x800000, v0
	v_cndmask_b32_e32 v7, v2, v5, vcc
	v_cndmask_b32_e32 v2, v4, v0, vcc
	v_add_u32_e32 v0, 20, v7
	v_lshlrev_b64 v[4:5], v0, -1
	v_add_u32_e32 v0, 19, v7
	v_lshlrev_b64 v[24:25], v0, 1
	v_bfi_b32 v5, v5, 0, 0
	v_bfi_b32 v4, v4, 0, v2
	v_cmp_eq_u64_e64 s[28:29], v[4:5], v[24:25]
	v_lshrrev_b64 v[24:25], v7, v[2:3]
	v_mov_b32_e32 v4, v24
	v_mov_b32_e32 v5, v25
	s_and_saveexec_b64 s[50:51], s[28:29]
; %bb.3792:                             ;   in Loop: Header=BB4_3496 Depth=3
	v_bfe_u32 v0, v24, 20, 1
	v_add_co_u32_e64 v0, s[28:29], v24, v0
	v_add_co_u32_e64 v4, s[28:29], -1, v0
; %bb.3793:                             ;   in Loop: Header=BB4_3496 Depth=3
	s_or_b64 exec, exec, s[50:51]
	v_add_u32_e32 v0, 0xffffff81, v6
	v_mov_b32_e32 v2, 0xffffff82
	v_cndmask_b32_e32 v0, v0, v2, vcc
	v_lshrrev_b32_e32 v2, 23, v24
	v_add3_u32 v5, v7, v0, v2
	v_add_u32_e32 v0, 6, v5
	v_and_b32_e32 v2, 0xfffff, v4
	v_add_u32_e32 v2, v2, v24
	v_cmp_ne_u32_e32 vcc, 0, v0
                                        ; implicit-def: $vgpr24_vgpr25
                                        ; implicit-def: $vgpr4
	s_and_saveexec_b64 s[28:29], vcc
	s_xor_b64 s[28:29], exec, s[28:29]
; %bb.3794:                             ;   in Loop: Header=BB4_3496 Depth=3
	v_cmp_lt_u64_e32 vcc, s[88:89], v[2:3]
	v_add_u32_e32 v4, 7, v5
	v_cndmask_b32_e32 v4, v0, v4, vcc
	v_cndmask_b32_e64 v0, 0, 1, vcc
	v_lshrrev_b64 v[24:25], v0, v[2:3]
; %bb.3795:                             ;   in Loop: Header=BB4_3496 Depth=3
	s_andn2_saveexec_b64 s[28:29], s[28:29]
; %bb.3796:                             ;   in Loop: Header=BB4_3496 Depth=3
	v_mov_b32_e32 v25, v3
	v_bfe_u32 v4, v2, 23, 1
	v_mov_b32_e32 v24, v2
; %bb.3797:                             ;   in Loop: Header=BB4_3496 Depth=3
	s_or_b64 exec, exec, s[28:29]
	v_lshrrev_b64 v[5:6], 20, v[24:25]
	v_cmp_gt_i32_e32 vcc, 16, v4
	v_cndmask_b32_e32 v6, 0, v6, vcc
	v_cndmask_b32_e32 v5, 7, v5, vcc
	v_min_i32_e32 v0, 15, v4
	v_cmp_eq_u64_e64 s[28:29], 0, v[5:6]
	v_lshlrev_b32_e32 v0, 3, v0
	v_cmp_eq_u32_e32 vcc, 0, v4
	v_and_b32_e32 v0, 0xf8, v0
	v_and_or_b32 v0, v5, 7, v0
	s_and_b64 s[28:29], vcc, s[28:29]
	v_cndmask_b32_e64 v0, v0, 0, s[28:29]
	v_or_b32_e32 v25, v0, v1
.LBB4_3798:                             ;   in Loop: Header=BB4_3496 Depth=3
	s_or_b64 exec, exec, s[48:49]
                                        ; implicit-def: $vgpr1
.LBB4_3799:                             ;   in Loop: Header=BB4_3496 Depth=3
	s_andn2_saveexec_b64 s[28:29], s[38:39]
; %bb.3800:                             ;   in Loop: Header=BB4_3496 Depth=3
	v_or_b32_e32 v25, 0x7e, v1
; %bb.3801:                             ;   in Loop: Header=BB4_3496 Depth=3
	s_or_b64 exec, exec, s[28:29]
                                        ; implicit-def: $vgpr4
.LBB4_3802:                             ;   in Loop: Header=BB4_3496 Depth=3
	s_andn2_saveexec_b64 s[28:29], s[40:41]
; %bb.3803:                             ;   in Loop: Header=BB4_3496 Depth=3
	v_or_b32_sdwa v25, v4, s81 dst_sel:DWORD dst_unused:UNUSED_PAD src0_sel:BYTE_3 src1_sel:DWORD
; %bb.3804:                             ;   in Loop: Header=BB4_3496 Depth=3
	s_or_b64 exec, exec, s[28:29]
	v_cmp_lt_u64_e64 s[28:29], s[62:63], v[20:21]
	v_lshrrev_b32_e32 v24, 24, v21
	v_lshrrev_b32_e32 v2, 24, v17
	s_mov_b64 s[40:41], -1
	s_and_b64 vcc, exec, s[46:47]
                                        ; implicit-def: $vgpr4
	s_cbranch_vccz .LBB4_3818
; %bb.3805:                             ;   in Loop: Header=BB4_3496 Depth=3
	v_mov_b32_e32 v4, 0
	v_mov_b32_e32 v1, 0
	s_and_saveexec_b64 s[40:41], s[28:29]
	s_cbranch_execz .LBB4_3811
; %bb.3806:                             ;   in Loop: Header=BB4_3496 Depth=3
	v_cmp_ne_u32_e32 vcc, s80, v24
	v_bfrev_b32_e32 v1, 1
	s_and_saveexec_b64 s[38:39], vcc
	s_cbranch_execz .LBB4_3810
; %bb.3807:                             ;   in Loop: Header=BB4_3496 Depth=3
	v_bfe_u32 v0, v21, 24, 7
	v_cmp_ne_u32_e32 vcc, s81, v0
	v_mov_b32_e32 v1, 0x7f800001
	s_and_saveexec_b64 s[48:49], vcc
	s_cbranch_execz .LBB4_3809
; %bb.3808:                             ;   in Loop: Header=BB4_3496 Depth=3
	v_and_b32_e32 v5, 7, v24
	v_lshrrev_b32_e32 v6, 3, v0
	v_cmp_gt_u32_e32 vcc, 8, v0
	v_ffbh_u32_e32 v0, v5
	v_min_u32_e32 v7, 32, v0
	v_subrev_u32_e32 v0, 28, v7
	v_lshlrev_b64 v[0:1], v0, v[24:25]
	v_sub_u32_e32 v1, 29, v7
	v_and_b32_e32 v0, 7, v0
	v_cndmask_b32_e32 v1, v6, v1, vcc
	v_cndmask_b32_e32 v0, v5, v0, vcc
	v_lshlrev_b32_e32 v5, 24, v24
	v_lshlrev_b32_e32 v0, 20, v0
	v_and_b32_e32 v5, 0x80000000, v5
	v_lshl_add_u32 v1, v1, 23, v54
	v_or3_b32 v1, v5, v1, v0
.LBB4_3809:                             ;   in Loop: Header=BB4_3496 Depth=3
	s_or_b64 exec, exec, s[48:49]
.LBB4_3810:                             ;   in Loop: Header=BB4_3496 Depth=3
	s_or_b64 exec, exec, s[38:39]
.LBB4_3811:                             ;   in Loop: Header=BB4_3496 Depth=3
	s_or_b64 exec, exec, s[40:41]
	v_cmp_lt_u64_e32 vcc, s[62:63], v[16:17]
	s_and_saveexec_b64 s[40:41], vcc
	s_cbranch_execz .LBB4_3817
; %bb.3812:                             ;   in Loop: Header=BB4_3496 Depth=3
	v_cmp_ne_u32_e32 vcc, s80, v2
	v_bfrev_b32_e32 v4, 1
	s_and_saveexec_b64 s[38:39], vcc
	s_cbranch_execz .LBB4_3816
; %bb.3813:                             ;   in Loop: Header=BB4_3496 Depth=3
	v_bfe_u32 v0, v17, 24, 7
	v_cmp_ne_u32_e32 vcc, s81, v0
	v_mov_b32_e32 v4, 0x7f800001
	s_and_saveexec_b64 s[48:49], vcc
	s_cbranch_execz .LBB4_3815
; %bb.3814:                             ;   in Loop: Header=BB4_3496 Depth=3
	v_and_b32_e32 v6, 7, v2
	v_lshrrev_b32_e32 v7, 3, v0
	v_cmp_gt_u32_e32 vcc, 8, v0
	v_ffbh_u32_e32 v0, v6
	v_min_u32_e32 v0, 32, v0
	v_subrev_u32_e32 v4, 28, v0
	v_lshlrev_b64 v[4:5], v4, v[2:3]
	v_sub_u32_e32 v0, 29, v0
	v_and_b32_e32 v4, 7, v4
	v_cndmask_b32_e32 v0, v7, v0, vcc
	v_cndmask_b32_e32 v4, v6, v4, vcc
	v_lshlrev_b32_e32 v5, 24, v2
	v_lshlrev_b32_e32 v4, 20, v4
	v_and_b32_e32 v5, 0x80000000, v5
	v_lshl_add_u32 v0, v0, 23, v54
	v_or3_b32 v4, v5, v0, v4
.LBB4_3815:                             ;   in Loop: Header=BB4_3496 Depth=3
	s_or_b64 exec, exec, s[48:49]
.LBB4_3816:                             ;   in Loop: Header=BB4_3496 Depth=3
	s_or_b64 exec, exec, s[38:39]
.LBB4_3817:                             ;   in Loop: Header=BB4_3496 Depth=3
	s_or_b64 exec, exec, s[40:41]
	v_max_f32_e32 v0, v4, v4
	v_max_f32_e32 v1, v1, v1
	;; [unrolled: 1-line block ×3, first 2 shown]
	s_mov_b64 s[40:41], 0
.LBB4_3818:                             ;   in Loop: Header=BB4_3496 Depth=3
	s_and_b64 vcc, exec, s[40:41]
	s_cbranch_vccz .LBB4_3832
; %bb.3819:                             ;   in Loop: Header=BB4_3496 Depth=3
	v_mov_b32_e32 v4, 0
	v_mov_b32_e32 v1, 0
	s_and_saveexec_b64 s[40:41], s[28:29]
	s_cbranch_execz .LBB4_3825
; %bb.3820:                             ;   in Loop: Header=BB4_3496 Depth=3
	v_cmp_ne_u32_e32 vcc, s80, v24
	v_bfrev_b32_e32 v1, 1
	s_and_saveexec_b64 s[28:29], vcc
	s_cbranch_execz .LBB4_3824
; %bb.3821:                             ;   in Loop: Header=BB4_3496 Depth=3
	v_bfe_u32 v0, v21, 24, 7
	v_cmp_ne_u32_e32 vcc, s81, v0
	v_mov_b32_e32 v1, 0x7f800001
	s_and_saveexec_b64 s[38:39], vcc
	s_cbranch_execz .LBB4_3823
; %bb.3822:                             ;   in Loop: Header=BB4_3496 Depth=3
	v_and_b32_e32 v5, 7, v24
	v_lshrrev_b32_e32 v6, 3, v0
	v_cmp_gt_u32_e32 vcc, 8, v0
	v_ffbh_u32_e32 v0, v5
	v_min_u32_e32 v7, 32, v0
	v_subrev_u32_e32 v0, 28, v7
	v_lshlrev_b64 v[0:1], v0, v[24:25]
	v_sub_u32_e32 v1, 29, v7
	v_and_b32_e32 v0, 7, v0
	v_cndmask_b32_e32 v1, v6, v1, vcc
	v_cndmask_b32_e32 v0, v5, v0, vcc
	v_lshlrev_b32_e32 v5, 24, v24
	v_lshlrev_b32_e32 v0, 20, v0
	v_and_b32_e32 v5, 0x80000000, v5
	v_lshl_add_u32 v1, v1, 23, v54
	v_or3_b32 v1, v5, v1, v0
.LBB4_3823:                             ;   in Loop: Header=BB4_3496 Depth=3
	s_or_b64 exec, exec, s[38:39]
.LBB4_3824:                             ;   in Loop: Header=BB4_3496 Depth=3
	s_or_b64 exec, exec, s[28:29]
.LBB4_3825:                             ;   in Loop: Header=BB4_3496 Depth=3
	s_or_b64 exec, exec, s[40:41]
	v_cmp_lt_u64_e32 vcc, s[62:63], v[16:17]
	s_and_saveexec_b64 s[28:29], vcc
	s_cbranch_execz .LBB4_3831
; %bb.3826:                             ;   in Loop: Header=BB4_3496 Depth=3
	v_cmp_ne_u32_e32 vcc, s80, v2
	v_bfrev_b32_e32 v4, 1
	s_and_saveexec_b64 s[40:41], vcc
	s_cbranch_execz .LBB4_3830
; %bb.3827:                             ;   in Loop: Header=BB4_3496 Depth=3
	v_bfe_u32 v0, v17, 24, 7
	v_cmp_ne_u32_e32 vcc, s81, v0
	v_mov_b32_e32 v4, 0x7f800001
	s_and_saveexec_b64 s[38:39], vcc
	s_cbranch_execz .LBB4_3829
; %bb.3828:                             ;   in Loop: Header=BB4_3496 Depth=3
	v_and_b32_e32 v6, 7, v2
	v_lshrrev_b32_e32 v7, 3, v0
	v_cmp_gt_u32_e32 vcc, 8, v0
	v_ffbh_u32_e32 v0, v6
	v_min_u32_e32 v0, 32, v0
	v_subrev_u32_e32 v4, 28, v0
	v_lshlrev_b64 v[4:5], v4, v[2:3]
	v_sub_u32_e32 v0, 29, v0
	v_and_b32_e32 v4, 7, v4
	v_cndmask_b32_e32 v0, v7, v0, vcc
	v_cndmask_b32_e32 v4, v6, v4, vcc
	v_lshlrev_b32_e32 v2, 24, v2
	v_lshlrev_b32_e32 v4, 20, v4
	v_and_b32_e32 v2, 0x80000000, v2
	v_lshl_add_u32 v0, v0, 23, v54
	v_or3_b32 v4, v2, v0, v4
.LBB4_3829:                             ;   in Loop: Header=BB4_3496 Depth=3
	s_or_b64 exec, exec, s[38:39]
.LBB4_3830:                             ;   in Loop: Header=BB4_3496 Depth=3
	s_or_b64 exec, exec, s[40:41]
.LBB4_3831:                             ;   in Loop: Header=BB4_3496 Depth=3
	s_or_b64 exec, exec, s[28:29]
	v_max_f32_e32 v0, v4, v4
	v_max_f32_e32 v1, v1, v1
	v_min_f32_e32 v4, v1, v0
.LBB4_3832:                             ;   in Loop: Header=BB4_3496 Depth=3
	v_and_b32_e32 v2, 0x7f800000, v4
	v_cmp_ne_u64_e32 vcc, s[76:77], v[2:3]
                                        ; implicit-def: $vgpr24
	s_and_saveexec_b64 s[28:29], vcc
	s_xor_b64 s[40:41], exec, s[28:29]
	s_cbranch_execz .LBB4_3846
; %bb.3833:                             ;   in Loop: Header=BB4_3496 Depth=3
	v_and_b32_e32 v2, 0x7fffffff, v4
	v_cmp_gt_u64_e32 vcc, s[78:79], v[2:3]
	v_and_b32_sdwa v1, v4, s80 dst_sel:DWORD dst_unused:UNUSED_PAD src0_sel:BYTE_3 src1_sel:DWORD
                                        ; implicit-def: $vgpr24
	s_and_saveexec_b64 s[28:29], vcc
	s_xor_b64 s[38:39], exec, s[28:29]
	s_cbranch_execz .LBB4_3843
; %bb.3834:                             ;   in Loop: Header=BB4_3496 Depth=3
	v_mov_b32_e32 v24, 0
	v_cmp_ne_u32_e32 vcc, 0, v4
	s_and_saveexec_b64 s[48:49], vcc
	s_cbranch_execz .LBB4_3842
; %bb.3835:                             ;   in Loop: Header=BB4_3496 Depth=3
	v_bfe_u32 v6, v4, 23, 8
	v_cmp_gt_u32_e64 s[28:29], s83, v6
	v_sub_u32_e32 v2, 0x79, v6
	v_and_b32_e32 v0, 0x7fffff, v4
	v_cmp_eq_u32_e32 vcc, 0, v6
	v_cndmask_b32_e64 v2, 0, v2, s[28:29]
	v_mov_b32_e32 v5, 0x78
	v_or_b32_e32 v4, 0x800000, v0
	v_cndmask_b32_e32 v7, v2, v5, vcc
	v_cndmask_b32_e32 v2, v4, v0, vcc
	v_add_u32_e32 v0, 20, v7
	v_lshlrev_b64 v[4:5], v0, -1
	v_add_u32_e32 v0, 19, v7
	v_lshlrev_b64 v[16:17], v0, 1
	v_bfi_b32 v5, v5, 0, 0
	v_bfi_b32 v4, v4, 0, v2
	v_cmp_eq_u64_e64 s[28:29], v[4:5], v[16:17]
	v_lshrrev_b64 v[16:17], v7, v[2:3]
	v_mov_b32_e32 v4, v16
	v_mov_b32_e32 v5, v17
	s_and_saveexec_b64 s[50:51], s[28:29]
; %bb.3836:                             ;   in Loop: Header=BB4_3496 Depth=3
	v_bfe_u32 v0, v16, 20, 1
	v_add_co_u32_e64 v0, s[28:29], v16, v0
	v_add_co_u32_e64 v4, s[28:29], -1, v0
; %bb.3837:                             ;   in Loop: Header=BB4_3496 Depth=3
	s_or_b64 exec, exec, s[50:51]
	v_add_u32_e32 v0, 0xffffff81, v6
	v_mov_b32_e32 v2, 0xffffff82
	v_cndmask_b32_e32 v0, v0, v2, vcc
	v_lshrrev_b32_e32 v2, 23, v16
	v_add3_u32 v5, v7, v0, v2
	v_add_u32_e32 v0, 6, v5
	v_and_b32_e32 v2, 0xfffff, v4
	v_add_u32_e32 v2, v2, v16
	v_cmp_ne_u32_e32 vcc, 0, v0
                                        ; implicit-def: $vgpr16_vgpr17
                                        ; implicit-def: $vgpr4
	s_and_saveexec_b64 s[28:29], vcc
	s_xor_b64 s[28:29], exec, s[28:29]
; %bb.3838:                             ;   in Loop: Header=BB4_3496 Depth=3
	v_cmp_lt_u64_e32 vcc, s[88:89], v[2:3]
	v_add_u32_e32 v4, 7, v5
	v_cndmask_b32_e32 v4, v0, v4, vcc
	v_cndmask_b32_e64 v0, 0, 1, vcc
	v_lshrrev_b64 v[16:17], v0, v[2:3]
; %bb.3839:                             ;   in Loop: Header=BB4_3496 Depth=3
	s_andn2_saveexec_b64 s[28:29], s[28:29]
; %bb.3840:                             ;   in Loop: Header=BB4_3496 Depth=3
	v_mov_b32_e32 v17, v3
	v_bfe_u32 v4, v2, 23, 1
	v_mov_b32_e32 v16, v2
; %bb.3841:                             ;   in Loop: Header=BB4_3496 Depth=3
	s_or_b64 exec, exec, s[28:29]
	v_lshrrev_b64 v[5:6], 20, v[16:17]
	v_cmp_gt_i32_e32 vcc, 16, v4
	v_cndmask_b32_e32 v6, 0, v6, vcc
	v_cndmask_b32_e32 v5, 7, v5, vcc
	v_min_i32_e32 v0, 15, v4
	v_cmp_eq_u64_e64 s[28:29], 0, v[5:6]
	v_lshlrev_b32_e32 v0, 3, v0
	v_cmp_eq_u32_e32 vcc, 0, v4
	v_and_b32_e32 v0, 0xf8, v0
	v_and_or_b32 v0, v5, 7, v0
	s_and_b64 s[28:29], vcc, s[28:29]
	v_cndmask_b32_e64 v0, v0, 0, s[28:29]
	v_or_b32_e32 v24, v0, v1
.LBB4_3842:                             ;   in Loop: Header=BB4_3496 Depth=3
	s_or_b64 exec, exec, s[48:49]
                                        ; implicit-def: $vgpr1
.LBB4_3843:                             ;   in Loop: Header=BB4_3496 Depth=3
	s_andn2_saveexec_b64 s[28:29], s[38:39]
; %bb.3844:                             ;   in Loop: Header=BB4_3496 Depth=3
	v_or_b32_e32 v24, 0x7e, v1
; %bb.3845:                             ;   in Loop: Header=BB4_3496 Depth=3
	s_or_b64 exec, exec, s[28:29]
                                        ; implicit-def: $vgpr4
.LBB4_3846:                             ;   in Loop: Header=BB4_3496 Depth=3
	s_andn2_saveexec_b64 s[28:29], s[40:41]
; %bb.3847:                             ;   in Loop: Header=BB4_3496 Depth=3
	v_or_b32_sdwa v24, v4, s81 dst_sel:DWORD dst_unused:UNUSED_PAD src0_sel:BYTE_3 src1_sel:DWORD
; %bb.3848:                             ;   in Loop: Header=BB4_3496 Depth=3
	s_or_b64 exec, exec, s[28:29]
	v_cmp_ne_u16_sdwa s[28:29], v22, v3 src0_sel:BYTE_0 src1_sel:DWORD
	s_mov_b64 s[40:41], -1
	s_and_b64 vcc, exec, s[46:47]
                                        ; implicit-def: $vgpr4
	s_cbranch_vccz .LBB4_3862
; %bb.3849:                             ;   in Loop: Header=BB4_3496 Depth=3
	v_mov_b32_e32 v2, 0
	v_mov_b32_e32 v1, 0
	s_and_saveexec_b64 s[40:41], s[28:29]
	s_cbranch_execz .LBB4_3855
; %bb.3850:                             ;   in Loop: Header=BB4_3496 Depth=3
	v_cmp_ne_u16_sdwa vcc, v22, s80 src0_sel:BYTE_0 src1_sel:DWORD
	v_bfrev_b32_e32 v1, 1
	s_and_saveexec_b64 s[38:39], vcc
	s_cbranch_execz .LBB4_3854
; %bb.3851:                             ;   in Loop: Header=BB4_3496 Depth=3
	v_and_b32_e32 v0, 0x7f, v22
	v_cmp_ne_u32_e32 vcc, s81, v0
	v_mov_b32_e32 v1, 0x7f800001
	s_and_saveexec_b64 s[48:49], vcc
	s_cbranch_execz .LBB4_3853
; %bb.3852:                             ;   in Loop: Header=BB4_3496 Depth=3
	v_and_b32_e32 v1, 7, v22
	v_lshrrev_b32_e32 v4, 3, v0
	v_cmp_gt_u32_e32 vcc, 8, v0
	v_ffbh_u32_e32 v0, v1
	v_min_u32_e32 v0, 32, v0
	v_subrev_u32_e32 v1, 28, v0
	v_sub_u32_e32 v0, 29, v0
	v_cndmask_b32_e32 v4, v4, v0, vcc
	v_cndmask_b32_e32 v0, 0, v1, vcc
	v_lshlrev_b64 v[0:1], v0, v[22:23]
	v_lshlrev_b32_e32 v1, 24, v22
	v_lshlrev_b32_e32 v0, 20, v0
	v_and_b32_e32 v0, 0x700000, v0
	v_and_b32_e32 v1, 0x80000000, v1
	v_lshl_add_u32 v4, v4, 23, v54
	v_or3_b32 v1, v1, v4, v0
.LBB4_3853:                             ;   in Loop: Header=BB4_3496 Depth=3
	s_or_b64 exec, exec, s[48:49]
.LBB4_3854:                             ;   in Loop: Header=BB4_3496 Depth=3
	s_or_b64 exec, exec, s[38:39]
.LBB4_3855:                             ;   in Loop: Header=BB4_3496 Depth=3
	s_or_b64 exec, exec, s[40:41]
	v_cmp_ne_u16_sdwa vcc, v18, v3 src0_sel:BYTE_0 src1_sel:DWORD
	s_and_saveexec_b64 s[40:41], vcc
	s_cbranch_execz .LBB4_3861
; %bb.3856:                             ;   in Loop: Header=BB4_3496 Depth=3
	v_cmp_ne_u16_sdwa vcc, v18, s80 src0_sel:BYTE_0 src1_sel:DWORD
	v_bfrev_b32_e32 v2, 1
	s_and_saveexec_b64 s[38:39], vcc
	s_cbranch_execz .LBB4_3860
; %bb.3857:                             ;   in Loop: Header=BB4_3496 Depth=3
	v_and_b32_e32 v0, 0x7f, v18
	v_cmp_ne_u32_e32 vcc, s81, v0
	v_mov_b32_e32 v2, 0x7f800001
	s_and_saveexec_b64 s[48:49], vcc
	s_cbranch_execz .LBB4_3859
; %bb.3858:                             ;   in Loop: Header=BB4_3496 Depth=3
	v_and_b32_e32 v2, 7, v18
	v_lshrrev_b32_e32 v4, 3, v0
	v_cmp_gt_u32_e32 vcc, 8, v0
	v_ffbh_u32_e32 v0, v2
	v_min_u32_e32 v0, 32, v0
	v_subrev_u32_e32 v2, 28, v0
	v_sub_u32_e32 v0, 29, v0
	v_cndmask_b32_e32 v2, 0, v2, vcc
	v_cndmask_b32_e32 v0, v4, v0, vcc
	v_lshlrev_b64 v[4:5], v2, v[18:19]
	v_lshl_add_u32 v0, v0, 23, v54
	v_lshlrev_b32_e32 v2, 20, v4
	v_lshlrev_b32_e32 v4, 24, v18
	v_and_b32_e32 v2, 0x700000, v2
	v_and_b32_e32 v4, 0x80000000, v4
	v_or3_b32 v2, v4, v0, v2
.LBB4_3859:                             ;   in Loop: Header=BB4_3496 Depth=3
	s_or_b64 exec, exec, s[48:49]
.LBB4_3860:                             ;   in Loop: Header=BB4_3496 Depth=3
	s_or_b64 exec, exec, s[38:39]
.LBB4_3861:                             ;   in Loop: Header=BB4_3496 Depth=3
	s_or_b64 exec, exec, s[40:41]
	v_max_f32_e32 v0, v2, v2
	v_max_f32_e32 v1, v1, v1
	;; [unrolled: 1-line block ×3, first 2 shown]
	s_mov_b64 s[40:41], 0
.LBB4_3862:                             ;   in Loop: Header=BB4_3496 Depth=3
	s_and_b64 vcc, exec, s[40:41]
	s_cbranch_vccz .LBB4_3876
; %bb.3863:                             ;   in Loop: Header=BB4_3496 Depth=3
	v_mov_b32_e32 v2, 0
	v_mov_b32_e32 v1, 0
	s_and_saveexec_b64 s[40:41], s[28:29]
	s_cbranch_execz .LBB4_3869
; %bb.3864:                             ;   in Loop: Header=BB4_3496 Depth=3
	v_cmp_ne_u16_sdwa vcc, v22, s80 src0_sel:BYTE_0 src1_sel:DWORD
	v_bfrev_b32_e32 v1, 1
	s_and_saveexec_b64 s[28:29], vcc
	s_cbranch_execz .LBB4_3868
; %bb.3865:                             ;   in Loop: Header=BB4_3496 Depth=3
	v_and_b32_e32 v0, 0x7f, v22
	v_cmp_ne_u32_e32 vcc, s81, v0
	v_mov_b32_e32 v1, 0x7f800001
	s_and_saveexec_b64 s[38:39], vcc
	s_cbranch_execz .LBB4_3867
; %bb.3866:                             ;   in Loop: Header=BB4_3496 Depth=3
	v_and_b32_e32 v1, 7, v22
	v_lshrrev_b32_e32 v4, 3, v0
	v_cmp_gt_u32_e32 vcc, 8, v0
	v_ffbh_u32_e32 v0, v1
	v_min_u32_e32 v0, 32, v0
	v_subrev_u32_e32 v1, 28, v0
	v_sub_u32_e32 v0, 29, v0
	v_cndmask_b32_e32 v4, v4, v0, vcc
	v_cndmask_b32_e32 v0, 0, v1, vcc
	v_lshlrev_b64 v[0:1], v0, v[22:23]
	v_lshlrev_b32_e32 v1, 24, v22
	v_lshlrev_b32_e32 v0, 20, v0
	v_and_b32_e32 v0, 0x700000, v0
	v_and_b32_e32 v1, 0x80000000, v1
	v_lshl_add_u32 v4, v4, 23, v54
	v_or3_b32 v1, v1, v4, v0
.LBB4_3867:                             ;   in Loop: Header=BB4_3496 Depth=3
	s_or_b64 exec, exec, s[38:39]
.LBB4_3868:                             ;   in Loop: Header=BB4_3496 Depth=3
	s_or_b64 exec, exec, s[28:29]
.LBB4_3869:                             ;   in Loop: Header=BB4_3496 Depth=3
	s_or_b64 exec, exec, s[40:41]
	v_cmp_ne_u16_sdwa s[40:41], v18, v3 src0_sel:BYTE_0 src1_sel:DWORD
	s_and_saveexec_b64 s[28:29], s[40:41]
	s_cbranch_execz .LBB4_3875
; %bb.3870:                             ;   in Loop: Header=BB4_3496 Depth=3
	v_cmp_ne_u16_sdwa vcc, v18, s80 src0_sel:BYTE_0 src1_sel:DWORD
	v_bfrev_b32_e32 v2, 1
	s_and_saveexec_b64 s[40:41], vcc
	s_cbranch_execz .LBB4_3874
; %bb.3871:                             ;   in Loop: Header=BB4_3496 Depth=3
	v_and_b32_e32 v0, 0x7f, v18
	v_cmp_ne_u32_e32 vcc, s81, v0
	v_mov_b32_e32 v2, 0x7f800001
	s_and_saveexec_b64 s[38:39], vcc
	s_cbranch_execz .LBB4_3873
; %bb.3872:                             ;   in Loop: Header=BB4_3496 Depth=3
	v_and_b32_e32 v2, 7, v18
	v_lshrrev_b32_e32 v4, 3, v0
	v_cmp_gt_u32_e32 vcc, 8, v0
	v_ffbh_u32_e32 v0, v2
	v_min_u32_e32 v0, 32, v0
	v_subrev_u32_e32 v2, 28, v0
	v_sub_u32_e32 v0, 29, v0
	v_cndmask_b32_e32 v2, 0, v2, vcc
	v_cndmask_b32_e32 v0, v4, v0, vcc
	v_lshlrev_b64 v[4:5], v2, v[18:19]
	v_lshl_add_u32 v0, v0, 23, v54
	v_lshlrev_b32_e32 v2, 20, v4
	v_lshlrev_b32_e32 v4, 24, v18
	v_and_b32_e32 v2, 0x700000, v2
	v_and_b32_e32 v4, 0x80000000, v4
	v_or3_b32 v2, v4, v0, v2
.LBB4_3873:                             ;   in Loop: Header=BB4_3496 Depth=3
	s_or_b64 exec, exec, s[38:39]
.LBB4_3874:                             ;   in Loop: Header=BB4_3496 Depth=3
	s_or_b64 exec, exec, s[40:41]
.LBB4_3875:                             ;   in Loop: Header=BB4_3496 Depth=3
	s_or_b64 exec, exec, s[28:29]
	v_max_f32_e32 v0, v2, v2
	v_max_f32_e32 v1, v1, v1
	v_min_f32_e32 v4, v1, v0
.LBB4_3876:                             ;   in Loop: Header=BB4_3496 Depth=3
	v_and_b32_e32 v2, 0x7f800000, v4
	v_cmp_ne_u64_e32 vcc, s[76:77], v[2:3]
                                        ; implicit-def: $vgpr47
	s_and_saveexec_b64 s[28:29], vcc
	s_xor_b64 s[40:41], exec, s[28:29]
	s_cbranch_execz .LBB4_3890
; %bb.3877:                             ;   in Loop: Header=BB4_3496 Depth=3
	v_and_b32_e32 v2, 0x7fffffff, v4
	v_cmp_gt_u64_e32 vcc, s[78:79], v[2:3]
	v_and_b32_sdwa v1, v4, s80 dst_sel:DWORD dst_unused:UNUSED_PAD src0_sel:BYTE_3 src1_sel:DWORD
                                        ; implicit-def: $vgpr47
	s_and_saveexec_b64 s[28:29], vcc
	s_xor_b64 s[38:39], exec, s[28:29]
	s_cbranch_execz .LBB4_3887
; %bb.3878:                             ;   in Loop: Header=BB4_3496 Depth=3
	v_mov_b32_e32 v47, 0
	v_cmp_ne_u32_e32 vcc, 0, v4
	s_and_saveexec_b64 s[48:49], vcc
	s_cbranch_execz .LBB4_3886
; %bb.3879:                             ;   in Loop: Header=BB4_3496 Depth=3
	v_bfe_u32 v6, v4, 23, 8
	v_cmp_gt_u32_e64 s[28:29], s83, v6
	v_sub_u32_e32 v2, 0x79, v6
	v_and_b32_e32 v0, 0x7fffff, v4
	v_cmp_eq_u32_e32 vcc, 0, v6
	v_cndmask_b32_e64 v2, 0, v2, s[28:29]
	v_mov_b32_e32 v5, 0x78
	v_or_b32_e32 v4, 0x800000, v0
	v_cndmask_b32_e32 v7, v2, v5, vcc
	v_cndmask_b32_e32 v2, v4, v0, vcc
	v_add_u32_e32 v0, 20, v7
	v_lshlrev_b64 v[4:5], v0, -1
	v_add_u32_e32 v0, 19, v7
	v_lshlrev_b64 v[16:17], v0, 1
	v_bfi_b32 v5, v5, 0, 0
	v_bfi_b32 v4, v4, 0, v2
	v_cmp_eq_u64_e64 s[28:29], v[4:5], v[16:17]
	v_lshrrev_b64 v[16:17], v7, v[2:3]
	v_mov_b32_e32 v4, v16
	v_mov_b32_e32 v5, v17
	s_and_saveexec_b64 s[50:51], s[28:29]
; %bb.3880:                             ;   in Loop: Header=BB4_3496 Depth=3
	v_bfe_u32 v0, v16, 20, 1
	v_add_co_u32_e64 v0, s[28:29], v16, v0
	v_add_co_u32_e64 v4, s[28:29], -1, v0
; %bb.3881:                             ;   in Loop: Header=BB4_3496 Depth=3
	s_or_b64 exec, exec, s[50:51]
	v_add_u32_e32 v0, 0xffffff81, v6
	v_mov_b32_e32 v2, 0xffffff82
	v_cndmask_b32_e32 v0, v0, v2, vcc
	v_lshrrev_b32_e32 v2, 23, v16
	v_add3_u32 v5, v7, v0, v2
	v_add_u32_e32 v0, 6, v5
	v_and_b32_e32 v2, 0xfffff, v4
	v_add_u32_e32 v2, v2, v16
	v_cmp_ne_u32_e32 vcc, 0, v0
                                        ; implicit-def: $vgpr16_vgpr17
                                        ; implicit-def: $vgpr4
	s_and_saveexec_b64 s[28:29], vcc
	s_xor_b64 s[28:29], exec, s[28:29]
; %bb.3882:                             ;   in Loop: Header=BB4_3496 Depth=3
	v_cmp_lt_u64_e32 vcc, s[88:89], v[2:3]
	v_add_u32_e32 v4, 7, v5
	v_cndmask_b32_e32 v4, v0, v4, vcc
	v_cndmask_b32_e64 v0, 0, 1, vcc
	v_lshrrev_b64 v[16:17], v0, v[2:3]
; %bb.3883:                             ;   in Loop: Header=BB4_3496 Depth=3
	s_andn2_saveexec_b64 s[28:29], s[28:29]
; %bb.3884:                             ;   in Loop: Header=BB4_3496 Depth=3
	v_mov_b32_e32 v17, v3
	v_bfe_u32 v4, v2, 23, 1
	v_mov_b32_e32 v16, v2
; %bb.3885:                             ;   in Loop: Header=BB4_3496 Depth=3
	s_or_b64 exec, exec, s[28:29]
	v_lshrrev_b64 v[5:6], 20, v[16:17]
	v_cmp_gt_i32_e32 vcc, 16, v4
	v_cndmask_b32_e32 v6, 0, v6, vcc
	v_cndmask_b32_e32 v5, 7, v5, vcc
	v_min_i32_e32 v0, 15, v4
	v_cmp_eq_u64_e64 s[28:29], 0, v[5:6]
	v_lshlrev_b32_e32 v0, 3, v0
	v_cmp_eq_u32_e32 vcc, 0, v4
	v_and_b32_e32 v0, 0xf8, v0
	v_and_or_b32 v0, v5, 7, v0
	s_and_b64 s[28:29], vcc, s[28:29]
	v_cndmask_b32_e64 v0, v0, 0, s[28:29]
	v_or_b32_e32 v47, v0, v1
.LBB4_3886:                             ;   in Loop: Header=BB4_3496 Depth=3
	s_or_b64 exec, exec, s[48:49]
                                        ; implicit-def: $vgpr1
.LBB4_3887:                             ;   in Loop: Header=BB4_3496 Depth=3
	s_andn2_saveexec_b64 s[28:29], s[38:39]
; %bb.3888:                             ;   in Loop: Header=BB4_3496 Depth=3
	v_or_b32_e32 v47, 0x7e, v1
; %bb.3889:                             ;   in Loop: Header=BB4_3496 Depth=3
	s_or_b64 exec, exec, s[28:29]
                                        ; implicit-def: $vgpr4
.LBB4_3890:                             ;   in Loop: Header=BB4_3496 Depth=3
	s_andn2_saveexec_b64 s[28:29], s[40:41]
; %bb.3891:                             ;   in Loop: Header=BB4_3496 Depth=3
	v_or_b32_sdwa v47, v4, s81 dst_sel:DWORD dst_unused:UNUSED_PAD src0_sel:BYTE_3 src1_sel:DWORD
; %bb.3892:                             ;   in Loop: Header=BB4_3496 Depth=3
	s_or_b64 exec, exec, s[28:29]
	v_lshrrev_b16_e32 v16, 8, v22
	v_lshrrev_b16_e32 v2, 8, v18
	v_cmp_ne_u16_e64 s[28:29], 0, v16
	s_mov_b64 s[40:41], -1
	s_and_b64 vcc, exec, s[46:47]
                                        ; implicit-def: $vgpr4
	s_cbranch_vccz .LBB4_3906
; %bb.3893:                             ;   in Loop: Header=BB4_3496 Depth=3
	v_mov_b32_e32 v4, 0
	v_mov_b32_e32 v1, 0
	s_and_saveexec_b64 s[40:41], s[28:29]
	s_cbranch_execz .LBB4_3899
; %bb.3894:                             ;   in Loop: Header=BB4_3496 Depth=3
	v_cmp_ne_u16_e32 vcc, s80, v16
	v_bfrev_b32_e32 v1, 1
	s_and_saveexec_b64 s[38:39], vcc
	s_cbranch_execz .LBB4_3898
; %bb.3895:                             ;   in Loop: Header=BB4_3496 Depth=3
	v_and_b32_e32 v0, 0x7f, v16
	v_cmp_ne_u32_e32 vcc, s81, v0
	v_mov_b32_e32 v1, 0x7f800001
	s_and_saveexec_b64 s[48:49], vcc
	s_cbranch_execz .LBB4_3897
; %bb.3896:                             ;   in Loop: Header=BB4_3496 Depth=3
	v_and_b32_e32 v5, 7, v16
	v_lshrrev_b32_e32 v6, 3, v0
	v_cmp_gt_u32_e32 vcc, 8, v0
	v_ffbh_u32_e32 v0, v5
	v_min_u32_e32 v7, 32, v0
	v_subrev_u32_e32 v0, 28, v7
	v_lshlrev_b64 v[0:1], v0, v[16:17]
	v_sub_u32_e32 v1, 29, v7
	v_and_b32_e32 v0, 7, v0
	v_cndmask_b32_e32 v1, v6, v1, vcc
	v_cndmask_b32_e32 v0, v5, v0, vcc
	v_lshlrev_b32_e32 v5, 16, v22
	v_lshlrev_b32_e32 v0, 20, v0
	v_and_b32_e32 v5, 0x80000000, v5
	v_lshl_add_u32 v1, v1, 23, v54
	v_or3_b32 v1, v5, v1, v0
.LBB4_3897:                             ;   in Loop: Header=BB4_3496 Depth=3
	s_or_b64 exec, exec, s[48:49]
.LBB4_3898:                             ;   in Loop: Header=BB4_3496 Depth=3
	s_or_b64 exec, exec, s[38:39]
.LBB4_3899:                             ;   in Loop: Header=BB4_3496 Depth=3
	s_or_b64 exec, exec, s[40:41]
	v_cmp_ne_u16_e32 vcc, 0, v2
	s_and_saveexec_b64 s[40:41], vcc
	s_cbranch_execz .LBB4_3905
; %bb.3900:                             ;   in Loop: Header=BB4_3496 Depth=3
	v_cmp_ne_u16_e32 vcc, s80, v2
	v_bfrev_b32_e32 v4, 1
	s_and_saveexec_b64 s[38:39], vcc
	s_cbranch_execz .LBB4_3904
; %bb.3901:                             ;   in Loop: Header=BB4_3496 Depth=3
	v_and_b32_e32 v0, 0x7f, v2
	v_cmp_ne_u32_e32 vcc, s81, v0
	v_mov_b32_e32 v4, 0x7f800001
	s_and_saveexec_b64 s[48:49], vcc
	s_cbranch_execz .LBB4_3903
; %bb.3902:                             ;   in Loop: Header=BB4_3496 Depth=3
	v_and_b32_e32 v6, 7, v2
	v_lshrrev_b32_e32 v7, 3, v0
	v_cmp_gt_u32_e32 vcc, 8, v0
	v_ffbh_u32_e32 v0, v6
	v_min_u32_e32 v0, 32, v0
	v_subrev_u32_e32 v4, 28, v0
	v_lshlrev_b64 v[4:5], v4, v[2:3]
	v_sub_u32_e32 v0, 29, v0
	v_and_b32_e32 v4, 7, v4
	v_cndmask_b32_e32 v0, v7, v0, vcc
	v_cndmask_b32_e32 v4, v6, v4, vcc
	v_lshlrev_b32_e32 v5, 16, v18
	v_lshlrev_b32_e32 v4, 20, v4
	v_and_b32_e32 v5, 0x80000000, v5
	v_lshl_add_u32 v0, v0, 23, v54
	v_or3_b32 v4, v5, v0, v4
.LBB4_3903:                             ;   in Loop: Header=BB4_3496 Depth=3
	s_or_b64 exec, exec, s[48:49]
.LBB4_3904:                             ;   in Loop: Header=BB4_3496 Depth=3
	s_or_b64 exec, exec, s[38:39]
.LBB4_3905:                             ;   in Loop: Header=BB4_3496 Depth=3
	s_or_b64 exec, exec, s[40:41]
	v_max_f32_e32 v0, v4, v4
	v_max_f32_e32 v1, v1, v1
	;; [unrolled: 1-line block ×3, first 2 shown]
	s_mov_b64 s[40:41], 0
.LBB4_3906:                             ;   in Loop: Header=BB4_3496 Depth=3
	s_and_b64 vcc, exec, s[40:41]
	s_cbranch_vccz .LBB4_3920
; %bb.3907:                             ;   in Loop: Header=BB4_3496 Depth=3
	v_mov_b32_e32 v4, 0
	v_mov_b32_e32 v1, 0
	s_and_saveexec_b64 s[40:41], s[28:29]
	s_cbranch_execz .LBB4_3913
; %bb.3908:                             ;   in Loop: Header=BB4_3496 Depth=3
	v_cmp_ne_u16_e32 vcc, s80, v16
	v_bfrev_b32_e32 v1, 1
	s_and_saveexec_b64 s[28:29], vcc
	s_cbranch_execz .LBB4_3912
; %bb.3909:                             ;   in Loop: Header=BB4_3496 Depth=3
	v_and_b32_e32 v0, 0x7f, v16
	v_cmp_ne_u32_e32 vcc, s81, v0
	v_mov_b32_e32 v1, 0x7f800001
	s_and_saveexec_b64 s[38:39], vcc
	s_cbranch_execz .LBB4_3911
; %bb.3910:                             ;   in Loop: Header=BB4_3496 Depth=3
	v_and_b32_e32 v5, 7, v16
	v_lshrrev_b32_e32 v6, 3, v0
	v_cmp_gt_u32_e32 vcc, 8, v0
	v_ffbh_u32_e32 v0, v5
	v_min_u32_e32 v7, 32, v0
	v_subrev_u32_e32 v0, 28, v7
	v_lshlrev_b64 v[0:1], v0, v[16:17]
	v_sub_u32_e32 v1, 29, v7
	v_and_b32_e32 v0, 7, v0
	v_cndmask_b32_e32 v1, v6, v1, vcc
	v_cndmask_b32_e32 v0, v5, v0, vcc
	v_lshlrev_b32_e32 v5, 16, v22
	v_lshlrev_b32_e32 v0, 20, v0
	v_and_b32_e32 v5, 0x80000000, v5
	v_lshl_add_u32 v1, v1, 23, v54
	v_or3_b32 v1, v5, v1, v0
.LBB4_3911:                             ;   in Loop: Header=BB4_3496 Depth=3
	s_or_b64 exec, exec, s[38:39]
.LBB4_3912:                             ;   in Loop: Header=BB4_3496 Depth=3
	s_or_b64 exec, exec, s[28:29]
.LBB4_3913:                             ;   in Loop: Header=BB4_3496 Depth=3
	s_or_b64 exec, exec, s[40:41]
	v_cmp_ne_u16_e32 vcc, 0, v2
	s_and_saveexec_b64 s[28:29], vcc
	s_cbranch_execz .LBB4_3919
; %bb.3914:                             ;   in Loop: Header=BB4_3496 Depth=3
	v_cmp_ne_u16_e32 vcc, s80, v2
	v_bfrev_b32_e32 v4, 1
	s_and_saveexec_b64 s[40:41], vcc
	s_cbranch_execz .LBB4_3918
; %bb.3915:                             ;   in Loop: Header=BB4_3496 Depth=3
	v_and_b32_e32 v0, 0x7f, v2
	v_cmp_ne_u32_e32 vcc, s81, v0
	v_mov_b32_e32 v4, 0x7f800001
	s_and_saveexec_b64 s[38:39], vcc
	s_cbranch_execz .LBB4_3917
; %bb.3916:                             ;   in Loop: Header=BB4_3496 Depth=3
	v_and_b32_e32 v6, 7, v2
	v_lshrrev_b32_e32 v7, 3, v0
	v_cmp_gt_u32_e32 vcc, 8, v0
	v_ffbh_u32_e32 v0, v6
	v_min_u32_e32 v0, 32, v0
	v_subrev_u32_e32 v4, 28, v0
	v_lshlrev_b64 v[4:5], v4, v[2:3]
	v_sub_u32_e32 v0, 29, v0
	v_and_b32_e32 v2, 7, v4
	v_cndmask_b32_e32 v0, v7, v0, vcc
	v_cndmask_b32_e32 v2, v6, v2, vcc
	v_lshlrev_b32_e32 v4, 16, v18
	v_lshlrev_b32_e32 v2, 20, v2
	v_and_b32_e32 v4, 0x80000000, v4
	v_lshl_add_u32 v0, v0, 23, v54
	v_or3_b32 v4, v4, v0, v2
.LBB4_3917:                             ;   in Loop: Header=BB4_3496 Depth=3
	s_or_b64 exec, exec, s[38:39]
.LBB4_3918:                             ;   in Loop: Header=BB4_3496 Depth=3
	s_or_b64 exec, exec, s[40:41]
.LBB4_3919:                             ;   in Loop: Header=BB4_3496 Depth=3
	s_or_b64 exec, exec, s[28:29]
	v_max_f32_e32 v0, v4, v4
	v_max_f32_e32 v1, v1, v1
	v_min_f32_e32 v4, v1, v0
.LBB4_3920:                             ;   in Loop: Header=BB4_3496 Depth=3
	v_and_b32_e32 v2, 0x7f800000, v4
	v_cmp_ne_u64_e32 vcc, s[76:77], v[2:3]
                                        ; implicit-def: $vgpr34
	s_and_saveexec_b64 s[28:29], vcc
	s_xor_b64 s[40:41], exec, s[28:29]
	s_cbranch_execz .LBB4_3934
; %bb.3921:                             ;   in Loop: Header=BB4_3496 Depth=3
	v_and_b32_e32 v2, 0x7fffffff, v4
	v_cmp_gt_u64_e32 vcc, s[78:79], v[2:3]
	v_and_b32_sdwa v1, v4, s80 dst_sel:DWORD dst_unused:UNUSED_PAD src0_sel:BYTE_3 src1_sel:DWORD
                                        ; implicit-def: $vgpr34
	s_and_saveexec_b64 s[28:29], vcc
	s_xor_b64 s[38:39], exec, s[28:29]
	s_cbranch_execz .LBB4_3931
; %bb.3922:                             ;   in Loop: Header=BB4_3496 Depth=3
	v_mov_b32_e32 v34, 0
	v_cmp_ne_u32_e32 vcc, 0, v4
	s_and_saveexec_b64 s[48:49], vcc
	s_cbranch_execz .LBB4_3930
; %bb.3923:                             ;   in Loop: Header=BB4_3496 Depth=3
	v_bfe_u32 v6, v4, 23, 8
	v_cmp_gt_u32_e64 s[28:29], s83, v6
	v_sub_u32_e32 v2, 0x79, v6
	v_and_b32_e32 v0, 0x7fffff, v4
	v_cmp_eq_u32_e32 vcc, 0, v6
	v_cndmask_b32_e64 v2, 0, v2, s[28:29]
	v_mov_b32_e32 v5, 0x78
	v_or_b32_e32 v4, 0x800000, v0
	v_cndmask_b32_e32 v7, v2, v5, vcc
	v_cndmask_b32_e32 v2, v4, v0, vcc
	v_add_u32_e32 v0, 20, v7
	v_lshlrev_b64 v[4:5], v0, -1
	v_add_u32_e32 v0, 19, v7
	v_lshlrev_b64 v[16:17], v0, 1
	v_bfi_b32 v5, v5, 0, 0
	v_bfi_b32 v4, v4, 0, v2
	v_cmp_eq_u64_e64 s[28:29], v[4:5], v[16:17]
	v_lshrrev_b64 v[16:17], v7, v[2:3]
	v_mov_b32_e32 v4, v16
	v_mov_b32_e32 v5, v17
	s_and_saveexec_b64 s[50:51], s[28:29]
; %bb.3924:                             ;   in Loop: Header=BB4_3496 Depth=3
	v_bfe_u32 v0, v16, 20, 1
	v_add_co_u32_e64 v0, s[28:29], v16, v0
	v_add_co_u32_e64 v4, s[28:29], -1, v0
; %bb.3925:                             ;   in Loop: Header=BB4_3496 Depth=3
	s_or_b64 exec, exec, s[50:51]
	v_add_u32_e32 v0, 0xffffff81, v6
	v_mov_b32_e32 v2, 0xffffff82
	v_cndmask_b32_e32 v0, v0, v2, vcc
	v_lshrrev_b32_e32 v2, 23, v16
	v_add3_u32 v5, v7, v0, v2
	v_add_u32_e32 v0, 6, v5
	v_and_b32_e32 v2, 0xfffff, v4
	v_add_u32_e32 v2, v2, v16
	v_cmp_ne_u32_e32 vcc, 0, v0
                                        ; implicit-def: $vgpr16_vgpr17
                                        ; implicit-def: $vgpr4
	s_and_saveexec_b64 s[28:29], vcc
	s_xor_b64 s[28:29], exec, s[28:29]
; %bb.3926:                             ;   in Loop: Header=BB4_3496 Depth=3
	v_cmp_lt_u64_e32 vcc, s[88:89], v[2:3]
	v_add_u32_e32 v4, 7, v5
	v_cndmask_b32_e32 v4, v0, v4, vcc
	v_cndmask_b32_e64 v0, 0, 1, vcc
	v_lshrrev_b64 v[16:17], v0, v[2:3]
; %bb.3927:                             ;   in Loop: Header=BB4_3496 Depth=3
	s_andn2_saveexec_b64 s[28:29], s[28:29]
; %bb.3928:                             ;   in Loop: Header=BB4_3496 Depth=3
	v_mov_b32_e32 v17, v3
	v_bfe_u32 v4, v2, 23, 1
	v_mov_b32_e32 v16, v2
; %bb.3929:                             ;   in Loop: Header=BB4_3496 Depth=3
	s_or_b64 exec, exec, s[28:29]
	v_lshrrev_b64 v[5:6], 20, v[16:17]
	v_cmp_gt_i32_e32 vcc, 16, v4
	v_cndmask_b32_e32 v6, 0, v6, vcc
	v_cndmask_b32_e32 v5, 7, v5, vcc
	v_min_i32_e32 v0, 15, v4
	v_cmp_eq_u64_e64 s[28:29], 0, v[5:6]
	v_lshlrev_b32_e32 v0, 3, v0
	v_cmp_eq_u32_e32 vcc, 0, v4
	v_and_b32_e32 v0, 0xf8, v0
	v_and_or_b32 v0, v5, 7, v0
	s_and_b64 s[28:29], vcc, s[28:29]
	v_cndmask_b32_e64 v0, v0, 0, s[28:29]
	v_or_b32_e32 v34, v0, v1
.LBB4_3930:                             ;   in Loop: Header=BB4_3496 Depth=3
	s_or_b64 exec, exec, s[48:49]
                                        ; implicit-def: $vgpr1
.LBB4_3931:                             ;   in Loop: Header=BB4_3496 Depth=3
	s_andn2_saveexec_b64 s[28:29], s[38:39]
; %bb.3932:                             ;   in Loop: Header=BB4_3496 Depth=3
	v_or_b32_e32 v34, 0x7e, v1
; %bb.3933:                             ;   in Loop: Header=BB4_3496 Depth=3
	s_or_b64 exec, exec, s[28:29]
                                        ; implicit-def: $vgpr4
.LBB4_3934:                             ;   in Loop: Header=BB4_3496 Depth=3
	s_andn2_saveexec_b64 s[28:29], s[40:41]
; %bb.3935:                             ;   in Loop: Header=BB4_3496 Depth=3
	v_or_b32_sdwa v34, v4, s81 dst_sel:DWORD dst_unused:UNUSED_PAD src0_sel:BYTE_3 src1_sel:DWORD
; %bb.3936:                             ;   in Loop: Header=BB4_3496 Depth=3
	s_or_b64 exec, exec, s[28:29]
	v_lshrrev_b32_e32 v16, 16, v22
	v_lshrrev_b32_e32 v2, 16, v18
	v_cmp_ne_u16_sdwa s[28:29], v16, v3 src0_sel:BYTE_0 src1_sel:DWORD
	s_mov_b64 s[40:41], -1
	s_and_b64 vcc, exec, s[46:47]
                                        ; implicit-def: $vgpr4
	s_cbranch_vccz .LBB4_3950
; %bb.3937:                             ;   in Loop: Header=BB4_3496 Depth=3
	v_mov_b32_e32 v4, 0
	v_mov_b32_e32 v1, 0
	s_and_saveexec_b64 s[40:41], s[28:29]
	s_cbranch_execz .LBB4_3943
; %bb.3938:                             ;   in Loop: Header=BB4_3496 Depth=3
	v_cmp_ne_u16_sdwa vcc, v16, s80 src0_sel:BYTE_0 src1_sel:DWORD
	v_bfrev_b32_e32 v1, 1
	s_and_saveexec_b64 s[38:39], vcc
	s_cbranch_execz .LBB4_3942
; %bb.3939:                             ;   in Loop: Header=BB4_3496 Depth=3
	v_bfe_u32 v0, v22, 16, 7
	v_cmp_ne_u32_e32 vcc, s81, v0
	v_mov_b32_e32 v1, 0x7f800001
	s_and_saveexec_b64 s[48:49], vcc
	s_cbranch_execz .LBB4_3941
; %bb.3940:                             ;   in Loop: Header=BB4_3496 Depth=3
	v_and_b32_e32 v5, 7, v16
	v_lshrrev_b32_e32 v6, 3, v0
	v_cmp_gt_u32_e32 vcc, 8, v0
	v_ffbh_u32_e32 v0, v5
	v_min_u32_e32 v7, 32, v0
	v_subrev_u32_e32 v0, 28, v7
	v_lshlrev_b64 v[0:1], v0, v[16:17]
	v_sub_u32_e32 v1, 29, v7
	v_and_b32_e32 v0, 7, v0
	v_cndmask_b32_e32 v1, v6, v1, vcc
	v_cndmask_b32_e32 v0, v5, v0, vcc
	v_lshlrev_b32_e32 v5, 24, v16
	v_lshlrev_b32_e32 v0, 20, v0
	v_and_b32_e32 v5, 0x80000000, v5
	v_lshl_add_u32 v1, v1, 23, v54
	v_or3_b32 v1, v5, v1, v0
.LBB4_3941:                             ;   in Loop: Header=BB4_3496 Depth=3
	s_or_b64 exec, exec, s[48:49]
.LBB4_3942:                             ;   in Loop: Header=BB4_3496 Depth=3
	s_or_b64 exec, exec, s[38:39]
.LBB4_3943:                             ;   in Loop: Header=BB4_3496 Depth=3
	s_or_b64 exec, exec, s[40:41]
	v_cmp_ne_u16_sdwa vcc, v2, v3 src0_sel:BYTE_0 src1_sel:DWORD
	s_and_saveexec_b64 s[40:41], vcc
	s_cbranch_execz .LBB4_3949
; %bb.3944:                             ;   in Loop: Header=BB4_3496 Depth=3
	v_cmp_ne_u16_sdwa vcc, v2, s80 src0_sel:BYTE_0 src1_sel:DWORD
	v_bfrev_b32_e32 v4, 1
	s_and_saveexec_b64 s[38:39], vcc
	s_cbranch_execz .LBB4_3948
; %bb.3945:                             ;   in Loop: Header=BB4_3496 Depth=3
	v_bfe_u32 v0, v18, 16, 7
	v_cmp_ne_u32_e32 vcc, s81, v0
	v_mov_b32_e32 v4, 0x7f800001
	s_and_saveexec_b64 s[48:49], vcc
	s_cbranch_execz .LBB4_3947
; %bb.3946:                             ;   in Loop: Header=BB4_3496 Depth=3
	v_and_b32_e32 v6, 7, v2
	v_lshrrev_b32_e32 v7, 3, v0
	v_cmp_gt_u32_e32 vcc, 8, v0
	v_ffbh_u32_e32 v0, v6
	v_min_u32_e32 v0, 32, v0
	v_subrev_u32_e32 v4, 28, v0
	v_lshlrev_b64 v[4:5], v4, v[2:3]
	v_sub_u32_e32 v0, 29, v0
	v_and_b32_e32 v4, 7, v4
	v_cndmask_b32_e32 v0, v7, v0, vcc
	v_cndmask_b32_e32 v4, v6, v4, vcc
	v_lshlrev_b32_e32 v5, 24, v2
	v_lshlrev_b32_e32 v4, 20, v4
	v_and_b32_e32 v5, 0x80000000, v5
	v_lshl_add_u32 v0, v0, 23, v54
	v_or3_b32 v4, v5, v0, v4
.LBB4_3947:                             ;   in Loop: Header=BB4_3496 Depth=3
	s_or_b64 exec, exec, s[48:49]
.LBB4_3948:                             ;   in Loop: Header=BB4_3496 Depth=3
	s_or_b64 exec, exec, s[38:39]
.LBB4_3949:                             ;   in Loop: Header=BB4_3496 Depth=3
	s_or_b64 exec, exec, s[40:41]
	v_max_f32_e32 v0, v4, v4
	v_max_f32_e32 v1, v1, v1
	;; [unrolled: 1-line block ×3, first 2 shown]
	s_mov_b64 s[40:41], 0
.LBB4_3950:                             ;   in Loop: Header=BB4_3496 Depth=3
	s_and_b64 vcc, exec, s[40:41]
	s_cbranch_vccz .LBB4_3964
; %bb.3951:                             ;   in Loop: Header=BB4_3496 Depth=3
	v_mov_b32_e32 v4, 0
	v_mov_b32_e32 v1, 0
	s_and_saveexec_b64 s[40:41], s[28:29]
	s_cbranch_execz .LBB4_3957
; %bb.3952:                             ;   in Loop: Header=BB4_3496 Depth=3
	v_cmp_ne_u16_sdwa vcc, v16, s80 src0_sel:BYTE_0 src1_sel:DWORD
	v_bfrev_b32_e32 v1, 1
	s_and_saveexec_b64 s[28:29], vcc
	s_cbranch_execz .LBB4_3956
; %bb.3953:                             ;   in Loop: Header=BB4_3496 Depth=3
	v_bfe_u32 v0, v22, 16, 7
	v_cmp_ne_u32_e32 vcc, s81, v0
	v_mov_b32_e32 v1, 0x7f800001
	s_and_saveexec_b64 s[38:39], vcc
	s_cbranch_execz .LBB4_3955
; %bb.3954:                             ;   in Loop: Header=BB4_3496 Depth=3
	v_and_b32_e32 v5, 7, v16
	v_lshrrev_b32_e32 v6, 3, v0
	v_cmp_gt_u32_e32 vcc, 8, v0
	v_ffbh_u32_e32 v0, v5
	v_min_u32_e32 v7, 32, v0
	v_subrev_u32_e32 v0, 28, v7
	v_lshlrev_b64 v[0:1], v0, v[16:17]
	v_sub_u32_e32 v1, 29, v7
	v_and_b32_e32 v0, 7, v0
	v_cndmask_b32_e32 v1, v6, v1, vcc
	v_cndmask_b32_e32 v0, v5, v0, vcc
	v_lshlrev_b32_e32 v5, 24, v16
	v_lshlrev_b32_e32 v0, 20, v0
	v_and_b32_e32 v5, 0x80000000, v5
	v_lshl_add_u32 v1, v1, 23, v54
	v_or3_b32 v1, v5, v1, v0
.LBB4_3955:                             ;   in Loop: Header=BB4_3496 Depth=3
	s_or_b64 exec, exec, s[38:39]
.LBB4_3956:                             ;   in Loop: Header=BB4_3496 Depth=3
	s_or_b64 exec, exec, s[28:29]
.LBB4_3957:                             ;   in Loop: Header=BB4_3496 Depth=3
	s_or_b64 exec, exec, s[40:41]
	v_cmp_ne_u16_sdwa s[40:41], v2, v3 src0_sel:BYTE_0 src1_sel:DWORD
	s_and_saveexec_b64 s[28:29], s[40:41]
	s_cbranch_execz .LBB4_3963
; %bb.3958:                             ;   in Loop: Header=BB4_3496 Depth=3
	v_cmp_ne_u16_sdwa vcc, v2, s80 src0_sel:BYTE_0 src1_sel:DWORD
	v_bfrev_b32_e32 v4, 1
	s_and_saveexec_b64 s[40:41], vcc
	s_cbranch_execz .LBB4_3962
; %bb.3959:                             ;   in Loop: Header=BB4_3496 Depth=3
	v_bfe_u32 v0, v18, 16, 7
	v_cmp_ne_u32_e32 vcc, s81, v0
	v_mov_b32_e32 v4, 0x7f800001
	s_and_saveexec_b64 s[38:39], vcc
	s_cbranch_execz .LBB4_3961
; %bb.3960:                             ;   in Loop: Header=BB4_3496 Depth=3
	v_and_b32_e32 v6, 7, v2
	v_lshrrev_b32_e32 v7, 3, v0
	v_cmp_gt_u32_e32 vcc, 8, v0
	v_ffbh_u32_e32 v0, v6
	v_min_u32_e32 v0, 32, v0
	v_subrev_u32_e32 v4, 28, v0
	v_lshlrev_b64 v[4:5], v4, v[2:3]
	v_sub_u32_e32 v0, 29, v0
	v_and_b32_e32 v4, 7, v4
	v_cndmask_b32_e32 v0, v7, v0, vcc
	v_cndmask_b32_e32 v4, v6, v4, vcc
	v_lshlrev_b32_e32 v2, 24, v2
	v_lshlrev_b32_e32 v4, 20, v4
	v_and_b32_e32 v2, 0x80000000, v2
	v_lshl_add_u32 v0, v0, 23, v54
	v_or3_b32 v4, v2, v0, v4
.LBB4_3961:                             ;   in Loop: Header=BB4_3496 Depth=3
	s_or_b64 exec, exec, s[38:39]
.LBB4_3962:                             ;   in Loop: Header=BB4_3496 Depth=3
	s_or_b64 exec, exec, s[40:41]
.LBB4_3963:                             ;   in Loop: Header=BB4_3496 Depth=3
	s_or_b64 exec, exec, s[28:29]
	v_max_f32_e32 v0, v4, v4
	v_max_f32_e32 v1, v1, v1
	v_min_f32_e32 v4, v1, v0
.LBB4_3964:                             ;   in Loop: Header=BB4_3496 Depth=3
	v_and_b32_e32 v2, 0x7f800000, v4
	v_cmp_ne_u64_e32 vcc, s[76:77], v[2:3]
                                        ; implicit-def: $vgpr35
	s_and_saveexec_b64 s[28:29], vcc
	s_xor_b64 s[40:41], exec, s[28:29]
	s_cbranch_execz .LBB4_3978
; %bb.3965:                             ;   in Loop: Header=BB4_3496 Depth=3
	v_and_b32_e32 v2, 0x7fffffff, v4
	v_cmp_gt_u64_e32 vcc, s[78:79], v[2:3]
	v_and_b32_sdwa v1, v4, s80 dst_sel:DWORD dst_unused:UNUSED_PAD src0_sel:BYTE_3 src1_sel:DWORD
                                        ; implicit-def: $vgpr35
	s_and_saveexec_b64 s[28:29], vcc
	s_xor_b64 s[38:39], exec, s[28:29]
	s_cbranch_execz .LBB4_3975
; %bb.3966:                             ;   in Loop: Header=BB4_3496 Depth=3
	v_mov_b32_e32 v35, 0
	v_cmp_ne_u32_e32 vcc, 0, v4
	s_and_saveexec_b64 s[48:49], vcc
	s_cbranch_execz .LBB4_3974
; %bb.3967:                             ;   in Loop: Header=BB4_3496 Depth=3
	v_bfe_u32 v6, v4, 23, 8
	v_cmp_gt_u32_e64 s[28:29], s83, v6
	v_sub_u32_e32 v2, 0x79, v6
	v_and_b32_e32 v0, 0x7fffff, v4
	v_cmp_eq_u32_e32 vcc, 0, v6
	v_cndmask_b32_e64 v2, 0, v2, s[28:29]
	v_mov_b32_e32 v5, 0x78
	v_or_b32_e32 v4, 0x800000, v0
	v_cndmask_b32_e32 v7, v2, v5, vcc
	v_cndmask_b32_e32 v2, v4, v0, vcc
	v_add_u32_e32 v0, 20, v7
	v_lshlrev_b64 v[4:5], v0, -1
	v_add_u32_e32 v0, 19, v7
	v_lshlrev_b64 v[16:17], v0, 1
	v_bfi_b32 v5, v5, 0, 0
	v_bfi_b32 v4, v4, 0, v2
	v_cmp_eq_u64_e64 s[28:29], v[4:5], v[16:17]
	v_lshrrev_b64 v[16:17], v7, v[2:3]
	v_mov_b32_e32 v4, v16
	v_mov_b32_e32 v5, v17
	s_and_saveexec_b64 s[50:51], s[28:29]
; %bb.3968:                             ;   in Loop: Header=BB4_3496 Depth=3
	v_bfe_u32 v0, v16, 20, 1
	v_add_co_u32_e64 v0, s[28:29], v16, v0
	v_add_co_u32_e64 v4, s[28:29], -1, v0
; %bb.3969:                             ;   in Loop: Header=BB4_3496 Depth=3
	s_or_b64 exec, exec, s[50:51]
	v_add_u32_e32 v0, 0xffffff81, v6
	v_mov_b32_e32 v2, 0xffffff82
	v_cndmask_b32_e32 v0, v0, v2, vcc
	v_lshrrev_b32_e32 v2, 23, v16
	v_add3_u32 v5, v7, v0, v2
	v_add_u32_e32 v0, 6, v5
	v_and_b32_e32 v2, 0xfffff, v4
	v_add_u32_e32 v2, v2, v16
	v_cmp_ne_u32_e32 vcc, 0, v0
                                        ; implicit-def: $vgpr16_vgpr17
                                        ; implicit-def: $vgpr4
	s_and_saveexec_b64 s[28:29], vcc
	s_xor_b64 s[28:29], exec, s[28:29]
; %bb.3970:                             ;   in Loop: Header=BB4_3496 Depth=3
	v_cmp_lt_u64_e32 vcc, s[88:89], v[2:3]
	v_add_u32_e32 v4, 7, v5
	v_cndmask_b32_e32 v4, v0, v4, vcc
	v_cndmask_b32_e64 v0, 0, 1, vcc
	v_lshrrev_b64 v[16:17], v0, v[2:3]
; %bb.3971:                             ;   in Loop: Header=BB4_3496 Depth=3
	s_andn2_saveexec_b64 s[28:29], s[28:29]
; %bb.3972:                             ;   in Loop: Header=BB4_3496 Depth=3
	v_mov_b32_e32 v17, v3
	v_bfe_u32 v4, v2, 23, 1
	v_mov_b32_e32 v16, v2
; %bb.3973:                             ;   in Loop: Header=BB4_3496 Depth=3
	s_or_b64 exec, exec, s[28:29]
	v_lshrrev_b64 v[5:6], 20, v[16:17]
	v_cmp_gt_i32_e32 vcc, 16, v4
	v_cndmask_b32_e32 v6, 0, v6, vcc
	v_cndmask_b32_e32 v5, 7, v5, vcc
	v_min_i32_e32 v0, 15, v4
	v_cmp_eq_u64_e64 s[28:29], 0, v[5:6]
	v_lshlrev_b32_e32 v0, 3, v0
	v_cmp_eq_u32_e32 vcc, 0, v4
	v_and_b32_e32 v0, 0xf8, v0
	v_and_or_b32 v0, v5, 7, v0
	s_and_b64 s[28:29], vcc, s[28:29]
	v_cndmask_b32_e64 v0, v0, 0, s[28:29]
	v_or_b32_e32 v35, v0, v1
.LBB4_3974:                             ;   in Loop: Header=BB4_3496 Depth=3
	s_or_b64 exec, exec, s[48:49]
                                        ; implicit-def: $vgpr1
.LBB4_3975:                             ;   in Loop: Header=BB4_3496 Depth=3
	s_andn2_saveexec_b64 s[28:29], s[38:39]
; %bb.3976:                             ;   in Loop: Header=BB4_3496 Depth=3
	v_or_b32_e32 v35, 0x7e, v1
; %bb.3977:                             ;   in Loop: Header=BB4_3496 Depth=3
	s_or_b64 exec, exec, s[28:29]
                                        ; implicit-def: $vgpr4
.LBB4_3978:                             ;   in Loop: Header=BB4_3496 Depth=3
	s_andn2_saveexec_b64 s[28:29], s[40:41]
; %bb.3979:                             ;   in Loop: Header=BB4_3496 Depth=3
	v_or_b32_sdwa v35, v4, s81 dst_sel:DWORD dst_unused:UNUSED_PAD src0_sel:BYTE_3 src1_sel:DWORD
; %bb.3980:                             ;   in Loop: Header=BB4_3496 Depth=3
	s_or_b64 exec, exec, s[28:29]
	v_lshrrev_b32_e32 v16, 24, v22
	v_lshrrev_b32_e32 v2, 24, v18
	v_cmp_lt_u32_e64 s[28:29], s63, v22
	s_mov_b64 s[40:41], -1
	s_and_b64 vcc, exec, s[46:47]
                                        ; implicit-def: $vgpr4
	s_cbranch_vccz .LBB4_3994
; %bb.3981:                             ;   in Loop: Header=BB4_3496 Depth=3
	v_mov_b32_e32 v4, 0
	v_mov_b32_e32 v1, 0
	s_and_saveexec_b64 s[40:41], s[28:29]
	s_cbranch_execz .LBB4_3987
; %bb.3982:                             ;   in Loop: Header=BB4_3496 Depth=3
	v_cmp_ne_u32_e32 vcc, s80, v16
	v_bfrev_b32_e32 v1, 1
	s_and_saveexec_b64 s[38:39], vcc
	s_cbranch_execz .LBB4_3986
; %bb.3983:                             ;   in Loop: Header=BB4_3496 Depth=3
	v_bfe_u32 v0, v22, 24, 7
	v_cmp_ne_u32_e32 vcc, s81, v0
	v_mov_b32_e32 v1, 0x7f800001
	s_and_saveexec_b64 s[48:49], vcc
	s_cbranch_execz .LBB4_3985
; %bb.3984:                             ;   in Loop: Header=BB4_3496 Depth=3
	v_and_b32_e32 v5, 7, v16
	v_lshrrev_b32_e32 v6, 3, v0
	v_cmp_gt_u32_e32 vcc, 8, v0
	v_ffbh_u32_e32 v0, v5
	v_min_u32_e32 v7, 32, v0
	v_subrev_u32_e32 v0, 28, v7
	v_lshlrev_b64 v[0:1], v0, v[16:17]
	v_sub_u32_e32 v1, 29, v7
	v_and_b32_e32 v0, 7, v0
	v_cndmask_b32_e32 v1, v6, v1, vcc
	v_cndmask_b32_e32 v0, v5, v0, vcc
	v_lshlrev_b32_e32 v5, 24, v16
	v_lshlrev_b32_e32 v0, 20, v0
	v_and_b32_e32 v5, 0x80000000, v5
	v_lshl_add_u32 v1, v1, 23, v54
	v_or3_b32 v1, v5, v1, v0
.LBB4_3985:                             ;   in Loop: Header=BB4_3496 Depth=3
	s_or_b64 exec, exec, s[48:49]
.LBB4_3986:                             ;   in Loop: Header=BB4_3496 Depth=3
	s_or_b64 exec, exec, s[38:39]
.LBB4_3987:                             ;   in Loop: Header=BB4_3496 Depth=3
	s_or_b64 exec, exec, s[40:41]
	v_cmp_lt_u32_e32 vcc, s63, v18
	s_and_saveexec_b64 s[40:41], vcc
	s_cbranch_execz .LBB4_3993
; %bb.3988:                             ;   in Loop: Header=BB4_3496 Depth=3
	v_cmp_ne_u32_e32 vcc, s80, v2
	v_bfrev_b32_e32 v4, 1
	s_and_saveexec_b64 s[38:39], vcc
	s_cbranch_execz .LBB4_3992
; %bb.3989:                             ;   in Loop: Header=BB4_3496 Depth=3
	v_bfe_u32 v0, v18, 24, 7
	v_cmp_ne_u32_e32 vcc, s81, v0
	v_mov_b32_e32 v4, 0x7f800001
	s_and_saveexec_b64 s[48:49], vcc
	s_cbranch_execz .LBB4_3991
; %bb.3990:                             ;   in Loop: Header=BB4_3496 Depth=3
	v_and_b32_e32 v6, 7, v2
	v_lshrrev_b32_e32 v7, 3, v0
	v_cmp_gt_u32_e32 vcc, 8, v0
	v_ffbh_u32_e32 v0, v6
	v_min_u32_e32 v0, 32, v0
	v_subrev_u32_e32 v4, 28, v0
	v_lshlrev_b64 v[4:5], v4, v[2:3]
	v_sub_u32_e32 v0, 29, v0
	v_and_b32_e32 v4, 7, v4
	v_cndmask_b32_e32 v0, v7, v0, vcc
	v_cndmask_b32_e32 v4, v6, v4, vcc
	v_lshlrev_b32_e32 v5, 24, v2
	v_lshlrev_b32_e32 v4, 20, v4
	v_and_b32_e32 v5, 0x80000000, v5
	v_lshl_add_u32 v0, v0, 23, v54
	v_or3_b32 v4, v5, v0, v4
.LBB4_3991:                             ;   in Loop: Header=BB4_3496 Depth=3
	s_or_b64 exec, exec, s[48:49]
.LBB4_3992:                             ;   in Loop: Header=BB4_3496 Depth=3
	s_or_b64 exec, exec, s[38:39]
.LBB4_3993:                             ;   in Loop: Header=BB4_3496 Depth=3
	s_or_b64 exec, exec, s[40:41]
	v_max_f32_e32 v0, v4, v4
	v_max_f32_e32 v1, v1, v1
	;; [unrolled: 1-line block ×3, first 2 shown]
	s_mov_b64 s[40:41], 0
.LBB4_3994:                             ;   in Loop: Header=BB4_3496 Depth=3
	s_and_b64 vcc, exec, s[40:41]
	s_cbranch_vccz .LBB4_4008
; %bb.3995:                             ;   in Loop: Header=BB4_3496 Depth=3
	v_mov_b32_e32 v4, 0
	v_mov_b32_e32 v1, 0
	s_and_saveexec_b64 s[40:41], s[28:29]
	s_cbranch_execz .LBB4_4001
; %bb.3996:                             ;   in Loop: Header=BB4_3496 Depth=3
	v_cmp_ne_u32_e32 vcc, s80, v16
	v_bfrev_b32_e32 v1, 1
	s_and_saveexec_b64 s[28:29], vcc
	s_cbranch_execz .LBB4_4000
; %bb.3997:                             ;   in Loop: Header=BB4_3496 Depth=3
	v_bfe_u32 v0, v22, 24, 7
	v_cmp_ne_u32_e32 vcc, s81, v0
	v_mov_b32_e32 v1, 0x7f800001
	s_and_saveexec_b64 s[38:39], vcc
	s_cbranch_execz .LBB4_3999
; %bb.3998:                             ;   in Loop: Header=BB4_3496 Depth=3
	v_and_b32_e32 v5, 7, v16
	v_lshrrev_b32_e32 v6, 3, v0
	v_cmp_gt_u32_e32 vcc, 8, v0
	v_ffbh_u32_e32 v0, v5
	v_min_u32_e32 v7, 32, v0
	v_subrev_u32_e32 v0, 28, v7
	v_lshlrev_b64 v[0:1], v0, v[16:17]
	v_sub_u32_e32 v1, 29, v7
	v_and_b32_e32 v0, 7, v0
	v_cndmask_b32_e32 v1, v6, v1, vcc
	v_cndmask_b32_e32 v0, v5, v0, vcc
	v_lshlrev_b32_e32 v5, 24, v16
	v_lshlrev_b32_e32 v0, 20, v0
	v_and_b32_e32 v5, 0x80000000, v5
	v_lshl_add_u32 v1, v1, 23, v54
	v_or3_b32 v1, v5, v1, v0
.LBB4_3999:                             ;   in Loop: Header=BB4_3496 Depth=3
	s_or_b64 exec, exec, s[38:39]
.LBB4_4000:                             ;   in Loop: Header=BB4_3496 Depth=3
	s_or_b64 exec, exec, s[28:29]
.LBB4_4001:                             ;   in Loop: Header=BB4_3496 Depth=3
	s_or_b64 exec, exec, s[40:41]
	v_cmp_lt_u32_e32 vcc, s63, v18
	s_and_saveexec_b64 s[28:29], vcc
	s_cbranch_execz .LBB4_4007
; %bb.4002:                             ;   in Loop: Header=BB4_3496 Depth=3
	v_cmp_ne_u32_e32 vcc, s80, v2
	v_bfrev_b32_e32 v4, 1
	s_and_saveexec_b64 s[40:41], vcc
	s_cbranch_execz .LBB4_4006
; %bb.4003:                             ;   in Loop: Header=BB4_3496 Depth=3
	v_bfe_u32 v0, v18, 24, 7
	v_cmp_ne_u32_e32 vcc, s81, v0
	v_mov_b32_e32 v4, 0x7f800001
	s_and_saveexec_b64 s[38:39], vcc
	s_cbranch_execz .LBB4_4005
; %bb.4004:                             ;   in Loop: Header=BB4_3496 Depth=3
	v_and_b32_e32 v6, 7, v2
	v_lshrrev_b32_e32 v7, 3, v0
	v_cmp_gt_u32_e32 vcc, 8, v0
	v_ffbh_u32_e32 v0, v6
	v_min_u32_e32 v0, 32, v0
	v_subrev_u32_e32 v4, 28, v0
	v_lshlrev_b64 v[4:5], v4, v[2:3]
	v_sub_u32_e32 v0, 29, v0
	v_and_b32_e32 v4, 7, v4
	v_cndmask_b32_e32 v0, v7, v0, vcc
	v_cndmask_b32_e32 v4, v6, v4, vcc
	v_lshlrev_b32_e32 v2, 24, v2
	v_lshlrev_b32_e32 v4, 20, v4
	v_and_b32_e32 v2, 0x80000000, v2
	v_lshl_add_u32 v0, v0, 23, v54
	v_or3_b32 v4, v2, v0, v4
.LBB4_4005:                             ;   in Loop: Header=BB4_3496 Depth=3
	s_or_b64 exec, exec, s[38:39]
.LBB4_4006:                             ;   in Loop: Header=BB4_3496 Depth=3
	s_or_b64 exec, exec, s[40:41]
.LBB4_4007:                             ;   in Loop: Header=BB4_3496 Depth=3
	s_or_b64 exec, exec, s[28:29]
	v_max_f32_e32 v0, v4, v4
	v_max_f32_e32 v1, v1, v1
	v_min_f32_e32 v4, v1, v0
.LBB4_4008:                             ;   in Loop: Header=BB4_3496 Depth=3
	v_and_b32_e32 v2, 0x7f800000, v4
	v_cmp_ne_u64_e32 vcc, s[76:77], v[2:3]
                                        ; implicit-def: $vgpr1
	s_and_saveexec_b64 s[28:29], vcc
	s_xor_b64 s[40:41], exec, s[28:29]
	s_cbranch_execz .LBB4_4022
; %bb.4009:                             ;   in Loop: Header=BB4_3496 Depth=3
	v_and_b32_e32 v2, 0x7fffffff, v4
	v_cmp_gt_u64_e32 vcc, s[78:79], v[2:3]
	v_and_b32_sdwa v6, v4, s80 dst_sel:DWORD dst_unused:UNUSED_PAD src0_sel:BYTE_3 src1_sel:DWORD
                                        ; implicit-def: $vgpr1
	s_and_saveexec_b64 s[28:29], vcc
	s_xor_b64 s[38:39], exec, s[28:29]
	s_cbranch_execz .LBB4_4019
; %bb.4010:                             ;   in Loop: Header=BB4_3496 Depth=3
	v_mov_b32_e32 v1, 0
	v_cmp_ne_u32_e32 vcc, 0, v4
	s_and_saveexec_b64 s[48:49], vcc
	s_cbranch_execz .LBB4_4018
; %bb.4011:                             ;   in Loop: Header=BB4_3496 Depth=3
	v_bfe_u32 v1, v4, 23, 8
	v_cmp_gt_u32_e64 s[28:29], s83, v1
	v_sub_u32_e32 v2, 0x79, v1
	v_and_b32_e32 v0, 0x7fffff, v4
	v_cmp_eq_u32_e32 vcc, 0, v1
	v_cndmask_b32_e64 v2, 0, v2, s[28:29]
	v_mov_b32_e32 v5, 0x78
	v_or_b32_e32 v4, 0x800000, v0
	v_cndmask_b32_e32 v7, v2, v5, vcc
	v_cndmask_b32_e32 v2, v4, v0, vcc
	v_add_u32_e32 v0, 20, v7
	v_lshlrev_b64 v[4:5], v0, -1
	v_add_u32_e32 v0, 19, v7
	v_lshlrev_b64 v[16:17], v0, 1
	v_bfi_b32 v5, v5, 0, 0
	v_bfi_b32 v4, v4, 0, v2
	v_cmp_eq_u64_e64 s[28:29], v[4:5], v[16:17]
	v_lshrrev_b64 v[16:17], v7, v[2:3]
	v_mov_b32_e32 v4, v16
	v_mov_b32_e32 v5, v17
	s_and_saveexec_b64 s[50:51], s[28:29]
; %bb.4012:                             ;   in Loop: Header=BB4_3496 Depth=3
	v_bfe_u32 v0, v16, 20, 1
	v_add_co_u32_e64 v0, s[28:29], v16, v0
	v_add_co_u32_e64 v4, s[28:29], -1, v0
; %bb.4013:                             ;   in Loop: Header=BB4_3496 Depth=3
	s_or_b64 exec, exec, s[50:51]
	v_add_u32_e32 v0, 0xffffff81, v1
	v_mov_b32_e32 v1, 0xffffff82
	v_cndmask_b32_e32 v0, v0, v1, vcc
	v_lshrrev_b32_e32 v1, 23, v16
	v_add3_u32 v5, v7, v0, v1
	v_add_u32_e32 v0, 6, v5
	v_and_b32_e32 v1, 0xfffff, v4
	v_add_u32_e32 v2, v1, v16
	v_cmp_ne_u32_e32 vcc, 0, v0
                                        ; implicit-def: $vgpr16_vgpr17
                                        ; implicit-def: $vgpr1
	s_and_saveexec_b64 s[28:29], vcc
	s_xor_b64 s[28:29], exec, s[28:29]
; %bb.4014:                             ;   in Loop: Header=BB4_3496 Depth=3
	v_cmp_lt_u64_e32 vcc, s[88:89], v[2:3]
	v_add_u32_e32 v1, 7, v5
	v_cndmask_b32_e32 v1, v0, v1, vcc
	v_cndmask_b32_e64 v0, 0, 1, vcc
	v_lshrrev_b64 v[16:17], v0, v[2:3]
; %bb.4015:                             ;   in Loop: Header=BB4_3496 Depth=3
	s_andn2_saveexec_b64 s[28:29], s[28:29]
; %bb.4016:                             ;   in Loop: Header=BB4_3496 Depth=3
	v_mov_b32_e32 v17, v3
	v_bfe_u32 v1, v2, 23, 1
	v_mov_b32_e32 v16, v2
; %bb.4017:                             ;   in Loop: Header=BB4_3496 Depth=3
	s_or_b64 exec, exec, s[28:29]
	v_lshrrev_b64 v[4:5], 20, v[16:17]
	v_cmp_gt_i32_e32 vcc, 16, v1
	v_cndmask_b32_e32 v5, 0, v5, vcc
	v_cndmask_b32_e32 v4, 7, v4, vcc
	v_min_i32_e32 v0, 15, v1
	v_cmp_eq_u64_e64 s[28:29], 0, v[4:5]
	v_lshlrev_b32_e32 v0, 3, v0
	v_cmp_eq_u32_e32 vcc, 0, v1
	v_and_b32_e32 v0, 0xf8, v0
	v_and_or_b32 v0, v4, 7, v0
	s_and_b64 s[28:29], vcc, s[28:29]
	v_cndmask_b32_e64 v0, v0, 0, s[28:29]
	v_or_b32_e32 v1, v0, v6
.LBB4_4018:                             ;   in Loop: Header=BB4_3496 Depth=3
	s_or_b64 exec, exec, s[48:49]
                                        ; implicit-def: $vgpr6
.LBB4_4019:                             ;   in Loop: Header=BB4_3496 Depth=3
	s_andn2_saveexec_b64 s[28:29], s[38:39]
; %bb.4020:                             ;   in Loop: Header=BB4_3496 Depth=3
	v_or_b32_e32 v1, 0x7e, v6
; %bb.4021:                             ;   in Loop: Header=BB4_3496 Depth=3
	s_or_b64 exec, exec, s[28:29]
                                        ; implicit-def: $vgpr4
.LBB4_4022:                             ;   in Loop: Header=BB4_3496 Depth=3
	s_andn2_saveexec_b64 s[28:29], s[40:41]
; %bb.4023:                             ;   in Loop: Header=BB4_3496 Depth=3
	v_or_b32_sdwa v1, v4, s81 dst_sel:DWORD dst_unused:UNUSED_PAD src0_sel:BYTE_3 src1_sel:DWORD
; %bb.4024:                             ;   in Loop: Header=BB4_3496 Depth=3
	s_or_b64 exec, exec, s[28:29]
	v_mov_b32_e32 v2, v23
	v_mov_b32_e32 v16, v19
	v_mov_b32_e32 v17, v3
	v_cmp_ne_u16_sdwa s[28:29], v23, v3 src0_sel:BYTE_0 src1_sel:DWORD
	s_mov_b64 s[40:41], -1
	s_and_b64 vcc, exec, s[46:47]
                                        ; implicit-def: $vgpr4
	s_cbranch_vccz .LBB4_4038
; %bb.4025:                             ;   in Loop: Header=BB4_3496 Depth=3
	v_mov_b32_e32 v5, 0
	v_mov_b32_e32 v4, 0
	s_and_saveexec_b64 s[40:41], s[28:29]
	s_cbranch_execz .LBB4_4031
; %bb.4026:                             ;   in Loop: Header=BB4_3496 Depth=3
	v_cmp_ne_u16_sdwa vcc, v23, s80 src0_sel:BYTE_0 src1_sel:DWORD
	v_bfrev_b32_e32 v4, 1
	s_and_saveexec_b64 s[38:39], vcc
	s_cbranch_execz .LBB4_4030
; %bb.4027:                             ;   in Loop: Header=BB4_3496 Depth=3
	v_and_b32_e32 v0, 0x7f, v23
	v_cmp_ne_u32_e32 vcc, s81, v0
	v_mov_b32_e32 v4, 0x7f800001
	s_and_saveexec_b64 s[48:49], vcc
	s_cbranch_execz .LBB4_4029
; %bb.4028:                             ;   in Loop: Header=BB4_3496 Depth=3
	v_and_b32_e32 v4, 7, v23
	v_lshrrev_b32_e32 v6, 3, v0
	v_cmp_gt_u32_e32 vcc, 8, v0
	v_ffbh_u32_e32 v0, v4
	v_min_u32_e32 v0, 32, v0
	v_subrev_u32_e32 v4, 28, v0
	v_sub_u32_e32 v0, 29, v0
	v_cndmask_b32_e32 v4, 0, v4, vcc
	v_cndmask_b32_e32 v0, v6, v0, vcc
	v_lshlrev_b64 v[6:7], v4, v[2:3]
	v_lshl_add_u32 v0, v0, 23, v54
	v_lshlrev_b32_e32 v4, 20, v6
	v_lshlrev_b32_e32 v6, 24, v2
	v_and_b32_e32 v4, 0x700000, v4
	v_and_b32_e32 v6, 0x80000000, v6
	v_or3_b32 v4, v6, v0, v4
.LBB4_4029:                             ;   in Loop: Header=BB4_3496 Depth=3
	s_or_b64 exec, exec, s[48:49]
.LBB4_4030:                             ;   in Loop: Header=BB4_3496 Depth=3
	s_or_b64 exec, exec, s[38:39]
.LBB4_4031:                             ;   in Loop: Header=BB4_3496 Depth=3
	s_or_b64 exec, exec, s[40:41]
	v_cmp_ne_u16_sdwa vcc, v19, v3 src0_sel:BYTE_0 src1_sel:DWORD
	s_and_saveexec_b64 s[40:41], vcc
	s_cbranch_execz .LBB4_4037
; %bb.4032:                             ;   in Loop: Header=BB4_3496 Depth=3
	v_cmp_ne_u16_sdwa vcc, v19, s80 src0_sel:BYTE_0 src1_sel:DWORD
	v_bfrev_b32_e32 v5, 1
	s_and_saveexec_b64 s[38:39], vcc
	s_cbranch_execz .LBB4_4036
; %bb.4033:                             ;   in Loop: Header=BB4_3496 Depth=3
	v_and_b32_e32 v0, 0x7f, v19
	v_cmp_ne_u32_e32 vcc, s81, v0
	v_mov_b32_e32 v5, 0x7f800001
	s_and_saveexec_b64 s[48:49], vcc
	s_cbranch_execz .LBB4_4035
; %bb.4034:                             ;   in Loop: Header=BB4_3496 Depth=3
	v_and_b32_e32 v5, 7, v19
	v_lshrrev_b32_e32 v6, 3, v0
	v_cmp_gt_u32_e32 vcc, 8, v0
	v_ffbh_u32_e32 v0, v5
	v_min_u32_e32 v0, 32, v0
	v_subrev_u32_e32 v5, 28, v0
	v_sub_u32_e32 v0, 29, v0
	v_cndmask_b32_e32 v5, 0, v5, vcc
	v_cndmask_b32_e32 v0, v6, v0, vcc
	v_lshlrev_b64 v[5:6], v5, v[16:17]
	v_lshlrev_b32_e32 v6, 24, v16
	v_lshlrev_b32_e32 v5, 20, v5
	v_and_b32_e32 v5, 0x700000, v5
	v_and_b32_e32 v6, 0x80000000, v6
	v_lshl_add_u32 v0, v0, 23, v54
	v_or3_b32 v5, v6, v0, v5
.LBB4_4035:                             ;   in Loop: Header=BB4_3496 Depth=3
	s_or_b64 exec, exec, s[48:49]
.LBB4_4036:                             ;   in Loop: Header=BB4_3496 Depth=3
	s_or_b64 exec, exec, s[38:39]
.LBB4_4037:                             ;   in Loop: Header=BB4_3496 Depth=3
	s_or_b64 exec, exec, s[40:41]
	v_max_f32_e32 v0, v5, v5
	v_max_f32_e32 v4, v4, v4
	;; [unrolled: 1-line block ×3, first 2 shown]
	s_mov_b64 s[40:41], 0
.LBB4_4038:                             ;   in Loop: Header=BB4_3496 Depth=3
	s_and_b64 vcc, exec, s[40:41]
	s_cbranch_vccz .LBB4_4052
; %bb.4039:                             ;   in Loop: Header=BB4_3496 Depth=3
	v_mov_b32_e32 v5, 0
	v_mov_b32_e32 v4, 0
	s_and_saveexec_b64 s[40:41], s[28:29]
	s_cbranch_execz .LBB4_4045
; %bb.4040:                             ;   in Loop: Header=BB4_3496 Depth=3
	v_cmp_ne_u16_sdwa vcc, v23, s80 src0_sel:BYTE_0 src1_sel:DWORD
	v_bfrev_b32_e32 v4, 1
	s_and_saveexec_b64 s[28:29], vcc
	s_cbranch_execz .LBB4_4044
; %bb.4041:                             ;   in Loop: Header=BB4_3496 Depth=3
	v_and_b32_e32 v0, 0x7f, v23
	v_cmp_ne_u32_e32 vcc, s81, v0
	v_mov_b32_e32 v4, 0x7f800001
	s_and_saveexec_b64 s[38:39], vcc
	s_cbranch_execz .LBB4_4043
; %bb.4042:                             ;   in Loop: Header=BB4_3496 Depth=3
	v_and_b32_e32 v4, 7, v23
	v_lshrrev_b32_e32 v6, 3, v0
	v_cmp_gt_u32_e32 vcc, 8, v0
	v_ffbh_u32_e32 v0, v4
	v_min_u32_e32 v0, 32, v0
	v_subrev_u32_e32 v4, 28, v0
	v_sub_u32_e32 v0, 29, v0
	v_cndmask_b32_e32 v4, 0, v4, vcc
	v_cndmask_b32_e32 v0, v6, v0, vcc
	v_lshlrev_b64 v[6:7], v4, v[2:3]
	v_lshl_add_u32 v0, v0, 23, v54
	v_lshlrev_b32_e32 v4, 20, v6
	v_lshlrev_b32_e32 v6, 24, v2
	v_and_b32_e32 v4, 0x700000, v4
	v_and_b32_e32 v6, 0x80000000, v6
	v_or3_b32 v4, v6, v0, v4
.LBB4_4043:                             ;   in Loop: Header=BB4_3496 Depth=3
	s_or_b64 exec, exec, s[38:39]
.LBB4_4044:                             ;   in Loop: Header=BB4_3496 Depth=3
	s_or_b64 exec, exec, s[28:29]
.LBB4_4045:                             ;   in Loop: Header=BB4_3496 Depth=3
	s_or_b64 exec, exec, s[40:41]
	v_cmp_ne_u16_sdwa s[40:41], v19, v3 src0_sel:BYTE_0 src1_sel:DWORD
	s_and_saveexec_b64 s[28:29], s[40:41]
	s_cbranch_execz .LBB4_4051
; %bb.4046:                             ;   in Loop: Header=BB4_3496 Depth=3
	v_cmp_ne_u16_sdwa vcc, v19, s80 src0_sel:BYTE_0 src1_sel:DWORD
	v_bfrev_b32_e32 v5, 1
	s_and_saveexec_b64 s[40:41], vcc
	s_cbranch_execz .LBB4_4050
; %bb.4047:                             ;   in Loop: Header=BB4_3496 Depth=3
	v_and_b32_e32 v0, 0x7f, v19
	v_cmp_ne_u32_e32 vcc, s81, v0
	v_mov_b32_e32 v5, 0x7f800001
	s_and_saveexec_b64 s[38:39], vcc
	s_cbranch_execz .LBB4_4049
; %bb.4048:                             ;   in Loop: Header=BB4_3496 Depth=3
	v_and_b32_e32 v5, 7, v19
	v_lshrrev_b32_e32 v6, 3, v0
	v_cmp_gt_u32_e32 vcc, 8, v0
	v_ffbh_u32_e32 v0, v5
	v_min_u32_e32 v0, 32, v0
	v_subrev_u32_e32 v5, 28, v0
	v_sub_u32_e32 v0, 29, v0
	v_cndmask_b32_e32 v5, 0, v5, vcc
	v_cndmask_b32_e32 v0, v6, v0, vcc
	v_lshlrev_b64 v[5:6], v5, v[16:17]
	v_lshlrev_b32_e32 v6, 24, v16
	v_lshlrev_b32_e32 v5, 20, v5
	v_and_b32_e32 v5, 0x700000, v5
	v_and_b32_e32 v6, 0x80000000, v6
	v_lshl_add_u32 v0, v0, 23, v54
	v_or3_b32 v5, v6, v0, v5
.LBB4_4049:                             ;   in Loop: Header=BB4_3496 Depth=3
	s_or_b64 exec, exec, s[38:39]
.LBB4_4050:                             ;   in Loop: Header=BB4_3496 Depth=3
	s_or_b64 exec, exec, s[40:41]
.LBB4_4051:                             ;   in Loop: Header=BB4_3496 Depth=3
	s_or_b64 exec, exec, s[28:29]
	v_max_f32_e32 v0, v5, v5
	v_max_f32_e32 v4, v4, v4
	v_min_f32_e32 v4, v4, v0
.LBB4_4052:                             ;   in Loop: Header=BB4_3496 Depth=3
	v_and_b32_e32 v5, 0x7f800000, v4
	v_mov_b32_e32 v6, v3
	v_cmp_ne_u64_e32 vcc, s[76:77], v[5:6]
                                        ; implicit-def: $vgpr21
	s_and_saveexec_b64 s[28:29], vcc
	s_xor_b64 s[40:41], exec, s[28:29]
	s_cbranch_execz .LBB4_4066
; %bb.4053:                             ;   in Loop: Header=BB4_3496 Depth=3
	v_and_b32_e32 v5, 0x7fffffff, v4
	v_mov_b32_e32 v6, v3
	v_cmp_gt_u64_e32 vcc, s[78:79], v[5:6]
	v_and_b32_sdwa v6, v4, s80 dst_sel:DWORD dst_unused:UNUSED_PAD src0_sel:BYTE_3 src1_sel:DWORD
                                        ; implicit-def: $vgpr21
	s_and_saveexec_b64 s[28:29], vcc
	s_xor_b64 s[38:39], exec, s[28:29]
	s_cbranch_execz .LBB4_4063
; %bb.4054:                             ;   in Loop: Header=BB4_3496 Depth=3
	v_mov_b32_e32 v21, 0
	v_cmp_ne_u32_e32 vcc, 0, v4
	s_and_saveexec_b64 s[48:49], vcc
	s_cbranch_execz .LBB4_4062
; %bb.4055:                             ;   in Loop: Header=BB4_3496 Depth=3
	v_bfe_u32 v7, v4, 23, 8
	v_and_b32_e32 v0, 0x7fffff, v4
	v_cmp_gt_u32_e64 s[28:29], s83, v7
	v_sub_u32_e32 v4, 0x79, v7
	v_cmp_eq_u32_e32 vcc, 0, v7
	v_cndmask_b32_e64 v4, 0, v4, s[28:29]
	v_mov_b32_e32 v17, 0x78
	v_or_b32_e32 v5, 0x800000, v0
	v_cndmask_b32_e32 v17, v4, v17, vcc
	v_cndmask_b32_e32 v4, v5, v0, vcc
	v_add_u32_e32 v0, 20, v17
	v_lshlrev_b64 v[20:21], v0, -1
	v_add_u32_e32 v0, 19, v17
	v_lshlrev_b64 v[36:37], v0, 1
	v_mov_b32_e32 v5, v3
	v_bfi_b32 v21, v21, 0, 0
	v_bfi_b32 v20, v20, 0, v4
	v_cmp_eq_u64_e64 s[28:29], v[20:21], v[36:37]
	v_lshrrev_b64 v[20:21], v17, v[4:5]
	v_mov_b32_e32 v4, v20
	v_mov_b32_e32 v5, v21
	s_and_saveexec_b64 s[50:51], s[28:29]
; %bb.4056:                             ;   in Loop: Header=BB4_3496 Depth=3
	v_bfe_u32 v0, v20, 20, 1
	v_add_co_u32_e64 v0, s[28:29], v20, v0
	v_add_co_u32_e64 v4, s[28:29], -1, v0
; %bb.4057:                             ;   in Loop: Header=BB4_3496 Depth=3
	s_or_b64 exec, exec, s[50:51]
	v_add_u32_e32 v0, 0xffffff81, v7
	v_mov_b32_e32 v5, 0xffffff82
	v_cndmask_b32_e32 v0, v0, v5, vcc
	v_lshrrev_b32_e32 v5, 23, v20
	v_add3_u32 v5, v17, v0, v5
	v_add_u32_e32 v0, 6, v5
	v_and_b32_e32 v4, 0xfffff, v4
	v_add_u32_e32 v20, v4, v20
	v_mov_b32_e32 v21, v3
	v_cmp_ne_u32_e32 vcc, 0, v0
                                        ; implicit-def: $vgpr4
	s_and_saveexec_b64 s[28:29], vcc
	s_xor_b64 s[28:29], exec, s[28:29]
; %bb.4058:                             ;   in Loop: Header=BB4_3496 Depth=3
	v_cmp_lt_u64_e32 vcc, s[88:89], v[20:21]
	v_add_u32_e32 v4, 7, v5
	v_cndmask_b32_e32 v4, v0, v4, vcc
	v_cndmask_b32_e64 v0, 0, 1, vcc
	v_lshrrev_b64 v[20:21], v0, v[20:21]
; %bb.4059:                             ;   in Loop: Header=BB4_3496 Depth=3
	s_andn2_saveexec_b64 s[28:29], s[28:29]
; %bb.4060:                             ;   in Loop: Header=BB4_3496 Depth=3
	v_bfe_u32 v4, v20, 23, 1
; %bb.4061:                             ;   in Loop: Header=BB4_3496 Depth=3
	s_or_b64 exec, exec, s[28:29]
	v_lshrrev_b64 v[20:21], 20, v[20:21]
	v_cmp_gt_i32_e32 vcc, 16, v4
	v_cndmask_b32_e32 v21, 0, v21, vcc
	v_cndmask_b32_e32 v20, 7, v20, vcc
	v_min_i32_e32 v0, 15, v4
	v_cmp_eq_u64_e64 s[28:29], 0, v[20:21]
	v_lshlrev_b32_e32 v0, 3, v0
	v_cmp_eq_u32_e32 vcc, 0, v4
	v_and_b32_e32 v0, 0xf8, v0
	v_and_or_b32 v0, v20, 7, v0
	s_and_b64 s[28:29], vcc, s[28:29]
	v_cndmask_b32_e64 v0, v0, 0, s[28:29]
	v_or_b32_e32 v21, v0, v6
.LBB4_4062:                             ;   in Loop: Header=BB4_3496 Depth=3
	s_or_b64 exec, exec, s[48:49]
                                        ; implicit-def: $vgpr6
.LBB4_4063:                             ;   in Loop: Header=BB4_3496 Depth=3
	s_andn2_saveexec_b64 s[28:29], s[38:39]
; %bb.4064:                             ;   in Loop: Header=BB4_3496 Depth=3
	v_or_b32_e32 v21, 0x7e, v6
; %bb.4065:                             ;   in Loop: Header=BB4_3496 Depth=3
	s_or_b64 exec, exec, s[28:29]
                                        ; implicit-def: $vgpr4
.LBB4_4066:                             ;   in Loop: Header=BB4_3496 Depth=3
	s_andn2_saveexec_b64 s[28:29], s[40:41]
; %bb.4067:                             ;   in Loop: Header=BB4_3496 Depth=3
	v_or_b32_sdwa v21, v4, s81 dst_sel:DWORD dst_unused:UNUSED_PAD src0_sel:BYTE_3 src1_sel:DWORD
; %bb.4068:                             ;   in Loop: Header=BB4_3496 Depth=3
	s_or_b64 exec, exec, s[28:29]
	v_lshrrev_b16_e32 v20, 8, v2
	v_lshrrev_b16_e32 v17, 8, v16
	v_cmp_ne_u16_e64 s[28:29], 0, v20
	s_mov_b64 s[40:41], -1
	s_and_b64 vcc, exec, s[46:47]
                                        ; implicit-def: $vgpr4
	s_cbranch_vccz .LBB4_4082
; %bb.4069:                             ;   in Loop: Header=BB4_3496 Depth=3
	v_mov_b32_e32 v5, 0
	v_mov_b32_e32 v4, 0
	s_and_saveexec_b64 s[40:41], s[28:29]
	s_cbranch_execz .LBB4_4075
; %bb.4070:                             ;   in Loop: Header=BB4_3496 Depth=3
	v_cmp_ne_u16_e32 vcc, s80, v20
	v_bfrev_b32_e32 v4, 1
	s_and_saveexec_b64 s[38:39], vcc
	s_cbranch_execz .LBB4_4074
; %bb.4071:                             ;   in Loop: Header=BB4_3496 Depth=3
	v_and_b32_e32 v0, 0x7f, v20
	v_cmp_ne_u32_e32 vcc, s81, v0
	v_mov_b32_e32 v4, 0x7f800001
	s_and_saveexec_b64 s[48:49], vcc
	s_cbranch_execz .LBB4_4073
; %bb.4072:                             ;   in Loop: Header=BB4_3496 Depth=3
	v_and_b32_e32 v4, 7, v20
	v_lshrrev_b32_e32 v36, 3, v0
	v_cmp_gt_u32_e32 vcc, 8, v0
	v_ffbh_u32_e32 v0, v4
	v_min_u32_e32 v0, 32, v0
	v_subrev_u32_e32 v6, 28, v0
	v_lshlrev_b64 v[6:7], v6, v[20:21]
	v_sub_u32_e32 v0, 29, v0
	v_and_b32_e32 v6, 7, v6
	v_cndmask_b32_e32 v0, v36, v0, vcc
	v_cndmask_b32_e32 v4, v4, v6, vcc
	v_lshlrev_b32_e32 v6, 16, v2
	v_lshlrev_b32_e32 v4, 20, v4
	v_and_b32_e32 v6, 0x80000000, v6
	v_lshl_add_u32 v0, v0, 23, v54
	v_or3_b32 v4, v6, v0, v4
.LBB4_4073:                             ;   in Loop: Header=BB4_3496 Depth=3
	s_or_b64 exec, exec, s[48:49]
.LBB4_4074:                             ;   in Loop: Header=BB4_3496 Depth=3
	s_or_b64 exec, exec, s[38:39]
.LBB4_4075:                             ;   in Loop: Header=BB4_3496 Depth=3
	s_or_b64 exec, exec, s[40:41]
	v_cmp_ne_u16_e32 vcc, 0, v17
	s_and_saveexec_b64 s[40:41], vcc
	s_cbranch_execz .LBB4_4081
; %bb.4076:                             ;   in Loop: Header=BB4_3496 Depth=3
	v_cmp_ne_u16_e32 vcc, s80, v17
	v_bfrev_b32_e32 v5, 1
	s_and_saveexec_b64 s[38:39], vcc
	s_cbranch_execz .LBB4_4080
; %bb.4077:                             ;   in Loop: Header=BB4_3496 Depth=3
	v_and_b32_e32 v0, 0x7f, v17
	v_cmp_ne_u32_e32 vcc, s81, v0
	v_mov_b32_e32 v5, 0x7f800001
	s_and_saveexec_b64 s[48:49], vcc
	s_cbranch_execz .LBB4_4079
; %bb.4078:                             ;   in Loop: Header=BB4_3496 Depth=3
	v_and_b32_e32 v7, 7, v17
	v_lshrrev_b32_e32 v36, 3, v0
	v_cmp_gt_u32_e32 vcc, 8, v0
	v_ffbh_u32_e32 v0, v7
	v_min_u32_e32 v0, 32, v0
	v_subrev_u32_e32 v5, 28, v0
	v_lshlrev_b64 v[5:6], v5, v[17:18]
	v_sub_u32_e32 v0, 29, v0
	v_and_b32_e32 v5, 7, v5
	v_cndmask_b32_e32 v0, v36, v0, vcc
	v_cndmask_b32_e32 v5, v7, v5, vcc
	v_lshlrev_b32_e32 v6, 16, v16
	v_lshlrev_b32_e32 v5, 20, v5
	v_and_b32_e32 v6, 0x80000000, v6
	v_lshl_add_u32 v0, v0, 23, v54
	v_or3_b32 v5, v6, v0, v5
.LBB4_4079:                             ;   in Loop: Header=BB4_3496 Depth=3
	s_or_b64 exec, exec, s[48:49]
.LBB4_4080:                             ;   in Loop: Header=BB4_3496 Depth=3
	s_or_b64 exec, exec, s[38:39]
.LBB4_4081:                             ;   in Loop: Header=BB4_3496 Depth=3
	s_or_b64 exec, exec, s[40:41]
	v_max_f32_e32 v0, v5, v5
	v_max_f32_e32 v4, v4, v4
	v_max_f32_e32 v4, v4, v0
	s_mov_b64 s[40:41], 0
.LBB4_4082:                             ;   in Loop: Header=BB4_3496 Depth=3
	s_and_b64 vcc, exec, s[40:41]
	s_cbranch_vccz .LBB4_4096
; %bb.4083:                             ;   in Loop: Header=BB4_3496 Depth=3
	v_mov_b32_e32 v5, 0
	v_mov_b32_e32 v4, 0
	s_and_saveexec_b64 s[40:41], s[28:29]
	s_cbranch_execz .LBB4_4089
; %bb.4084:                             ;   in Loop: Header=BB4_3496 Depth=3
	v_cmp_ne_u16_e32 vcc, s80, v20
	v_bfrev_b32_e32 v4, 1
	s_and_saveexec_b64 s[28:29], vcc
	s_cbranch_execz .LBB4_4088
; %bb.4085:                             ;   in Loop: Header=BB4_3496 Depth=3
	v_and_b32_e32 v0, 0x7f, v20
	v_cmp_ne_u32_e32 vcc, s81, v0
	v_mov_b32_e32 v4, 0x7f800001
	s_and_saveexec_b64 s[38:39], vcc
	s_cbranch_execz .LBB4_4087
; %bb.4086:                             ;   in Loop: Header=BB4_3496 Depth=3
	v_and_b32_e32 v4, 7, v20
	v_lshrrev_b32_e32 v36, 3, v0
	v_cmp_gt_u32_e32 vcc, 8, v0
	v_ffbh_u32_e32 v0, v4
	v_min_u32_e32 v0, 32, v0
	v_subrev_u32_e32 v6, 28, v0
	v_lshlrev_b64 v[6:7], v6, v[20:21]
	v_sub_u32_e32 v0, 29, v0
	v_and_b32_e32 v6, 7, v6
	v_cndmask_b32_e32 v0, v36, v0, vcc
	v_cndmask_b32_e32 v4, v4, v6, vcc
	v_lshlrev_b32_e32 v2, 16, v2
	v_lshlrev_b32_e32 v4, 20, v4
	v_and_b32_e32 v2, 0x80000000, v2
	v_lshl_add_u32 v0, v0, 23, v54
	v_or3_b32 v4, v2, v0, v4
.LBB4_4087:                             ;   in Loop: Header=BB4_3496 Depth=3
	s_or_b64 exec, exec, s[38:39]
.LBB4_4088:                             ;   in Loop: Header=BB4_3496 Depth=3
	s_or_b64 exec, exec, s[28:29]
.LBB4_4089:                             ;   in Loop: Header=BB4_3496 Depth=3
	s_or_b64 exec, exec, s[40:41]
	v_cmp_ne_u16_e32 vcc, 0, v17
	s_and_saveexec_b64 s[28:29], vcc
	s_cbranch_execz .LBB4_4095
; %bb.4090:                             ;   in Loop: Header=BB4_3496 Depth=3
	v_cmp_ne_u16_e32 vcc, s80, v17
	v_bfrev_b32_e32 v5, 1
	s_and_saveexec_b64 s[40:41], vcc
	s_cbranch_execz .LBB4_4094
; %bb.4091:                             ;   in Loop: Header=BB4_3496 Depth=3
	v_and_b32_e32 v0, 0x7f, v17
	v_cmp_ne_u32_e32 vcc, s81, v0
	v_mov_b32_e32 v5, 0x7f800001
	s_and_saveexec_b64 s[38:39], vcc
	s_cbranch_execz .LBB4_4093
; %bb.4092:                             ;   in Loop: Header=BB4_3496 Depth=3
	v_and_b32_e32 v2, 7, v17
	v_lshrrev_b32_e32 v7, 3, v0
	v_cmp_gt_u32_e32 vcc, 8, v0
	v_ffbh_u32_e32 v0, v2
	v_min_u32_e32 v0, 32, v0
	v_subrev_u32_e32 v5, 28, v0
	v_lshlrev_b64 v[5:6], v5, v[17:18]
	v_sub_u32_e32 v0, 29, v0
	v_and_b32_e32 v5, 7, v5
	v_cndmask_b32_e32 v0, v7, v0, vcc
	v_cndmask_b32_e32 v2, v2, v5, vcc
	v_lshlrev_b32_e32 v5, 16, v16
	v_lshlrev_b32_e32 v2, 20, v2
	v_and_b32_e32 v5, 0x80000000, v5
	v_lshl_add_u32 v0, v0, 23, v54
	v_or3_b32 v5, v5, v0, v2
.LBB4_4093:                             ;   in Loop: Header=BB4_3496 Depth=3
	s_or_b64 exec, exec, s[38:39]
.LBB4_4094:                             ;   in Loop: Header=BB4_3496 Depth=3
	s_or_b64 exec, exec, s[40:41]
.LBB4_4095:                             ;   in Loop: Header=BB4_3496 Depth=3
	s_or_b64 exec, exec, s[28:29]
	v_max_f32_e32 v0, v5, v5
	v_max_f32_e32 v2, v4, v4
	v_min_f32_e32 v4, v2, v0
.LBB4_4096:                             ;   in Loop: Header=BB4_3496 Depth=3
	v_and_b32_e32 v2, 0x7f800000, v4
	v_cmp_ne_u64_e32 vcc, s[76:77], v[2:3]
                                        ; implicit-def: $vgpr20
	s_and_saveexec_b64 s[28:29], vcc
	s_xor_b64 s[40:41], exec, s[28:29]
	s_cbranch_execz .LBB4_4110
; %bb.4097:                             ;   in Loop: Header=BB4_3496 Depth=3
	v_and_b32_e32 v2, 0x7fffffff, v4
	v_cmp_gt_u64_e32 vcc, s[78:79], v[2:3]
	v_and_b32_sdwa v6, v4, s80 dst_sel:DWORD dst_unused:UNUSED_PAD src0_sel:BYTE_3 src1_sel:DWORD
                                        ; implicit-def: $vgpr20
	s_and_saveexec_b64 s[28:29], vcc
	s_xor_b64 s[38:39], exec, s[28:29]
	s_cbranch_execz .LBB4_4107
; %bb.4098:                             ;   in Loop: Header=BB4_3496 Depth=3
	v_mov_b32_e32 v20, 0
	v_cmp_ne_u32_e32 vcc, 0, v4
	s_and_saveexec_b64 s[48:49], vcc
	s_cbranch_execz .LBB4_4106
; %bb.4099:                             ;   in Loop: Header=BB4_3496 Depth=3
	v_bfe_u32 v7, v4, 23, 8
	v_cmp_gt_u32_e64 s[28:29], s83, v7
	v_sub_u32_e32 v2, 0x79, v7
	v_and_b32_e32 v0, 0x7fffff, v4
	v_cmp_eq_u32_e32 vcc, 0, v7
	v_cndmask_b32_e64 v2, 0, v2, s[28:29]
	v_mov_b32_e32 v5, 0x78
	v_or_b32_e32 v4, 0x800000, v0
	v_cndmask_b32_e32 v20, v2, v5, vcc
	v_cndmask_b32_e32 v2, v4, v0, vcc
	v_add_u32_e32 v0, 20, v20
	v_lshlrev_b64 v[4:5], v0, -1
	v_add_u32_e32 v0, 19, v20
	v_lshlrev_b64 v[16:17], v0, 1
	v_bfi_b32 v5, v5, 0, 0
	v_bfi_b32 v4, v4, 0, v2
	v_cmp_eq_u64_e64 s[28:29], v[4:5], v[16:17]
	v_lshrrev_b64 v[16:17], v20, v[2:3]
	v_mov_b32_e32 v4, v16
	v_mov_b32_e32 v5, v17
	s_and_saveexec_b64 s[50:51], s[28:29]
; %bb.4100:                             ;   in Loop: Header=BB4_3496 Depth=3
	v_bfe_u32 v0, v16, 20, 1
	v_add_co_u32_e64 v0, s[28:29], v16, v0
	v_add_co_u32_e64 v4, s[28:29], -1, v0
; %bb.4101:                             ;   in Loop: Header=BB4_3496 Depth=3
	s_or_b64 exec, exec, s[50:51]
	v_add_u32_e32 v0, 0xffffff81, v7
	v_mov_b32_e32 v2, 0xffffff82
	v_cndmask_b32_e32 v0, v0, v2, vcc
	v_lshrrev_b32_e32 v2, 23, v16
	v_add3_u32 v5, v20, v0, v2
	v_add_u32_e32 v0, 6, v5
	v_and_b32_e32 v2, 0xfffff, v4
	v_add_u32_e32 v2, v2, v16
	v_cmp_ne_u32_e32 vcc, 0, v0
                                        ; implicit-def: $vgpr16_vgpr17
                                        ; implicit-def: $vgpr4
	s_and_saveexec_b64 s[28:29], vcc
	s_xor_b64 s[28:29], exec, s[28:29]
; %bb.4102:                             ;   in Loop: Header=BB4_3496 Depth=3
	v_cmp_lt_u64_e32 vcc, s[88:89], v[2:3]
	v_add_u32_e32 v4, 7, v5
	v_cndmask_b32_e32 v4, v0, v4, vcc
	v_cndmask_b32_e64 v0, 0, 1, vcc
	v_lshrrev_b64 v[16:17], v0, v[2:3]
; %bb.4103:                             ;   in Loop: Header=BB4_3496 Depth=3
	s_andn2_saveexec_b64 s[28:29], s[28:29]
; %bb.4104:                             ;   in Loop: Header=BB4_3496 Depth=3
	v_mov_b32_e32 v17, v3
	v_bfe_u32 v4, v2, 23, 1
	v_mov_b32_e32 v16, v2
; %bb.4105:                             ;   in Loop: Header=BB4_3496 Depth=3
	s_or_b64 exec, exec, s[28:29]
	v_lshrrev_b64 v[16:17], 20, v[16:17]
	v_cmp_gt_i32_e32 vcc, 16, v4
	v_cndmask_b32_e32 v17, 0, v17, vcc
	v_cndmask_b32_e32 v16, 7, v16, vcc
	v_min_i32_e32 v0, 15, v4
	v_cmp_eq_u64_e64 s[28:29], 0, v[16:17]
	v_lshlrev_b32_e32 v0, 3, v0
	v_cmp_eq_u32_e32 vcc, 0, v4
	v_and_b32_e32 v0, 0xf8, v0
	v_and_or_b32 v0, v16, 7, v0
	s_and_b64 s[28:29], vcc, s[28:29]
	v_cndmask_b32_e64 v0, v0, 0, s[28:29]
	v_or_b32_e32 v20, v0, v6
.LBB4_4106:                             ;   in Loop: Header=BB4_3496 Depth=3
	s_or_b64 exec, exec, s[48:49]
                                        ; implicit-def: $vgpr6
.LBB4_4107:                             ;   in Loop: Header=BB4_3496 Depth=3
	s_andn2_saveexec_b64 s[28:29], s[38:39]
; %bb.4108:                             ;   in Loop: Header=BB4_3496 Depth=3
	v_or_b32_e32 v20, 0x7e, v6
; %bb.4109:                             ;   in Loop: Header=BB4_3496 Depth=3
	s_or_b64 exec, exec, s[28:29]
                                        ; implicit-def: $vgpr4
.LBB4_4110:                             ;   in Loop: Header=BB4_3496 Depth=3
	s_andn2_saveexec_b64 s[28:29], s[40:41]
; %bb.4111:                             ;   in Loop: Header=BB4_3496 Depth=3
	v_or_b32_sdwa v20, v4, s81 dst_sel:DWORD dst_unused:UNUSED_PAD src0_sel:BYTE_3 src1_sel:DWORD
; %bb.4112:                             ;   in Loop: Header=BB4_3496 Depth=3
	s_or_b64 exec, exec, s[28:29]
	v_lshrrev_b32_e32 v16, 16, v23
	v_lshrrev_b32_e32 v2, 16, v19
	v_cmp_ne_u16_sdwa s[28:29], v16, v3 src0_sel:BYTE_0 src1_sel:DWORD
	s_mov_b64 s[40:41], -1
	s_and_b64 vcc, exec, s[46:47]
                                        ; implicit-def: $vgpr4
	s_cbranch_vccz .LBB4_4126
; %bb.4113:                             ;   in Loop: Header=BB4_3496 Depth=3
	v_mov_b32_e32 v5, 0
	v_mov_b32_e32 v4, 0
	s_and_saveexec_b64 s[40:41], s[28:29]
	s_cbranch_execz .LBB4_4119
; %bb.4114:                             ;   in Loop: Header=BB4_3496 Depth=3
	v_cmp_ne_u16_sdwa vcc, v16, s80 src0_sel:BYTE_0 src1_sel:DWORD
	v_bfrev_b32_e32 v4, 1
	s_and_saveexec_b64 s[38:39], vcc
	s_cbranch_execz .LBB4_4118
; %bb.4115:                             ;   in Loop: Header=BB4_3496 Depth=3
	v_bfe_u32 v0, v23, 16, 7
	v_cmp_ne_u32_e32 vcc, s81, v0
	v_mov_b32_e32 v4, 0x7f800001
	s_and_saveexec_b64 s[48:49], vcc
	s_cbranch_execz .LBB4_4117
; %bb.4116:                             ;   in Loop: Header=BB4_3496 Depth=3
	v_and_b32_e32 v4, 7, v16
	v_lshrrev_b32_e32 v17, 3, v0
	v_cmp_gt_u32_e32 vcc, 8, v0
	v_ffbh_u32_e32 v0, v4
	v_min_u32_e32 v0, 32, v0
	v_subrev_u32_e32 v6, 28, v0
	v_lshlrev_b64 v[6:7], v6, v[16:17]
	v_sub_u32_e32 v0, 29, v0
	v_and_b32_e32 v6, 7, v6
	v_cndmask_b32_e32 v0, v17, v0, vcc
	v_cndmask_b32_e32 v4, v4, v6, vcc
	v_lshlrev_b32_e32 v6, 24, v16
	v_lshlrev_b32_e32 v4, 20, v4
	v_and_b32_e32 v6, 0x80000000, v6
	v_lshl_add_u32 v0, v0, 23, v54
	v_or3_b32 v4, v6, v0, v4
.LBB4_4117:                             ;   in Loop: Header=BB4_3496 Depth=3
	s_or_b64 exec, exec, s[48:49]
.LBB4_4118:                             ;   in Loop: Header=BB4_3496 Depth=3
	s_or_b64 exec, exec, s[38:39]
.LBB4_4119:                             ;   in Loop: Header=BB4_3496 Depth=3
	s_or_b64 exec, exec, s[40:41]
	v_cmp_ne_u16_sdwa vcc, v2, v3 src0_sel:BYTE_0 src1_sel:DWORD
	s_and_saveexec_b64 s[40:41], vcc
	s_cbranch_execz .LBB4_4125
; %bb.4120:                             ;   in Loop: Header=BB4_3496 Depth=3
	v_cmp_ne_u16_sdwa vcc, v2, s80 src0_sel:BYTE_0 src1_sel:DWORD
	v_bfrev_b32_e32 v5, 1
	s_and_saveexec_b64 s[38:39], vcc
	s_cbranch_execz .LBB4_4124
; %bb.4121:                             ;   in Loop: Header=BB4_3496 Depth=3
	v_bfe_u32 v0, v19, 16, 7
	v_cmp_ne_u32_e32 vcc, s81, v0
	v_mov_b32_e32 v5, 0x7f800001
	s_and_saveexec_b64 s[48:49], vcc
	s_cbranch_execz .LBB4_4123
; %bb.4122:                             ;   in Loop: Header=BB4_3496 Depth=3
	v_and_b32_e32 v7, 7, v2
	v_lshrrev_b32_e32 v17, 3, v0
	v_cmp_gt_u32_e32 vcc, 8, v0
	v_ffbh_u32_e32 v0, v7
	v_min_u32_e32 v0, 32, v0
	v_subrev_u32_e32 v5, 28, v0
	v_lshlrev_b64 v[5:6], v5, v[2:3]
	v_sub_u32_e32 v0, 29, v0
	v_and_b32_e32 v5, 7, v5
	v_cndmask_b32_e32 v0, v17, v0, vcc
	v_cndmask_b32_e32 v5, v7, v5, vcc
	v_lshlrev_b32_e32 v6, 24, v2
	v_lshlrev_b32_e32 v5, 20, v5
	v_and_b32_e32 v6, 0x80000000, v6
	v_lshl_add_u32 v0, v0, 23, v54
	v_or3_b32 v5, v6, v0, v5
.LBB4_4123:                             ;   in Loop: Header=BB4_3496 Depth=3
	s_or_b64 exec, exec, s[48:49]
.LBB4_4124:                             ;   in Loop: Header=BB4_3496 Depth=3
	s_or_b64 exec, exec, s[38:39]
.LBB4_4125:                             ;   in Loop: Header=BB4_3496 Depth=3
	s_or_b64 exec, exec, s[40:41]
	v_max_f32_e32 v0, v5, v5
	v_max_f32_e32 v4, v4, v4
	v_max_f32_e32 v4, v4, v0
	s_mov_b64 s[40:41], 0
.LBB4_4126:                             ;   in Loop: Header=BB4_3496 Depth=3
	s_and_b64 vcc, exec, s[40:41]
	s_cbranch_vccz .LBB4_4140
; %bb.4127:                             ;   in Loop: Header=BB4_3496 Depth=3
	v_mov_b32_e32 v5, 0
	v_mov_b32_e32 v4, 0
	s_and_saveexec_b64 s[40:41], s[28:29]
	s_cbranch_execz .LBB4_4133
; %bb.4128:                             ;   in Loop: Header=BB4_3496 Depth=3
	v_cmp_ne_u16_sdwa vcc, v16, s80 src0_sel:BYTE_0 src1_sel:DWORD
	v_bfrev_b32_e32 v4, 1
	s_and_saveexec_b64 s[28:29], vcc
	s_cbranch_execz .LBB4_4132
; %bb.4129:                             ;   in Loop: Header=BB4_3496 Depth=3
	v_bfe_u32 v0, v23, 16, 7
	v_cmp_ne_u32_e32 vcc, s81, v0
	v_mov_b32_e32 v4, 0x7f800001
	s_and_saveexec_b64 s[38:39], vcc
	s_cbranch_execz .LBB4_4131
; %bb.4130:                             ;   in Loop: Header=BB4_3496 Depth=3
	v_and_b32_e32 v4, 7, v16
	v_lshrrev_b32_e32 v17, 3, v0
	v_cmp_gt_u32_e32 vcc, 8, v0
	v_ffbh_u32_e32 v0, v4
	v_min_u32_e32 v0, 32, v0
	v_subrev_u32_e32 v6, 28, v0
	v_lshlrev_b64 v[6:7], v6, v[16:17]
	v_sub_u32_e32 v0, 29, v0
	v_and_b32_e32 v6, 7, v6
	v_cndmask_b32_e32 v0, v17, v0, vcc
	v_cndmask_b32_e32 v4, v4, v6, vcc
	v_lshlrev_b32_e32 v6, 24, v16
	v_lshlrev_b32_e32 v4, 20, v4
	v_and_b32_e32 v6, 0x80000000, v6
	v_lshl_add_u32 v0, v0, 23, v54
	v_or3_b32 v4, v6, v0, v4
.LBB4_4131:                             ;   in Loop: Header=BB4_3496 Depth=3
	s_or_b64 exec, exec, s[38:39]
.LBB4_4132:                             ;   in Loop: Header=BB4_3496 Depth=3
	s_or_b64 exec, exec, s[28:29]
.LBB4_4133:                             ;   in Loop: Header=BB4_3496 Depth=3
	s_or_b64 exec, exec, s[40:41]
	v_cmp_ne_u16_sdwa s[40:41], v2, v3 src0_sel:BYTE_0 src1_sel:DWORD
	s_and_saveexec_b64 s[28:29], s[40:41]
	s_cbranch_execz .LBB4_4139
; %bb.4134:                             ;   in Loop: Header=BB4_3496 Depth=3
	v_cmp_ne_u16_sdwa vcc, v2, s80 src0_sel:BYTE_0 src1_sel:DWORD
	v_bfrev_b32_e32 v5, 1
	s_and_saveexec_b64 s[40:41], vcc
	s_cbranch_execz .LBB4_4138
; %bb.4135:                             ;   in Loop: Header=BB4_3496 Depth=3
	v_bfe_u32 v0, v19, 16, 7
	v_cmp_ne_u32_e32 vcc, s81, v0
	v_mov_b32_e32 v5, 0x7f800001
	s_and_saveexec_b64 s[38:39], vcc
	s_cbranch_execz .LBB4_4137
; %bb.4136:                             ;   in Loop: Header=BB4_3496 Depth=3
	v_and_b32_e32 v7, 7, v2
	v_lshrrev_b32_e32 v16, 3, v0
	v_cmp_gt_u32_e32 vcc, 8, v0
	v_ffbh_u32_e32 v0, v7
	v_min_u32_e32 v0, 32, v0
	v_subrev_u32_e32 v5, 28, v0
	v_lshlrev_b64 v[5:6], v5, v[2:3]
	v_sub_u32_e32 v0, 29, v0
	v_and_b32_e32 v5, 7, v5
	v_cndmask_b32_e32 v0, v16, v0, vcc
	v_cndmask_b32_e32 v5, v7, v5, vcc
	v_lshlrev_b32_e32 v2, 24, v2
	v_lshlrev_b32_e32 v5, 20, v5
	v_and_b32_e32 v2, 0x80000000, v2
	v_lshl_add_u32 v0, v0, 23, v54
	v_or3_b32 v5, v2, v0, v5
.LBB4_4137:                             ;   in Loop: Header=BB4_3496 Depth=3
	s_or_b64 exec, exec, s[38:39]
.LBB4_4138:                             ;   in Loop: Header=BB4_3496 Depth=3
	s_or_b64 exec, exec, s[40:41]
.LBB4_4139:                             ;   in Loop: Header=BB4_3496 Depth=3
	s_or_b64 exec, exec, s[28:29]
	v_max_f32_e32 v0, v5, v5
	v_max_f32_e32 v2, v4, v4
	v_min_f32_e32 v4, v2, v0
.LBB4_4140:                             ;   in Loop: Header=BB4_3496 Depth=3
	v_and_b32_e32 v2, 0x7f800000, v4
	v_cmp_ne_u64_e32 vcc, s[76:77], v[2:3]
                                        ; implicit-def: $vgpr36
	s_and_saveexec_b64 s[28:29], vcc
	s_xor_b64 s[40:41], exec, s[28:29]
	s_cbranch_execz .LBB4_4154
; %bb.4141:                             ;   in Loop: Header=BB4_3496 Depth=3
	v_and_b32_e32 v2, 0x7fffffff, v4
	v_cmp_gt_u64_e32 vcc, s[78:79], v[2:3]
	v_and_b32_sdwa v6, v4, s80 dst_sel:DWORD dst_unused:UNUSED_PAD src0_sel:BYTE_3 src1_sel:DWORD
                                        ; implicit-def: $vgpr36
	s_and_saveexec_b64 s[28:29], vcc
	s_xor_b64 s[38:39], exec, s[28:29]
	s_cbranch_execz .LBB4_4151
; %bb.4142:                             ;   in Loop: Header=BB4_3496 Depth=3
	v_mov_b32_e32 v36, 0
	v_cmp_ne_u32_e32 vcc, 0, v4
	s_and_saveexec_b64 s[48:49], vcc
	s_cbranch_execz .LBB4_4150
; %bb.4143:                             ;   in Loop: Header=BB4_3496 Depth=3
	v_bfe_u32 v7, v4, 23, 8
	v_cmp_gt_u32_e64 s[28:29], s83, v7
	v_sub_u32_e32 v2, 0x79, v7
	v_and_b32_e32 v0, 0x7fffff, v4
	v_cmp_eq_u32_e32 vcc, 0, v7
	v_cndmask_b32_e64 v2, 0, v2, s[28:29]
	v_mov_b32_e32 v5, 0x78
	v_or_b32_e32 v4, 0x800000, v0
	v_cndmask_b32_e32 v36, v2, v5, vcc
	v_cndmask_b32_e32 v2, v4, v0, vcc
	v_add_u32_e32 v0, 20, v36
	v_lshlrev_b64 v[4:5], v0, -1
	v_add_u32_e32 v0, 19, v36
	v_lshlrev_b64 v[16:17], v0, 1
	v_bfi_b32 v5, v5, 0, 0
	v_bfi_b32 v4, v4, 0, v2
	v_cmp_eq_u64_e64 s[28:29], v[4:5], v[16:17]
	v_lshrrev_b64 v[16:17], v36, v[2:3]
	v_mov_b32_e32 v4, v16
	v_mov_b32_e32 v5, v17
	s_and_saveexec_b64 s[50:51], s[28:29]
; %bb.4144:                             ;   in Loop: Header=BB4_3496 Depth=3
	v_bfe_u32 v0, v16, 20, 1
	v_add_co_u32_e64 v0, s[28:29], v16, v0
	v_add_co_u32_e64 v4, s[28:29], -1, v0
; %bb.4145:                             ;   in Loop: Header=BB4_3496 Depth=3
	s_or_b64 exec, exec, s[50:51]
	v_add_u32_e32 v0, 0xffffff81, v7
	v_mov_b32_e32 v2, 0xffffff82
	v_cndmask_b32_e32 v0, v0, v2, vcc
	v_lshrrev_b32_e32 v2, 23, v16
	v_add3_u32 v5, v36, v0, v2
	v_add_u32_e32 v0, 6, v5
	v_and_b32_e32 v2, 0xfffff, v4
	v_add_u32_e32 v2, v2, v16
	v_cmp_ne_u32_e32 vcc, 0, v0
                                        ; implicit-def: $vgpr16_vgpr17
                                        ; implicit-def: $vgpr4
	s_and_saveexec_b64 s[28:29], vcc
	s_xor_b64 s[28:29], exec, s[28:29]
; %bb.4146:                             ;   in Loop: Header=BB4_3496 Depth=3
	v_cmp_lt_u64_e32 vcc, s[88:89], v[2:3]
	v_add_u32_e32 v4, 7, v5
	v_cndmask_b32_e32 v4, v0, v4, vcc
	v_cndmask_b32_e64 v0, 0, 1, vcc
	v_lshrrev_b64 v[16:17], v0, v[2:3]
; %bb.4147:                             ;   in Loop: Header=BB4_3496 Depth=3
	s_andn2_saveexec_b64 s[28:29], s[28:29]
; %bb.4148:                             ;   in Loop: Header=BB4_3496 Depth=3
	v_mov_b32_e32 v17, v3
	v_bfe_u32 v4, v2, 23, 1
	v_mov_b32_e32 v16, v2
; %bb.4149:                             ;   in Loop: Header=BB4_3496 Depth=3
	s_or_b64 exec, exec, s[28:29]
	v_lshrrev_b64 v[16:17], 20, v[16:17]
	v_cmp_gt_i32_e32 vcc, 16, v4
	v_cndmask_b32_e32 v17, 0, v17, vcc
	v_cndmask_b32_e32 v16, 7, v16, vcc
	v_min_i32_e32 v0, 15, v4
	v_cmp_eq_u64_e64 s[28:29], 0, v[16:17]
	v_lshlrev_b32_e32 v0, 3, v0
	v_cmp_eq_u32_e32 vcc, 0, v4
	v_and_b32_e32 v0, 0xf8, v0
	v_and_or_b32 v0, v16, 7, v0
	s_and_b64 s[28:29], vcc, s[28:29]
	v_cndmask_b32_e64 v0, v0, 0, s[28:29]
	v_or_b32_e32 v36, v0, v6
.LBB4_4150:                             ;   in Loop: Header=BB4_3496 Depth=3
	s_or_b64 exec, exec, s[48:49]
                                        ; implicit-def: $vgpr6
.LBB4_4151:                             ;   in Loop: Header=BB4_3496 Depth=3
	s_andn2_saveexec_b64 s[28:29], s[38:39]
; %bb.4152:                             ;   in Loop: Header=BB4_3496 Depth=3
	v_or_b32_e32 v36, 0x7e, v6
; %bb.4153:                             ;   in Loop: Header=BB4_3496 Depth=3
	s_or_b64 exec, exec, s[28:29]
                                        ; implicit-def: $vgpr4
.LBB4_4154:                             ;   in Loop: Header=BB4_3496 Depth=3
	s_andn2_saveexec_b64 s[28:29], s[40:41]
; %bb.4155:                             ;   in Loop: Header=BB4_3496 Depth=3
	v_or_b32_sdwa v36, v4, s81 dst_sel:DWORD dst_unused:UNUSED_PAD src0_sel:BYTE_3 src1_sel:DWORD
; %bb.4156:                             ;   in Loop: Header=BB4_3496 Depth=3
	s_or_b64 exec, exec, s[28:29]
	v_cmp_lt_u64_e64 s[28:29], s[62:63], v[22:23]
	v_lshrrev_b32_e32 v16, 24, v23
	v_lshrrev_b32_e32 v2, 24, v19
	s_mov_b64 s[40:41], -1
	s_and_b64 vcc, exec, s[46:47]
                                        ; implicit-def: $vgpr4
	s_cbranch_vccz .LBB4_4170
; %bb.4157:                             ;   in Loop: Header=BB4_3496 Depth=3
	v_mov_b32_e32 v5, 0
	v_mov_b32_e32 v4, 0
	s_and_saveexec_b64 s[40:41], s[28:29]
	s_cbranch_execz .LBB4_4163
; %bb.4158:                             ;   in Loop: Header=BB4_3496 Depth=3
	v_cmp_ne_u32_e32 vcc, s80, v16
	v_bfrev_b32_e32 v4, 1
	s_and_saveexec_b64 s[38:39], vcc
	s_cbranch_execz .LBB4_4162
; %bb.4159:                             ;   in Loop: Header=BB4_3496 Depth=3
	v_bfe_u32 v0, v23, 24, 7
	v_cmp_ne_u32_e32 vcc, s81, v0
	v_mov_b32_e32 v4, 0x7f800001
	s_and_saveexec_b64 s[48:49], vcc
	s_cbranch_execz .LBB4_4161
; %bb.4160:                             ;   in Loop: Header=BB4_3496 Depth=3
	v_and_b32_e32 v4, 7, v16
	v_lshrrev_b32_e32 v17, 3, v0
	v_cmp_gt_u32_e32 vcc, 8, v0
	v_ffbh_u32_e32 v0, v4
	v_min_u32_e32 v0, 32, v0
	v_subrev_u32_e32 v6, 28, v0
	v_lshlrev_b64 v[6:7], v6, v[16:17]
	v_sub_u32_e32 v0, 29, v0
	v_and_b32_e32 v6, 7, v6
	v_cndmask_b32_e32 v0, v17, v0, vcc
	v_cndmask_b32_e32 v4, v4, v6, vcc
	v_lshlrev_b32_e32 v6, 24, v16
	v_lshlrev_b32_e32 v4, 20, v4
	v_and_b32_e32 v6, 0x80000000, v6
	v_lshl_add_u32 v0, v0, 23, v54
	v_or3_b32 v4, v6, v0, v4
.LBB4_4161:                             ;   in Loop: Header=BB4_3496 Depth=3
	s_or_b64 exec, exec, s[48:49]
.LBB4_4162:                             ;   in Loop: Header=BB4_3496 Depth=3
	s_or_b64 exec, exec, s[38:39]
.LBB4_4163:                             ;   in Loop: Header=BB4_3496 Depth=3
	s_or_b64 exec, exec, s[40:41]
	v_cmp_lt_u64_e32 vcc, s[62:63], v[18:19]
	s_and_saveexec_b64 s[40:41], vcc
	s_cbranch_execz .LBB4_4169
; %bb.4164:                             ;   in Loop: Header=BB4_3496 Depth=3
	v_cmp_ne_u32_e32 vcc, s80, v2
	v_bfrev_b32_e32 v5, 1
	s_and_saveexec_b64 s[38:39], vcc
	s_cbranch_execz .LBB4_4168
; %bb.4165:                             ;   in Loop: Header=BB4_3496 Depth=3
	v_bfe_u32 v0, v19, 24, 7
	v_cmp_ne_u32_e32 vcc, s81, v0
	v_mov_b32_e32 v5, 0x7f800001
	s_and_saveexec_b64 s[48:49], vcc
	s_cbranch_execz .LBB4_4167
; %bb.4166:                             ;   in Loop: Header=BB4_3496 Depth=3
	v_and_b32_e32 v7, 7, v2
	v_lshrrev_b32_e32 v17, 3, v0
	v_cmp_gt_u32_e32 vcc, 8, v0
	v_ffbh_u32_e32 v0, v7
	v_min_u32_e32 v0, 32, v0
	v_subrev_u32_e32 v5, 28, v0
	v_lshlrev_b64 v[5:6], v5, v[2:3]
	v_sub_u32_e32 v0, 29, v0
	v_and_b32_e32 v5, 7, v5
	v_cndmask_b32_e32 v0, v17, v0, vcc
	v_cndmask_b32_e32 v5, v7, v5, vcc
	v_lshlrev_b32_e32 v6, 24, v2
	v_lshlrev_b32_e32 v5, 20, v5
	v_and_b32_e32 v6, 0x80000000, v6
	v_lshl_add_u32 v0, v0, 23, v54
	v_or3_b32 v5, v6, v0, v5
.LBB4_4167:                             ;   in Loop: Header=BB4_3496 Depth=3
	s_or_b64 exec, exec, s[48:49]
.LBB4_4168:                             ;   in Loop: Header=BB4_3496 Depth=3
	s_or_b64 exec, exec, s[38:39]
.LBB4_4169:                             ;   in Loop: Header=BB4_3496 Depth=3
	s_or_b64 exec, exec, s[40:41]
	v_max_f32_e32 v0, v5, v5
	v_max_f32_e32 v4, v4, v4
	;; [unrolled: 1-line block ×3, first 2 shown]
	s_mov_b64 s[40:41], 0
.LBB4_4170:                             ;   in Loop: Header=BB4_3496 Depth=3
	s_and_b64 vcc, exec, s[40:41]
	s_cbranch_vccz .LBB4_4184
; %bb.4171:                             ;   in Loop: Header=BB4_3496 Depth=3
	v_mov_b32_e32 v5, 0
	v_mov_b32_e32 v4, 0
	s_and_saveexec_b64 s[40:41], s[28:29]
	s_cbranch_execz .LBB4_4177
; %bb.4172:                             ;   in Loop: Header=BB4_3496 Depth=3
	v_cmp_ne_u32_e32 vcc, s80, v16
	v_bfrev_b32_e32 v4, 1
	s_and_saveexec_b64 s[28:29], vcc
	s_cbranch_execz .LBB4_4176
; %bb.4173:                             ;   in Loop: Header=BB4_3496 Depth=3
	v_bfe_u32 v0, v23, 24, 7
	v_cmp_ne_u32_e32 vcc, s81, v0
	v_mov_b32_e32 v4, 0x7f800001
	s_and_saveexec_b64 s[38:39], vcc
	s_cbranch_execz .LBB4_4175
; %bb.4174:                             ;   in Loop: Header=BB4_3496 Depth=3
	v_and_b32_e32 v4, 7, v16
	v_lshrrev_b32_e32 v17, 3, v0
	v_cmp_gt_u32_e32 vcc, 8, v0
	v_ffbh_u32_e32 v0, v4
	v_min_u32_e32 v0, 32, v0
	v_subrev_u32_e32 v6, 28, v0
	v_lshlrev_b64 v[6:7], v6, v[16:17]
	v_sub_u32_e32 v0, 29, v0
	v_and_b32_e32 v6, 7, v6
	v_cndmask_b32_e32 v0, v17, v0, vcc
	v_cndmask_b32_e32 v4, v4, v6, vcc
	v_lshlrev_b32_e32 v6, 24, v16
	v_lshlrev_b32_e32 v4, 20, v4
	v_and_b32_e32 v6, 0x80000000, v6
	v_lshl_add_u32 v0, v0, 23, v54
	v_or3_b32 v4, v6, v0, v4
.LBB4_4175:                             ;   in Loop: Header=BB4_3496 Depth=3
	s_or_b64 exec, exec, s[38:39]
.LBB4_4176:                             ;   in Loop: Header=BB4_3496 Depth=3
	s_or_b64 exec, exec, s[28:29]
.LBB4_4177:                             ;   in Loop: Header=BB4_3496 Depth=3
	s_or_b64 exec, exec, s[40:41]
	v_cmp_lt_u64_e32 vcc, s[62:63], v[18:19]
	s_and_saveexec_b64 s[28:29], vcc
	s_cbranch_execz .LBB4_4183
; %bb.4178:                             ;   in Loop: Header=BB4_3496 Depth=3
	v_cmp_ne_u32_e32 vcc, s80, v2
	v_bfrev_b32_e32 v5, 1
	s_and_saveexec_b64 s[40:41], vcc
	s_cbranch_execz .LBB4_4182
; %bb.4179:                             ;   in Loop: Header=BB4_3496 Depth=3
	v_bfe_u32 v0, v19, 24, 7
	v_cmp_ne_u32_e32 vcc, s81, v0
	v_mov_b32_e32 v5, 0x7f800001
	s_and_saveexec_b64 s[38:39], vcc
	s_cbranch_execz .LBB4_4181
; %bb.4180:                             ;   in Loop: Header=BB4_3496 Depth=3
	v_and_b32_e32 v7, 7, v2
	v_lshrrev_b32_e32 v16, 3, v0
	v_cmp_gt_u32_e32 vcc, 8, v0
	v_ffbh_u32_e32 v0, v7
	v_min_u32_e32 v0, 32, v0
	v_subrev_u32_e32 v5, 28, v0
	v_lshlrev_b64 v[5:6], v5, v[2:3]
	v_sub_u32_e32 v0, 29, v0
	v_and_b32_e32 v5, 7, v5
	v_cndmask_b32_e32 v0, v16, v0, vcc
	v_cndmask_b32_e32 v5, v7, v5, vcc
	v_lshlrev_b32_e32 v2, 24, v2
	v_lshlrev_b32_e32 v5, 20, v5
	v_and_b32_e32 v2, 0x80000000, v2
	v_lshl_add_u32 v0, v0, 23, v54
	v_or3_b32 v5, v2, v0, v5
.LBB4_4181:                             ;   in Loop: Header=BB4_3496 Depth=3
	s_or_b64 exec, exec, s[38:39]
.LBB4_4182:                             ;   in Loop: Header=BB4_3496 Depth=3
	s_or_b64 exec, exec, s[40:41]
.LBB4_4183:                             ;   in Loop: Header=BB4_3496 Depth=3
	s_or_b64 exec, exec, s[28:29]
	v_max_f32_e32 v0, v5, v5
	v_max_f32_e32 v2, v4, v4
	v_min_f32_e32 v4, v2, v0
.LBB4_4184:                             ;   in Loop: Header=BB4_3496 Depth=3
	v_and_b32_e32 v2, 0x7f800000, v4
	v_cmp_ne_u64_e32 vcc, s[76:77], v[2:3]
                                        ; implicit-def: $vgpr19
	s_and_saveexec_b64 s[28:29], vcc
	s_xor_b64 s[40:41], exec, s[28:29]
	s_cbranch_execz .LBB4_4198
; %bb.4185:                             ;   in Loop: Header=BB4_3496 Depth=3
	v_and_b32_e32 v2, 0x7fffffff, v4
	v_cmp_gt_u64_e32 vcc, s[78:79], v[2:3]
	v_and_b32_sdwa v6, v4, s80 dst_sel:DWORD dst_unused:UNUSED_PAD src0_sel:BYTE_3 src1_sel:DWORD
                                        ; implicit-def: $vgpr19
	s_and_saveexec_b64 s[28:29], vcc
	s_xor_b64 s[38:39], exec, s[28:29]
	s_cbranch_execz .LBB4_4195
; %bb.4186:                             ;   in Loop: Header=BB4_3496 Depth=3
	v_mov_b32_e32 v19, 0
	v_cmp_ne_u32_e32 vcc, 0, v4
	s_and_saveexec_b64 s[48:49], vcc
	s_cbranch_execz .LBB4_4194
; %bb.4187:                             ;   in Loop: Header=BB4_3496 Depth=3
	v_bfe_u32 v7, v4, 23, 8
	v_cmp_gt_u32_e64 s[28:29], s83, v7
	v_sub_u32_e32 v2, 0x79, v7
	v_and_b32_e32 v0, 0x7fffff, v4
	v_cmp_eq_u32_e32 vcc, 0, v7
	v_cndmask_b32_e64 v2, 0, v2, s[28:29]
	v_mov_b32_e32 v5, 0x78
	v_or_b32_e32 v4, 0x800000, v0
	v_cndmask_b32_e32 v18, v2, v5, vcc
	v_cndmask_b32_e32 v2, v4, v0, vcc
	v_add_u32_e32 v0, 20, v18
	v_lshlrev_b64 v[4:5], v0, -1
	v_add_u32_e32 v0, 19, v18
	v_lshlrev_b64 v[16:17], v0, 1
	v_bfi_b32 v5, v5, 0, 0
	v_bfi_b32 v4, v4, 0, v2
	v_cmp_eq_u64_e64 s[28:29], v[4:5], v[16:17]
	v_lshrrev_b64 v[16:17], v18, v[2:3]
	v_mov_b32_e32 v4, v16
	v_mov_b32_e32 v5, v17
	s_and_saveexec_b64 s[50:51], s[28:29]
; %bb.4188:                             ;   in Loop: Header=BB4_3496 Depth=3
	v_bfe_u32 v0, v16, 20, 1
	v_add_co_u32_e64 v0, s[28:29], v16, v0
	v_add_co_u32_e64 v4, s[28:29], -1, v0
; %bb.4189:                             ;   in Loop: Header=BB4_3496 Depth=3
	s_or_b64 exec, exec, s[50:51]
	v_add_u32_e32 v0, 0xffffff81, v7
	v_mov_b32_e32 v2, 0xffffff82
	v_cndmask_b32_e32 v0, v0, v2, vcc
	v_lshrrev_b32_e32 v2, 23, v16
	v_add3_u32 v5, v18, v0, v2
	v_add_u32_e32 v0, 6, v5
	v_and_b32_e32 v2, 0xfffff, v4
	v_add_u32_e32 v2, v2, v16
	v_cmp_ne_u32_e32 vcc, 0, v0
                                        ; implicit-def: $vgpr16_vgpr17
                                        ; implicit-def: $vgpr4
	s_and_saveexec_b64 s[28:29], vcc
	s_xor_b64 s[28:29], exec, s[28:29]
; %bb.4190:                             ;   in Loop: Header=BB4_3496 Depth=3
	v_cmp_lt_u64_e32 vcc, s[88:89], v[2:3]
	v_add_u32_e32 v4, 7, v5
	v_cndmask_b32_e32 v4, v0, v4, vcc
	v_cndmask_b32_e64 v0, 0, 1, vcc
	v_lshrrev_b64 v[16:17], v0, v[2:3]
; %bb.4191:                             ;   in Loop: Header=BB4_3496 Depth=3
	s_andn2_saveexec_b64 s[28:29], s[28:29]
; %bb.4192:                             ;   in Loop: Header=BB4_3496 Depth=3
	v_mov_b32_e32 v17, v3
	v_bfe_u32 v4, v2, 23, 1
	v_mov_b32_e32 v16, v2
; %bb.4193:                             ;   in Loop: Header=BB4_3496 Depth=3
	s_or_b64 exec, exec, s[28:29]
	v_lshrrev_b64 v[16:17], 20, v[16:17]
	v_cmp_gt_i32_e32 vcc, 16, v4
	v_cndmask_b32_e32 v17, 0, v17, vcc
	v_cndmask_b32_e32 v16, 7, v16, vcc
	v_min_i32_e32 v0, 15, v4
	v_cmp_eq_u64_e64 s[28:29], 0, v[16:17]
	v_lshlrev_b32_e32 v0, 3, v0
	v_cmp_eq_u32_e32 vcc, 0, v4
	v_and_b32_e32 v0, 0xf8, v0
	v_and_or_b32 v0, v16, 7, v0
	s_and_b64 s[28:29], vcc, s[28:29]
	v_cndmask_b32_e64 v0, v0, 0, s[28:29]
	v_or_b32_e32 v19, v0, v6
.LBB4_4194:                             ;   in Loop: Header=BB4_3496 Depth=3
	s_or_b64 exec, exec, s[48:49]
                                        ; implicit-def: $vgpr6
.LBB4_4195:                             ;   in Loop: Header=BB4_3496 Depth=3
	s_andn2_saveexec_b64 s[28:29], s[38:39]
; %bb.4196:                             ;   in Loop: Header=BB4_3496 Depth=3
	v_or_b32_e32 v19, 0x7e, v6
; %bb.4197:                             ;   in Loop: Header=BB4_3496 Depth=3
	s_or_b64 exec, exec, s[28:29]
                                        ; implicit-def: $vgpr4
.LBB4_4198:                             ;   in Loop: Header=BB4_3496 Depth=3
	s_andn2_saveexec_b64 s[28:29], s[40:41]
; %bb.4199:                             ;   in Loop: Header=BB4_3496 Depth=3
	v_or_b32_sdwa v19, v4, s81 dst_sel:DWORD dst_unused:UNUSED_PAD src0_sel:BYTE_3 src1_sel:DWORD
; %bb.4200:                             ;   in Loop: Header=BB4_3496 Depth=3
	s_or_b64 exec, exec, s[28:29]
	v_cndmask_b32_e64 v0, 0, 1, s[46:47]
	v_cmp_ne_u16_sdwa s[40:41], v12, v3 src0_sel:BYTE_0 src1_sel:DWORD
	v_cmp_ne_u32_e64 s[28:29], 1, v0
	s_andn2_b64 vcc, exec, s[46:47]
	s_mov_b64 s[38:39], -1
                                        ; implicit-def: $vgpr4
	s_cbranch_vccnz .LBB4_4214
; %bb.4201:                             ;   in Loop: Header=BB4_3496 Depth=3
	v_mov_b32_e32 v4, 0
	v_mov_b32_e32 v2, 0
	s_and_saveexec_b64 s[38:39], s[40:41]
	s_cbranch_execz .LBB4_4207
; %bb.4202:                             ;   in Loop: Header=BB4_3496 Depth=3
	v_cmp_ne_u16_sdwa vcc, v12, s80 src0_sel:BYTE_0 src1_sel:DWORD
	v_bfrev_b32_e32 v2, 1
	s_and_saveexec_b64 s[48:49], vcc
	s_cbranch_execz .LBB4_4206
; %bb.4203:                             ;   in Loop: Header=BB4_3496 Depth=3
	v_and_b32_e32 v0, 0x7f, v12
	v_cmp_ne_u32_e32 vcc, s81, v0
	v_mov_b32_e32 v2, 0x7f800001
	s_and_saveexec_b64 s[50:51], vcc
	s_cbranch_execz .LBB4_4205
; %bb.4204:                             ;   in Loop: Header=BB4_3496 Depth=3
	v_and_b32_e32 v2, 7, v12
	v_lshrrev_b32_e32 v5, 3, v0
	v_cmp_gt_u32_e32 vcc, 8, v0
	v_ffbh_u32_e32 v0, v2
	v_min_u32_e32 v0, 32, v0
	v_subrev_u32_e32 v2, 28, v0
	v_sub_u32_e32 v0, 29, v0
	v_cndmask_b32_e32 v2, 0, v2, vcc
	v_cndmask_b32_e32 v0, v5, v0, vcc
	v_lshlrev_b64 v[5:6], v2, v[12:13]
	v_lshl_add_u32 v0, v0, 23, v54
	v_lshlrev_b32_e32 v2, 20, v5
	v_lshlrev_b32_e32 v5, 24, v12
	v_and_b32_e32 v2, 0x700000, v2
	v_and_b32_e32 v5, 0x80000000, v5
	v_or3_b32 v2, v5, v0, v2
.LBB4_4205:                             ;   in Loop: Header=BB4_3496 Depth=3
	s_or_b64 exec, exec, s[50:51]
.LBB4_4206:                             ;   in Loop: Header=BB4_3496 Depth=3
	s_or_b64 exec, exec, s[48:49]
.LBB4_4207:                             ;   in Loop: Header=BB4_3496 Depth=3
	s_or_b64 exec, exec, s[38:39]
	s_waitcnt vmcnt(2)
	v_cmp_ne_u16_sdwa vcc, v8, v3 src0_sel:BYTE_0 src1_sel:DWORD
	s_and_saveexec_b64 s[38:39], vcc
	s_cbranch_execz .LBB4_4213
; %bb.4208:                             ;   in Loop: Header=BB4_3496 Depth=3
	v_cmp_ne_u16_sdwa vcc, v8, s80 src0_sel:BYTE_0 src1_sel:DWORD
	v_bfrev_b32_e32 v4, 1
	s_and_saveexec_b64 s[48:49], vcc
	s_cbranch_execz .LBB4_4212
; %bb.4209:                             ;   in Loop: Header=BB4_3496 Depth=3
	v_and_b32_e32 v0, 0x7f, v8
	v_cmp_ne_u32_e32 vcc, s81, v0
	v_mov_b32_e32 v4, 0x7f800001
	s_and_saveexec_b64 s[50:51], vcc
	s_cbranch_execz .LBB4_4211
; %bb.4210:                             ;   in Loop: Header=BB4_3496 Depth=3
	v_and_b32_e32 v4, 7, v8
	v_lshrrev_b32_e32 v5, 3, v0
	v_cmp_gt_u32_e32 vcc, 8, v0
	v_ffbh_u32_e32 v0, v4
	v_min_u32_e32 v0, 32, v0
	v_subrev_u32_e32 v4, 28, v0
	v_sub_u32_e32 v0, 29, v0
	v_cndmask_b32_e32 v4, 0, v4, vcc
	v_cndmask_b32_e32 v0, v5, v0, vcc
	v_lshlrev_b64 v[4:5], v4, v[8:9]
	v_lshlrev_b32_e32 v5, 24, v8
	v_lshlrev_b32_e32 v4, 20, v4
	v_and_b32_e32 v4, 0x700000, v4
	v_and_b32_e32 v5, 0x80000000, v5
	v_lshl_add_u32 v0, v0, 23, v54
	v_or3_b32 v4, v5, v0, v4
.LBB4_4211:                             ;   in Loop: Header=BB4_3496 Depth=3
	s_or_b64 exec, exec, s[50:51]
.LBB4_4212:                             ;   in Loop: Header=BB4_3496 Depth=3
	s_or_b64 exec, exec, s[48:49]
.LBB4_4213:                             ;   in Loop: Header=BB4_3496 Depth=3
	s_or_b64 exec, exec, s[38:39]
	v_max_f32_e32 v0, v4, v4
	v_max_f32_e32 v2, v2, v2
	;; [unrolled: 1-line block ×3, first 2 shown]
	s_mov_b64 s[38:39], 0
.LBB4_4214:                             ;   in Loop: Header=BB4_3496 Depth=3
	s_and_b64 vcc, exec, s[38:39]
	s_cbranch_vccz .LBB4_4228
; %bb.4215:                             ;   in Loop: Header=BB4_3496 Depth=3
	v_mov_b32_e32 v4, 0
	v_mov_b32_e32 v2, 0
	s_and_saveexec_b64 s[38:39], s[40:41]
	s_cbranch_execz .LBB4_4221
; %bb.4216:                             ;   in Loop: Header=BB4_3496 Depth=3
	v_cmp_ne_u16_sdwa vcc, v12, s80 src0_sel:BYTE_0 src1_sel:DWORD
	v_bfrev_b32_e32 v2, 1
	s_and_saveexec_b64 s[40:41], vcc
	s_cbranch_execz .LBB4_4220
; %bb.4217:                             ;   in Loop: Header=BB4_3496 Depth=3
	v_and_b32_e32 v0, 0x7f, v12
	v_cmp_ne_u32_e32 vcc, s81, v0
	v_mov_b32_e32 v2, 0x7f800001
	s_and_saveexec_b64 s[48:49], vcc
	s_cbranch_execz .LBB4_4219
; %bb.4218:                             ;   in Loop: Header=BB4_3496 Depth=3
	v_and_b32_e32 v2, 7, v12
	v_lshrrev_b32_e32 v5, 3, v0
	v_cmp_gt_u32_e32 vcc, 8, v0
	v_ffbh_u32_e32 v0, v2
	v_min_u32_e32 v0, 32, v0
	v_subrev_u32_e32 v2, 28, v0
	v_sub_u32_e32 v0, 29, v0
	v_cndmask_b32_e32 v2, 0, v2, vcc
	v_cndmask_b32_e32 v0, v5, v0, vcc
	v_lshlrev_b64 v[5:6], v2, v[12:13]
	v_lshl_add_u32 v0, v0, 23, v54
	v_lshlrev_b32_e32 v2, 20, v5
	v_lshlrev_b32_e32 v5, 24, v12
	v_and_b32_e32 v2, 0x700000, v2
	v_and_b32_e32 v5, 0x80000000, v5
	v_or3_b32 v2, v5, v0, v2
.LBB4_4219:                             ;   in Loop: Header=BB4_3496 Depth=3
	s_or_b64 exec, exec, s[48:49]
.LBB4_4220:                             ;   in Loop: Header=BB4_3496 Depth=3
	s_or_b64 exec, exec, s[40:41]
.LBB4_4221:                             ;   in Loop: Header=BB4_3496 Depth=3
	s_or_b64 exec, exec, s[38:39]
	s_waitcnt vmcnt(2)
	v_cmp_ne_u16_sdwa vcc, v8, v3 src0_sel:BYTE_0 src1_sel:DWORD
	s_and_saveexec_b64 s[40:41], vcc
	s_cbranch_execz .LBB4_4227
; %bb.4222:                             ;   in Loop: Header=BB4_3496 Depth=3
	v_cmp_ne_u16_sdwa vcc, v8, s80 src0_sel:BYTE_0 src1_sel:DWORD
	v_bfrev_b32_e32 v4, 1
	s_and_saveexec_b64 s[38:39], vcc
	s_cbranch_execz .LBB4_4226
; %bb.4223:                             ;   in Loop: Header=BB4_3496 Depth=3
	v_and_b32_e32 v0, 0x7f, v8
	v_cmp_ne_u32_e32 vcc, s81, v0
	v_mov_b32_e32 v4, 0x7f800001
	s_and_saveexec_b64 s[48:49], vcc
	s_cbranch_execz .LBB4_4225
; %bb.4224:                             ;   in Loop: Header=BB4_3496 Depth=3
	v_and_b32_e32 v4, 7, v8
	v_lshrrev_b32_e32 v5, 3, v0
	v_cmp_gt_u32_e32 vcc, 8, v0
	v_ffbh_u32_e32 v0, v4
	v_min_u32_e32 v0, 32, v0
	v_subrev_u32_e32 v4, 28, v0
	v_sub_u32_e32 v0, 29, v0
	v_cndmask_b32_e32 v4, 0, v4, vcc
	v_cndmask_b32_e32 v0, v5, v0, vcc
	v_lshlrev_b64 v[4:5], v4, v[8:9]
	v_lshlrev_b32_e32 v5, 24, v8
	v_lshlrev_b32_e32 v4, 20, v4
	v_and_b32_e32 v4, 0x700000, v4
	v_and_b32_e32 v5, 0x80000000, v5
	v_lshl_add_u32 v0, v0, 23, v54
	v_or3_b32 v4, v5, v0, v4
.LBB4_4225:                             ;   in Loop: Header=BB4_3496 Depth=3
	s_or_b64 exec, exec, s[48:49]
.LBB4_4226:                             ;   in Loop: Header=BB4_3496 Depth=3
	s_or_b64 exec, exec, s[38:39]
.LBB4_4227:                             ;   in Loop: Header=BB4_3496 Depth=3
	s_or_b64 exec, exec, s[40:41]
	v_max_f32_e32 v0, v4, v4
	v_max_f32_e32 v2, v2, v2
	v_min_f32_e32 v4, v2, v0
.LBB4_4228:                             ;   in Loop: Header=BB4_3496 Depth=3
	v_and_b32_e32 v2, 0x7f800000, v4
	v_cmp_ne_u64_e32 vcc, s[76:77], v[2:3]
                                        ; implicit-def: $vgpr22
	s_and_saveexec_b64 s[40:41], vcc
	s_xor_b64 s[38:39], exec, s[40:41]
	s_cbranch_execz .LBB4_4242
; %bb.4229:                             ;   in Loop: Header=BB4_3496 Depth=3
	v_and_b32_e32 v2, 0x7fffffff, v4
	v_cmp_gt_u64_e32 vcc, s[78:79], v[2:3]
	v_and_b32_sdwa v6, v4, s80 dst_sel:DWORD dst_unused:UNUSED_PAD src0_sel:BYTE_3 src1_sel:DWORD
                                        ; implicit-def: $vgpr22
	s_and_saveexec_b64 s[40:41], vcc
	s_xor_b64 s[48:49], exec, s[40:41]
	s_cbranch_execz .LBB4_4239
; %bb.4230:                             ;   in Loop: Header=BB4_3496 Depth=3
	v_mov_b32_e32 v22, 0
	v_cmp_ne_u32_e32 vcc, 0, v4
	s_and_saveexec_b64 s[50:51], vcc
	s_cbranch_execz .LBB4_4238
; %bb.4231:                             ;   in Loop: Header=BB4_3496 Depth=3
	v_bfe_u32 v7, v4, 23, 8
	v_cmp_gt_u32_e64 s[40:41], s83, v7
	v_sub_u32_e32 v2, 0x79, v7
	v_and_b32_e32 v0, 0x7fffff, v4
	v_cmp_eq_u32_e32 vcc, 0, v7
	v_cndmask_b32_e64 v2, 0, v2, s[40:41]
	v_mov_b32_e32 v5, 0x78
	v_or_b32_e32 v4, 0x800000, v0
	v_cndmask_b32_e32 v18, v2, v5, vcc
	v_cndmask_b32_e32 v2, v4, v0, vcc
	v_add_u32_e32 v0, 20, v18
	v_lshlrev_b64 v[4:5], v0, -1
	v_add_u32_e32 v0, 19, v18
	v_lshlrev_b64 v[16:17], v0, 1
	v_bfi_b32 v5, v5, 0, 0
	v_bfi_b32 v4, v4, 0, v2
	v_cmp_eq_u64_e64 s[40:41], v[4:5], v[16:17]
	v_lshrrev_b64 v[16:17], v18, v[2:3]
	v_mov_b32_e32 v4, v16
	v_mov_b32_e32 v5, v17
	s_and_saveexec_b64 s[52:53], s[40:41]
; %bb.4232:                             ;   in Loop: Header=BB4_3496 Depth=3
	v_bfe_u32 v0, v16, 20, 1
	v_add_co_u32_e64 v0, s[40:41], v16, v0
	v_add_co_u32_e64 v4, s[40:41], -1, v0
; %bb.4233:                             ;   in Loop: Header=BB4_3496 Depth=3
	s_or_b64 exec, exec, s[52:53]
	v_add_u32_e32 v0, 0xffffff81, v7
	v_mov_b32_e32 v2, 0xffffff82
	v_cndmask_b32_e32 v0, v0, v2, vcc
	v_lshrrev_b32_e32 v2, 23, v16
	v_add3_u32 v7, v18, v0, v2
	v_add_u32_e32 v5, 6, v7
	v_and_b32_e32 v0, 0xfffff, v4
	v_add_u32_e32 v2, v0, v16
	v_cmp_ne_u32_e32 vcc, 0, v5
                                        ; implicit-def: $vgpr16_vgpr17
                                        ; implicit-def: $vgpr0
	s_and_saveexec_b64 s[40:41], vcc
	s_xor_b64 s[40:41], exec, s[40:41]
; %bb.4234:                             ;   in Loop: Header=BB4_3496 Depth=3
	v_cmp_lt_u64_e32 vcc, s[88:89], v[2:3]
	v_add_u32_e32 v0, 7, v7
	v_cndmask_b32_e64 v4, 0, 1, vcc
	v_lshrrev_b64 v[16:17], v4, v[2:3]
	v_cndmask_b32_e32 v0, v5, v0, vcc
; %bb.4235:                             ;   in Loop: Header=BB4_3496 Depth=3
	s_andn2_saveexec_b64 s[40:41], s[40:41]
; %bb.4236:                             ;   in Loop: Header=BB4_3496 Depth=3
	v_mov_b32_e32 v17, v3
	v_bfe_u32 v0, v2, 23, 1
	v_mov_b32_e32 v16, v2
; %bb.4237:                             ;   in Loop: Header=BB4_3496 Depth=3
	s_or_b64 exec, exec, s[40:41]
	v_lshrrev_b64 v[4:5], 20, v[16:17]
	v_cmp_gt_i32_e32 vcc, 16, v0
	v_cndmask_b32_e32 v5, 0, v5, vcc
	v_cndmask_b32_e32 v4, 7, v4, vcc
	v_cmp_eq_u32_e32 vcc, 0, v0
	v_min_i32_e32 v0, 15, v0
	v_cmp_eq_u64_e64 s[40:41], 0, v[4:5]
	v_lshlrev_b32_e32 v0, 3, v0
	v_and_b32_e32 v0, 0xf8, v0
	v_and_or_b32 v0, v4, 7, v0
	s_and_b64 s[40:41], vcc, s[40:41]
	v_cndmask_b32_e64 v0, v0, 0, s[40:41]
	v_or_b32_e32 v22, v0, v6
.LBB4_4238:                             ;   in Loop: Header=BB4_3496 Depth=3
	s_or_b64 exec, exec, s[50:51]
                                        ; implicit-def: $vgpr6
.LBB4_4239:                             ;   in Loop: Header=BB4_3496 Depth=3
	s_andn2_saveexec_b64 s[40:41], s[48:49]
; %bb.4240:                             ;   in Loop: Header=BB4_3496 Depth=3
	v_or_b32_e32 v22, 0x7e, v6
; %bb.4241:                             ;   in Loop: Header=BB4_3496 Depth=3
	s_or_b64 exec, exec, s[40:41]
                                        ; implicit-def: $vgpr4
.LBB4_4242:                             ;   in Loop: Header=BB4_3496 Depth=3
	s_andn2_saveexec_b64 s[40:41], s[38:39]
; %bb.4243:                             ;   in Loop: Header=BB4_3496 Depth=3
	v_or_b32_sdwa v22, v4, s81 dst_sel:DWORD dst_unused:UNUSED_PAD src0_sel:BYTE_3 src1_sel:DWORD
; %bb.4244:                             ;   in Loop: Header=BB4_3496 Depth=3
	s_or_b64 exec, exec, s[40:41]
	v_lshrrev_b16_e32 v16, 8, v12
	s_waitcnt vmcnt(2)
	v_lshrrev_b16_e32 v2, 8, v8
	v_cmp_ne_u16_e64 s[40:41], 0, v16
	s_and_b64 vcc, exec, s[28:29]
	s_mov_b64 s[38:39], -1
                                        ; implicit-def: $vgpr4
	s_cbranch_vccnz .LBB4_4258
; %bb.4245:                             ;   in Loop: Header=BB4_3496 Depth=3
	v_mov_b32_e32 v5, 0
	v_mov_b32_e32 v4, 0
	s_and_saveexec_b64 s[38:39], s[40:41]
	s_cbranch_execz .LBB4_4251
; %bb.4246:                             ;   in Loop: Header=BB4_3496 Depth=3
	v_cmp_ne_u16_e32 vcc, s80, v16
	v_bfrev_b32_e32 v4, 1
	s_and_saveexec_b64 s[48:49], vcc
	s_cbranch_execz .LBB4_4250
; %bb.4247:                             ;   in Loop: Header=BB4_3496 Depth=3
	v_and_b32_e32 v0, 0x7f, v16
	v_cmp_ne_u32_e32 vcc, s81, v0
	v_mov_b32_e32 v4, 0x7f800001
	s_and_saveexec_b64 s[50:51], vcc
	s_cbranch_execz .LBB4_4249
; %bb.4248:                             ;   in Loop: Header=BB4_3496 Depth=3
	v_and_b32_e32 v4, 7, v16
	v_lshrrev_b32_e32 v17, 3, v0
	v_cmp_gt_u32_e32 vcc, 8, v0
	v_ffbh_u32_e32 v0, v4
	v_min_u32_e32 v0, 32, v0
	v_subrev_u32_e32 v6, 28, v0
	v_lshlrev_b64 v[6:7], v6, v[16:17]
	v_sub_u32_e32 v0, 29, v0
	v_and_b32_e32 v6, 7, v6
	v_cndmask_b32_e32 v0, v17, v0, vcc
	v_cndmask_b32_e32 v4, v4, v6, vcc
	v_lshlrev_b32_e32 v6, 16, v12
	v_lshlrev_b32_e32 v4, 20, v4
	v_and_b32_e32 v6, 0x80000000, v6
	v_lshl_add_u32 v0, v0, 23, v54
	v_or3_b32 v4, v6, v0, v4
.LBB4_4249:                             ;   in Loop: Header=BB4_3496 Depth=3
	s_or_b64 exec, exec, s[50:51]
.LBB4_4250:                             ;   in Loop: Header=BB4_3496 Depth=3
	s_or_b64 exec, exec, s[48:49]
.LBB4_4251:                             ;   in Loop: Header=BB4_3496 Depth=3
	s_or_b64 exec, exec, s[38:39]
	v_cmp_ne_u16_e32 vcc, 0, v2
	s_and_saveexec_b64 s[38:39], vcc
	s_cbranch_execz .LBB4_4257
; %bb.4252:                             ;   in Loop: Header=BB4_3496 Depth=3
	v_cmp_ne_u16_e32 vcc, s80, v2
	v_bfrev_b32_e32 v5, 1
	s_and_saveexec_b64 s[48:49], vcc
	s_cbranch_execz .LBB4_4256
; %bb.4253:                             ;   in Loop: Header=BB4_3496 Depth=3
	v_and_b32_e32 v0, 0x7f, v2
	v_cmp_ne_u32_e32 vcc, s81, v0
	v_mov_b32_e32 v5, 0x7f800001
	s_and_saveexec_b64 s[50:51], vcc
	s_cbranch_execz .LBB4_4255
; %bb.4254:                             ;   in Loop: Header=BB4_3496 Depth=3
	v_and_b32_e32 v7, 7, v2
	v_lshrrev_b32_e32 v17, 3, v0
	v_cmp_gt_u32_e32 vcc, 8, v0
	v_ffbh_u32_e32 v0, v7
	v_min_u32_e32 v0, 32, v0
	v_subrev_u32_e32 v5, 28, v0
	v_lshlrev_b64 v[5:6], v5, v[2:3]
	v_sub_u32_e32 v0, 29, v0
	v_and_b32_e32 v5, 7, v5
	v_cndmask_b32_e32 v0, v17, v0, vcc
	v_cndmask_b32_e32 v5, v7, v5, vcc
	v_lshlrev_b32_e32 v6, 16, v8
	v_lshlrev_b32_e32 v5, 20, v5
	v_and_b32_e32 v6, 0x80000000, v6
	v_lshl_add_u32 v0, v0, 23, v54
	v_or3_b32 v5, v6, v0, v5
.LBB4_4255:                             ;   in Loop: Header=BB4_3496 Depth=3
	s_or_b64 exec, exec, s[50:51]
.LBB4_4256:                             ;   in Loop: Header=BB4_3496 Depth=3
	s_or_b64 exec, exec, s[48:49]
.LBB4_4257:                             ;   in Loop: Header=BB4_3496 Depth=3
	s_or_b64 exec, exec, s[38:39]
	v_max_f32_e32 v0, v5, v5
	v_max_f32_e32 v4, v4, v4
	;; [unrolled: 1-line block ×3, first 2 shown]
	s_mov_b64 s[38:39], 0
.LBB4_4258:                             ;   in Loop: Header=BB4_3496 Depth=3
	s_and_b64 vcc, exec, s[38:39]
	s_cbranch_vccz .LBB4_4272
; %bb.4259:                             ;   in Loop: Header=BB4_3496 Depth=3
	v_mov_b32_e32 v5, 0
	v_mov_b32_e32 v4, 0
	s_and_saveexec_b64 s[38:39], s[40:41]
	s_cbranch_execz .LBB4_4265
; %bb.4260:                             ;   in Loop: Header=BB4_3496 Depth=3
	v_cmp_ne_u16_e32 vcc, s80, v16
	v_bfrev_b32_e32 v4, 1
	s_and_saveexec_b64 s[40:41], vcc
	s_cbranch_execz .LBB4_4264
; %bb.4261:                             ;   in Loop: Header=BB4_3496 Depth=3
	v_and_b32_e32 v0, 0x7f, v16
	v_cmp_ne_u32_e32 vcc, s81, v0
	v_mov_b32_e32 v4, 0x7f800001
	s_and_saveexec_b64 s[48:49], vcc
	s_cbranch_execz .LBB4_4263
; %bb.4262:                             ;   in Loop: Header=BB4_3496 Depth=3
	v_and_b32_e32 v4, 7, v16
	v_lshrrev_b32_e32 v17, 3, v0
	v_cmp_gt_u32_e32 vcc, 8, v0
	v_ffbh_u32_e32 v0, v4
	v_min_u32_e32 v0, 32, v0
	v_subrev_u32_e32 v6, 28, v0
	v_lshlrev_b64 v[6:7], v6, v[16:17]
	v_sub_u32_e32 v0, 29, v0
	v_and_b32_e32 v6, 7, v6
	v_cndmask_b32_e32 v0, v17, v0, vcc
	v_cndmask_b32_e32 v4, v4, v6, vcc
	v_lshlrev_b32_e32 v6, 16, v12
	v_lshlrev_b32_e32 v4, 20, v4
	v_and_b32_e32 v6, 0x80000000, v6
	v_lshl_add_u32 v0, v0, 23, v54
	v_or3_b32 v4, v6, v0, v4
.LBB4_4263:                             ;   in Loop: Header=BB4_3496 Depth=3
	s_or_b64 exec, exec, s[48:49]
.LBB4_4264:                             ;   in Loop: Header=BB4_3496 Depth=3
	s_or_b64 exec, exec, s[40:41]
.LBB4_4265:                             ;   in Loop: Header=BB4_3496 Depth=3
	s_or_b64 exec, exec, s[38:39]
	v_cmp_ne_u16_e32 vcc, 0, v2
	s_and_saveexec_b64 s[40:41], vcc
	s_cbranch_execz .LBB4_4271
; %bb.4266:                             ;   in Loop: Header=BB4_3496 Depth=3
	v_cmp_ne_u16_e32 vcc, s80, v2
	v_bfrev_b32_e32 v5, 1
	s_and_saveexec_b64 s[38:39], vcc
	s_cbranch_execz .LBB4_4270
; %bb.4267:                             ;   in Loop: Header=BB4_3496 Depth=3
	v_and_b32_e32 v0, 0x7f, v2
	v_cmp_ne_u32_e32 vcc, s81, v0
	v_mov_b32_e32 v5, 0x7f800001
	s_and_saveexec_b64 s[48:49], vcc
	s_cbranch_execz .LBB4_4269
; %bb.4268:                             ;   in Loop: Header=BB4_3496 Depth=3
	v_and_b32_e32 v7, 7, v2
	v_lshrrev_b32_e32 v16, 3, v0
	v_cmp_gt_u32_e32 vcc, 8, v0
	v_ffbh_u32_e32 v0, v7
	v_min_u32_e32 v0, 32, v0
	v_subrev_u32_e32 v5, 28, v0
	v_lshlrev_b64 v[5:6], v5, v[2:3]
	v_sub_u32_e32 v0, 29, v0
	v_and_b32_e32 v2, 7, v5
	v_cndmask_b32_e32 v0, v16, v0, vcc
	v_cndmask_b32_e32 v2, v7, v2, vcc
	v_lshlrev_b32_e32 v5, 16, v8
	v_lshlrev_b32_e32 v2, 20, v2
	v_and_b32_e32 v5, 0x80000000, v5
	v_lshl_add_u32 v0, v0, 23, v54
	v_or3_b32 v5, v5, v0, v2
.LBB4_4269:                             ;   in Loop: Header=BB4_3496 Depth=3
	s_or_b64 exec, exec, s[48:49]
.LBB4_4270:                             ;   in Loop: Header=BB4_3496 Depth=3
	s_or_b64 exec, exec, s[38:39]
.LBB4_4271:                             ;   in Loop: Header=BB4_3496 Depth=3
	s_or_b64 exec, exec, s[40:41]
	v_max_f32_e32 v0, v5, v5
	v_max_f32_e32 v2, v4, v4
	v_min_f32_e32 v4, v2, v0
.LBB4_4272:                             ;   in Loop: Header=BB4_3496 Depth=3
	v_and_b32_e32 v2, 0x7f800000, v4
	v_cmp_ne_u64_e32 vcc, s[76:77], v[2:3]
                                        ; implicit-def: $vgpr23
	s_and_saveexec_b64 s[40:41], vcc
	s_xor_b64 s[38:39], exec, s[40:41]
	s_cbranch_execz .LBB4_4286
; %bb.4273:                             ;   in Loop: Header=BB4_3496 Depth=3
	v_and_b32_e32 v2, 0x7fffffff, v4
	v_cmp_gt_u64_e32 vcc, s[78:79], v[2:3]
	v_and_b32_sdwa v6, v4, s80 dst_sel:DWORD dst_unused:UNUSED_PAD src0_sel:BYTE_3 src1_sel:DWORD
                                        ; implicit-def: $vgpr23
	s_and_saveexec_b64 s[40:41], vcc
	s_xor_b64 s[48:49], exec, s[40:41]
	s_cbranch_execz .LBB4_4283
; %bb.4274:                             ;   in Loop: Header=BB4_3496 Depth=3
	v_mov_b32_e32 v23, 0
	v_cmp_ne_u32_e32 vcc, 0, v4
	s_and_saveexec_b64 s[50:51], vcc
	s_cbranch_execz .LBB4_4282
; %bb.4275:                             ;   in Loop: Header=BB4_3496 Depth=3
	v_bfe_u32 v7, v4, 23, 8
	v_cmp_gt_u32_e64 s[40:41], s83, v7
	v_sub_u32_e32 v2, 0x79, v7
	v_and_b32_e32 v0, 0x7fffff, v4
	v_cmp_eq_u32_e32 vcc, 0, v7
	v_cndmask_b32_e64 v2, 0, v2, s[40:41]
	v_mov_b32_e32 v5, 0x78
	v_or_b32_e32 v4, 0x800000, v0
	v_cndmask_b32_e32 v18, v2, v5, vcc
	v_cndmask_b32_e32 v2, v4, v0, vcc
	v_add_u32_e32 v0, 20, v18
	v_lshlrev_b64 v[4:5], v0, -1
	v_add_u32_e32 v0, 19, v18
	v_lshlrev_b64 v[16:17], v0, 1
	v_bfi_b32 v5, v5, 0, 0
	v_bfi_b32 v4, v4, 0, v2
	v_cmp_eq_u64_e64 s[40:41], v[4:5], v[16:17]
	v_lshrrev_b64 v[16:17], v18, v[2:3]
	v_mov_b32_e32 v4, v16
	v_mov_b32_e32 v5, v17
	s_and_saveexec_b64 s[52:53], s[40:41]
; %bb.4276:                             ;   in Loop: Header=BB4_3496 Depth=3
	v_bfe_u32 v0, v16, 20, 1
	v_add_co_u32_e64 v0, s[40:41], v16, v0
	v_add_co_u32_e64 v4, s[40:41], -1, v0
; %bb.4277:                             ;   in Loop: Header=BB4_3496 Depth=3
	s_or_b64 exec, exec, s[52:53]
	v_add_u32_e32 v0, 0xffffff81, v7
	v_mov_b32_e32 v2, 0xffffff82
	v_cndmask_b32_e32 v0, v0, v2, vcc
	v_lshrrev_b32_e32 v2, 23, v16
	v_add3_u32 v7, v18, v0, v2
	v_add_u32_e32 v5, 6, v7
	v_and_b32_e32 v0, 0xfffff, v4
	v_add_u32_e32 v2, v0, v16
	v_cmp_ne_u32_e32 vcc, 0, v5
                                        ; implicit-def: $vgpr16_vgpr17
                                        ; implicit-def: $vgpr0
	s_and_saveexec_b64 s[40:41], vcc
	s_xor_b64 s[40:41], exec, s[40:41]
; %bb.4278:                             ;   in Loop: Header=BB4_3496 Depth=3
	v_cmp_lt_u64_e32 vcc, s[88:89], v[2:3]
	v_add_u32_e32 v0, 7, v7
	v_cndmask_b32_e64 v4, 0, 1, vcc
	v_lshrrev_b64 v[16:17], v4, v[2:3]
	v_cndmask_b32_e32 v0, v5, v0, vcc
; %bb.4279:                             ;   in Loop: Header=BB4_3496 Depth=3
	s_andn2_saveexec_b64 s[40:41], s[40:41]
; %bb.4280:                             ;   in Loop: Header=BB4_3496 Depth=3
	v_mov_b32_e32 v17, v3
	v_bfe_u32 v0, v2, 23, 1
	v_mov_b32_e32 v16, v2
; %bb.4281:                             ;   in Loop: Header=BB4_3496 Depth=3
	s_or_b64 exec, exec, s[40:41]
	v_lshrrev_b64 v[4:5], 20, v[16:17]
	v_cmp_gt_i32_e32 vcc, 16, v0
	v_cndmask_b32_e32 v5, 0, v5, vcc
	v_cndmask_b32_e32 v4, 7, v4, vcc
	v_cmp_eq_u32_e32 vcc, 0, v0
	v_min_i32_e32 v0, 15, v0
	v_cmp_eq_u64_e64 s[40:41], 0, v[4:5]
	v_lshlrev_b32_e32 v0, 3, v0
	v_and_b32_e32 v0, 0xf8, v0
	v_and_or_b32 v0, v4, 7, v0
	s_and_b64 s[40:41], vcc, s[40:41]
	v_cndmask_b32_e64 v0, v0, 0, s[40:41]
	v_or_b32_e32 v23, v0, v6
.LBB4_4282:                             ;   in Loop: Header=BB4_3496 Depth=3
	s_or_b64 exec, exec, s[50:51]
                                        ; implicit-def: $vgpr6
.LBB4_4283:                             ;   in Loop: Header=BB4_3496 Depth=3
	s_andn2_saveexec_b64 s[40:41], s[48:49]
; %bb.4284:                             ;   in Loop: Header=BB4_3496 Depth=3
	v_or_b32_e32 v23, 0x7e, v6
; %bb.4285:                             ;   in Loop: Header=BB4_3496 Depth=3
	s_or_b64 exec, exec, s[40:41]
                                        ; implicit-def: $vgpr4
.LBB4_4286:                             ;   in Loop: Header=BB4_3496 Depth=3
	s_andn2_saveexec_b64 s[40:41], s[38:39]
; %bb.4287:                             ;   in Loop: Header=BB4_3496 Depth=3
	v_or_b32_sdwa v23, v4, s81 dst_sel:DWORD dst_unused:UNUSED_PAD src0_sel:BYTE_3 src1_sel:DWORD
; %bb.4288:                             ;   in Loop: Header=BB4_3496 Depth=3
	s_or_b64 exec, exec, s[40:41]
	v_lshrrev_b32_e32 v16, 16, v12
	v_lshrrev_b32_e32 v2, 16, v8
	v_cmp_ne_u16_sdwa s[40:41], v16, v3 src0_sel:BYTE_0 src1_sel:DWORD
	s_and_b64 vcc, exec, s[28:29]
	s_mov_b64 s[38:39], -1
                                        ; implicit-def: $vgpr4
	s_cbranch_vccnz .LBB4_4302
; %bb.4289:                             ;   in Loop: Header=BB4_3496 Depth=3
	v_mov_b32_e32 v5, 0
	v_mov_b32_e32 v4, 0
	s_and_saveexec_b64 s[38:39], s[40:41]
	s_cbranch_execz .LBB4_4295
; %bb.4290:                             ;   in Loop: Header=BB4_3496 Depth=3
	v_cmp_ne_u16_sdwa vcc, v16, s80 src0_sel:BYTE_0 src1_sel:DWORD
	v_bfrev_b32_e32 v4, 1
	s_and_saveexec_b64 s[48:49], vcc
	s_cbranch_execz .LBB4_4294
; %bb.4291:                             ;   in Loop: Header=BB4_3496 Depth=3
	v_bfe_u32 v0, v12, 16, 7
	v_cmp_ne_u32_e32 vcc, s81, v0
	v_mov_b32_e32 v4, 0x7f800001
	s_and_saveexec_b64 s[50:51], vcc
	s_cbranch_execz .LBB4_4293
; %bb.4292:                             ;   in Loop: Header=BB4_3496 Depth=3
	v_and_b32_e32 v4, 7, v16
	v_lshrrev_b32_e32 v17, 3, v0
	v_cmp_gt_u32_e32 vcc, 8, v0
	v_ffbh_u32_e32 v0, v4
	v_min_u32_e32 v0, 32, v0
	v_subrev_u32_e32 v6, 28, v0
	v_lshlrev_b64 v[6:7], v6, v[16:17]
	v_sub_u32_e32 v0, 29, v0
	v_and_b32_e32 v6, 7, v6
	v_cndmask_b32_e32 v0, v17, v0, vcc
	v_cndmask_b32_e32 v4, v4, v6, vcc
	v_lshlrev_b32_e32 v6, 24, v16
	v_lshlrev_b32_e32 v4, 20, v4
	v_and_b32_e32 v6, 0x80000000, v6
	v_lshl_add_u32 v0, v0, 23, v54
	v_or3_b32 v4, v6, v0, v4
.LBB4_4293:                             ;   in Loop: Header=BB4_3496 Depth=3
	s_or_b64 exec, exec, s[50:51]
.LBB4_4294:                             ;   in Loop: Header=BB4_3496 Depth=3
	s_or_b64 exec, exec, s[48:49]
.LBB4_4295:                             ;   in Loop: Header=BB4_3496 Depth=3
	s_or_b64 exec, exec, s[38:39]
	v_cmp_ne_u16_sdwa vcc, v2, v3 src0_sel:BYTE_0 src1_sel:DWORD
	s_and_saveexec_b64 s[38:39], vcc
	s_cbranch_execz .LBB4_4301
; %bb.4296:                             ;   in Loop: Header=BB4_3496 Depth=3
	v_cmp_ne_u16_sdwa vcc, v2, s80 src0_sel:BYTE_0 src1_sel:DWORD
	v_bfrev_b32_e32 v5, 1
	s_and_saveexec_b64 s[48:49], vcc
	s_cbranch_execz .LBB4_4300
; %bb.4297:                             ;   in Loop: Header=BB4_3496 Depth=3
	v_bfe_u32 v0, v8, 16, 7
	v_cmp_ne_u32_e32 vcc, s81, v0
	v_mov_b32_e32 v5, 0x7f800001
	s_and_saveexec_b64 s[50:51], vcc
	s_cbranch_execz .LBB4_4299
; %bb.4298:                             ;   in Loop: Header=BB4_3496 Depth=3
	v_and_b32_e32 v7, 7, v2
	v_lshrrev_b32_e32 v17, 3, v0
	v_cmp_gt_u32_e32 vcc, 8, v0
	v_ffbh_u32_e32 v0, v7
	v_min_u32_e32 v0, 32, v0
	v_subrev_u32_e32 v5, 28, v0
	v_lshlrev_b64 v[5:6], v5, v[2:3]
	v_sub_u32_e32 v0, 29, v0
	v_and_b32_e32 v5, 7, v5
	v_cndmask_b32_e32 v0, v17, v0, vcc
	v_cndmask_b32_e32 v5, v7, v5, vcc
	v_lshlrev_b32_e32 v6, 24, v2
	v_lshlrev_b32_e32 v5, 20, v5
	v_and_b32_e32 v6, 0x80000000, v6
	v_lshl_add_u32 v0, v0, 23, v54
	v_or3_b32 v5, v6, v0, v5
.LBB4_4299:                             ;   in Loop: Header=BB4_3496 Depth=3
	s_or_b64 exec, exec, s[50:51]
.LBB4_4300:                             ;   in Loop: Header=BB4_3496 Depth=3
	s_or_b64 exec, exec, s[48:49]
.LBB4_4301:                             ;   in Loop: Header=BB4_3496 Depth=3
	s_or_b64 exec, exec, s[38:39]
	v_max_f32_e32 v0, v5, v5
	v_max_f32_e32 v4, v4, v4
	;; [unrolled: 1-line block ×3, first 2 shown]
	s_mov_b64 s[38:39], 0
.LBB4_4302:                             ;   in Loop: Header=BB4_3496 Depth=3
	s_and_b64 vcc, exec, s[38:39]
	s_cbranch_vccz .LBB4_4316
; %bb.4303:                             ;   in Loop: Header=BB4_3496 Depth=3
	v_mov_b32_e32 v5, 0
	v_mov_b32_e32 v4, 0
	s_and_saveexec_b64 s[38:39], s[40:41]
	s_cbranch_execz .LBB4_4309
; %bb.4304:                             ;   in Loop: Header=BB4_3496 Depth=3
	v_cmp_ne_u16_sdwa vcc, v16, s80 src0_sel:BYTE_0 src1_sel:DWORD
	v_bfrev_b32_e32 v4, 1
	s_and_saveexec_b64 s[40:41], vcc
	s_cbranch_execz .LBB4_4308
; %bb.4305:                             ;   in Loop: Header=BB4_3496 Depth=3
	v_bfe_u32 v0, v12, 16, 7
	v_cmp_ne_u32_e32 vcc, s81, v0
	v_mov_b32_e32 v4, 0x7f800001
	s_and_saveexec_b64 s[48:49], vcc
	s_cbranch_execz .LBB4_4307
; %bb.4306:                             ;   in Loop: Header=BB4_3496 Depth=3
	v_and_b32_e32 v4, 7, v16
	v_lshrrev_b32_e32 v17, 3, v0
	v_cmp_gt_u32_e32 vcc, 8, v0
	v_ffbh_u32_e32 v0, v4
	v_min_u32_e32 v0, 32, v0
	v_subrev_u32_e32 v6, 28, v0
	v_lshlrev_b64 v[6:7], v6, v[16:17]
	v_sub_u32_e32 v0, 29, v0
	v_and_b32_e32 v6, 7, v6
	v_cndmask_b32_e32 v0, v17, v0, vcc
	v_cndmask_b32_e32 v4, v4, v6, vcc
	v_lshlrev_b32_e32 v6, 24, v16
	v_lshlrev_b32_e32 v4, 20, v4
	v_and_b32_e32 v6, 0x80000000, v6
	v_lshl_add_u32 v0, v0, 23, v54
	v_or3_b32 v4, v6, v0, v4
.LBB4_4307:                             ;   in Loop: Header=BB4_3496 Depth=3
	s_or_b64 exec, exec, s[48:49]
.LBB4_4308:                             ;   in Loop: Header=BB4_3496 Depth=3
	s_or_b64 exec, exec, s[40:41]
.LBB4_4309:                             ;   in Loop: Header=BB4_3496 Depth=3
	s_or_b64 exec, exec, s[38:39]
	v_cmp_ne_u16_sdwa vcc, v2, v3 src0_sel:BYTE_0 src1_sel:DWORD
	s_and_saveexec_b64 s[40:41], vcc
	s_cbranch_execz .LBB4_4315
; %bb.4310:                             ;   in Loop: Header=BB4_3496 Depth=3
	v_cmp_ne_u16_sdwa vcc, v2, s80 src0_sel:BYTE_0 src1_sel:DWORD
	v_bfrev_b32_e32 v5, 1
	s_and_saveexec_b64 s[38:39], vcc
	s_cbranch_execz .LBB4_4314
; %bb.4311:                             ;   in Loop: Header=BB4_3496 Depth=3
	v_bfe_u32 v0, v8, 16, 7
	v_cmp_ne_u32_e32 vcc, s81, v0
	v_mov_b32_e32 v5, 0x7f800001
	s_and_saveexec_b64 s[48:49], vcc
	s_cbranch_execz .LBB4_4313
; %bb.4312:                             ;   in Loop: Header=BB4_3496 Depth=3
	v_and_b32_e32 v7, 7, v2
	v_lshrrev_b32_e32 v16, 3, v0
	v_cmp_gt_u32_e32 vcc, 8, v0
	v_ffbh_u32_e32 v0, v7
	v_min_u32_e32 v0, 32, v0
	v_subrev_u32_e32 v5, 28, v0
	v_lshlrev_b64 v[5:6], v5, v[2:3]
	v_sub_u32_e32 v0, 29, v0
	v_and_b32_e32 v5, 7, v5
	v_cndmask_b32_e32 v0, v16, v0, vcc
	v_cndmask_b32_e32 v5, v7, v5, vcc
	v_lshlrev_b32_e32 v2, 24, v2
	v_lshlrev_b32_e32 v5, 20, v5
	v_and_b32_e32 v2, 0x80000000, v2
	v_lshl_add_u32 v0, v0, 23, v54
	v_or3_b32 v5, v2, v0, v5
.LBB4_4313:                             ;   in Loop: Header=BB4_3496 Depth=3
	s_or_b64 exec, exec, s[48:49]
.LBB4_4314:                             ;   in Loop: Header=BB4_3496 Depth=3
	s_or_b64 exec, exec, s[38:39]
.LBB4_4315:                             ;   in Loop: Header=BB4_3496 Depth=3
	s_or_b64 exec, exec, s[40:41]
	v_max_f32_e32 v0, v5, v5
	v_max_f32_e32 v2, v4, v4
	v_min_f32_e32 v4, v2, v0
.LBB4_4316:                             ;   in Loop: Header=BB4_3496 Depth=3
	v_and_b32_e32 v2, 0x7f800000, v4
	v_cmp_ne_u64_e32 vcc, s[76:77], v[2:3]
                                        ; implicit-def: $vgpr46
	s_and_saveexec_b64 s[40:41], vcc
	s_xor_b64 s[38:39], exec, s[40:41]
	s_cbranch_execz .LBB4_4330
; %bb.4317:                             ;   in Loop: Header=BB4_3496 Depth=3
	v_and_b32_e32 v2, 0x7fffffff, v4
	v_cmp_gt_u64_e32 vcc, s[78:79], v[2:3]
	v_and_b32_sdwa v6, v4, s80 dst_sel:DWORD dst_unused:UNUSED_PAD src0_sel:BYTE_3 src1_sel:DWORD
                                        ; implicit-def: $vgpr46
	s_and_saveexec_b64 s[40:41], vcc
	s_xor_b64 s[48:49], exec, s[40:41]
	s_cbranch_execz .LBB4_4327
; %bb.4318:                             ;   in Loop: Header=BB4_3496 Depth=3
	v_mov_b32_e32 v46, 0
	v_cmp_ne_u32_e32 vcc, 0, v4
	s_and_saveexec_b64 s[50:51], vcc
	s_cbranch_execz .LBB4_4326
; %bb.4319:                             ;   in Loop: Header=BB4_3496 Depth=3
	v_bfe_u32 v7, v4, 23, 8
	v_cmp_gt_u32_e64 s[40:41], s83, v7
	v_sub_u32_e32 v2, 0x79, v7
	v_and_b32_e32 v0, 0x7fffff, v4
	v_cmp_eq_u32_e32 vcc, 0, v7
	v_cndmask_b32_e64 v2, 0, v2, s[40:41]
	v_mov_b32_e32 v5, 0x78
	v_or_b32_e32 v4, 0x800000, v0
	v_cndmask_b32_e32 v18, v2, v5, vcc
	v_cndmask_b32_e32 v2, v4, v0, vcc
	v_add_u32_e32 v0, 20, v18
	v_lshlrev_b64 v[4:5], v0, -1
	v_add_u32_e32 v0, 19, v18
	v_lshlrev_b64 v[16:17], v0, 1
	v_bfi_b32 v5, v5, 0, 0
	v_bfi_b32 v4, v4, 0, v2
	v_cmp_eq_u64_e64 s[40:41], v[4:5], v[16:17]
	v_lshrrev_b64 v[16:17], v18, v[2:3]
	v_mov_b32_e32 v4, v16
	v_mov_b32_e32 v5, v17
	s_and_saveexec_b64 s[52:53], s[40:41]
; %bb.4320:                             ;   in Loop: Header=BB4_3496 Depth=3
	v_bfe_u32 v0, v16, 20, 1
	v_add_co_u32_e64 v0, s[40:41], v16, v0
	v_add_co_u32_e64 v4, s[40:41], -1, v0
; %bb.4321:                             ;   in Loop: Header=BB4_3496 Depth=3
	s_or_b64 exec, exec, s[52:53]
	v_add_u32_e32 v0, 0xffffff81, v7
	v_mov_b32_e32 v2, 0xffffff82
	v_cndmask_b32_e32 v0, v0, v2, vcc
	v_lshrrev_b32_e32 v2, 23, v16
	v_add3_u32 v7, v18, v0, v2
	v_add_u32_e32 v5, 6, v7
	v_and_b32_e32 v0, 0xfffff, v4
	v_add_u32_e32 v2, v0, v16
	v_cmp_ne_u32_e32 vcc, 0, v5
                                        ; implicit-def: $vgpr16_vgpr17
                                        ; implicit-def: $vgpr0
	s_and_saveexec_b64 s[40:41], vcc
	s_xor_b64 s[40:41], exec, s[40:41]
; %bb.4322:                             ;   in Loop: Header=BB4_3496 Depth=3
	v_cmp_lt_u64_e32 vcc, s[88:89], v[2:3]
	v_add_u32_e32 v0, 7, v7
	v_cndmask_b32_e64 v4, 0, 1, vcc
	v_lshrrev_b64 v[16:17], v4, v[2:3]
	v_cndmask_b32_e32 v0, v5, v0, vcc
; %bb.4323:                             ;   in Loop: Header=BB4_3496 Depth=3
	s_andn2_saveexec_b64 s[40:41], s[40:41]
; %bb.4324:                             ;   in Loop: Header=BB4_3496 Depth=3
	v_mov_b32_e32 v17, v3
	v_bfe_u32 v0, v2, 23, 1
	v_mov_b32_e32 v16, v2
; %bb.4325:                             ;   in Loop: Header=BB4_3496 Depth=3
	s_or_b64 exec, exec, s[40:41]
	v_lshrrev_b64 v[4:5], 20, v[16:17]
	v_cmp_gt_i32_e32 vcc, 16, v0
	v_cndmask_b32_e32 v5, 0, v5, vcc
	v_cndmask_b32_e32 v4, 7, v4, vcc
	v_cmp_eq_u32_e32 vcc, 0, v0
	v_min_i32_e32 v0, 15, v0
	v_cmp_eq_u64_e64 s[40:41], 0, v[4:5]
	v_lshlrev_b32_e32 v0, 3, v0
	v_and_b32_e32 v0, 0xf8, v0
	v_and_or_b32 v0, v4, 7, v0
	s_and_b64 s[40:41], vcc, s[40:41]
	v_cndmask_b32_e64 v0, v0, 0, s[40:41]
	v_or_b32_e32 v46, v0, v6
.LBB4_4326:                             ;   in Loop: Header=BB4_3496 Depth=3
	s_or_b64 exec, exec, s[50:51]
                                        ; implicit-def: $vgpr6
.LBB4_4327:                             ;   in Loop: Header=BB4_3496 Depth=3
	s_andn2_saveexec_b64 s[40:41], s[48:49]
; %bb.4328:                             ;   in Loop: Header=BB4_3496 Depth=3
	v_or_b32_e32 v46, 0x7e, v6
; %bb.4329:                             ;   in Loop: Header=BB4_3496 Depth=3
	s_or_b64 exec, exec, s[40:41]
                                        ; implicit-def: $vgpr4
.LBB4_4330:                             ;   in Loop: Header=BB4_3496 Depth=3
	s_andn2_saveexec_b64 s[40:41], s[38:39]
; %bb.4331:                             ;   in Loop: Header=BB4_3496 Depth=3
	v_or_b32_sdwa v46, v4, s81 dst_sel:DWORD dst_unused:UNUSED_PAD src0_sel:BYTE_3 src1_sel:DWORD
; %bb.4332:                             ;   in Loop: Header=BB4_3496 Depth=3
	s_or_b64 exec, exec, s[40:41]
	v_lshrrev_b32_e32 v16, 24, v12
	v_lshrrev_b32_e32 v2, 24, v8
	v_cmp_lt_u32_e64 s[40:41], s63, v12
	s_and_b64 vcc, exec, s[28:29]
	s_mov_b64 s[38:39], -1
                                        ; implicit-def: $vgpr4
	s_cbranch_vccnz .LBB4_4346
; %bb.4333:                             ;   in Loop: Header=BB4_3496 Depth=3
	v_mov_b32_e32 v5, 0
	v_mov_b32_e32 v4, 0
	s_and_saveexec_b64 s[38:39], s[40:41]
	s_cbranch_execz .LBB4_4339
; %bb.4334:                             ;   in Loop: Header=BB4_3496 Depth=3
	v_cmp_ne_u32_e32 vcc, s80, v16
	v_bfrev_b32_e32 v4, 1
	s_and_saveexec_b64 s[48:49], vcc
	s_cbranch_execz .LBB4_4338
; %bb.4335:                             ;   in Loop: Header=BB4_3496 Depth=3
	v_bfe_u32 v0, v12, 24, 7
	v_cmp_ne_u32_e32 vcc, s81, v0
	v_mov_b32_e32 v4, 0x7f800001
	s_and_saveexec_b64 s[50:51], vcc
	s_cbranch_execz .LBB4_4337
; %bb.4336:                             ;   in Loop: Header=BB4_3496 Depth=3
	v_and_b32_e32 v4, 7, v16
	v_lshrrev_b32_e32 v17, 3, v0
	v_cmp_gt_u32_e32 vcc, 8, v0
	v_ffbh_u32_e32 v0, v4
	v_min_u32_e32 v0, 32, v0
	v_subrev_u32_e32 v6, 28, v0
	v_lshlrev_b64 v[6:7], v6, v[16:17]
	v_sub_u32_e32 v0, 29, v0
	v_and_b32_e32 v6, 7, v6
	v_cndmask_b32_e32 v0, v17, v0, vcc
	v_cndmask_b32_e32 v4, v4, v6, vcc
	v_lshlrev_b32_e32 v6, 24, v16
	v_lshlrev_b32_e32 v4, 20, v4
	v_and_b32_e32 v6, 0x80000000, v6
	v_lshl_add_u32 v0, v0, 23, v54
	v_or3_b32 v4, v6, v0, v4
.LBB4_4337:                             ;   in Loop: Header=BB4_3496 Depth=3
	s_or_b64 exec, exec, s[50:51]
.LBB4_4338:                             ;   in Loop: Header=BB4_3496 Depth=3
	s_or_b64 exec, exec, s[48:49]
.LBB4_4339:                             ;   in Loop: Header=BB4_3496 Depth=3
	s_or_b64 exec, exec, s[38:39]
	v_cmp_lt_u32_e32 vcc, s63, v8
	s_and_saveexec_b64 s[38:39], vcc
	s_cbranch_execz .LBB4_4345
; %bb.4340:                             ;   in Loop: Header=BB4_3496 Depth=3
	v_cmp_ne_u32_e32 vcc, s80, v2
	v_bfrev_b32_e32 v5, 1
	s_and_saveexec_b64 s[48:49], vcc
	s_cbranch_execz .LBB4_4344
; %bb.4341:                             ;   in Loop: Header=BB4_3496 Depth=3
	v_bfe_u32 v0, v8, 24, 7
	v_cmp_ne_u32_e32 vcc, s81, v0
	v_mov_b32_e32 v5, 0x7f800001
	s_and_saveexec_b64 s[50:51], vcc
	s_cbranch_execz .LBB4_4343
; %bb.4342:                             ;   in Loop: Header=BB4_3496 Depth=3
	v_and_b32_e32 v7, 7, v2
	v_lshrrev_b32_e32 v17, 3, v0
	v_cmp_gt_u32_e32 vcc, 8, v0
	v_ffbh_u32_e32 v0, v7
	v_min_u32_e32 v0, 32, v0
	v_subrev_u32_e32 v5, 28, v0
	v_lshlrev_b64 v[5:6], v5, v[2:3]
	v_sub_u32_e32 v0, 29, v0
	v_and_b32_e32 v5, 7, v5
	v_cndmask_b32_e32 v0, v17, v0, vcc
	v_cndmask_b32_e32 v5, v7, v5, vcc
	v_lshlrev_b32_e32 v6, 24, v2
	v_lshlrev_b32_e32 v5, 20, v5
	v_and_b32_e32 v6, 0x80000000, v6
	v_lshl_add_u32 v0, v0, 23, v54
	v_or3_b32 v5, v6, v0, v5
.LBB4_4343:                             ;   in Loop: Header=BB4_3496 Depth=3
	s_or_b64 exec, exec, s[50:51]
.LBB4_4344:                             ;   in Loop: Header=BB4_3496 Depth=3
	s_or_b64 exec, exec, s[48:49]
.LBB4_4345:                             ;   in Loop: Header=BB4_3496 Depth=3
	s_or_b64 exec, exec, s[38:39]
	v_max_f32_e32 v0, v5, v5
	v_max_f32_e32 v4, v4, v4
	v_max_f32_e32 v4, v4, v0
	s_mov_b64 s[38:39], 0
.LBB4_4346:                             ;   in Loop: Header=BB4_3496 Depth=3
	s_and_b64 vcc, exec, s[38:39]
	s_cbranch_vccz .LBB4_4360
; %bb.4347:                             ;   in Loop: Header=BB4_3496 Depth=3
	v_mov_b32_e32 v5, 0
	v_mov_b32_e32 v4, 0
	s_and_saveexec_b64 s[38:39], s[40:41]
	s_cbranch_execz .LBB4_4353
; %bb.4348:                             ;   in Loop: Header=BB4_3496 Depth=3
	v_cmp_ne_u32_e32 vcc, s80, v16
	v_bfrev_b32_e32 v4, 1
	s_and_saveexec_b64 s[40:41], vcc
	s_cbranch_execz .LBB4_4352
; %bb.4349:                             ;   in Loop: Header=BB4_3496 Depth=3
	v_bfe_u32 v0, v12, 24, 7
	v_cmp_ne_u32_e32 vcc, s81, v0
	v_mov_b32_e32 v4, 0x7f800001
	s_and_saveexec_b64 s[48:49], vcc
	s_cbranch_execz .LBB4_4351
; %bb.4350:                             ;   in Loop: Header=BB4_3496 Depth=3
	v_and_b32_e32 v4, 7, v16
	v_lshrrev_b32_e32 v17, 3, v0
	v_cmp_gt_u32_e32 vcc, 8, v0
	v_ffbh_u32_e32 v0, v4
	v_min_u32_e32 v0, 32, v0
	v_subrev_u32_e32 v6, 28, v0
	v_lshlrev_b64 v[6:7], v6, v[16:17]
	v_sub_u32_e32 v0, 29, v0
	v_and_b32_e32 v6, 7, v6
	v_cndmask_b32_e32 v0, v17, v0, vcc
	v_cndmask_b32_e32 v4, v4, v6, vcc
	v_lshlrev_b32_e32 v6, 24, v16
	v_lshlrev_b32_e32 v4, 20, v4
	v_and_b32_e32 v6, 0x80000000, v6
	v_lshl_add_u32 v0, v0, 23, v54
	v_or3_b32 v4, v6, v0, v4
.LBB4_4351:                             ;   in Loop: Header=BB4_3496 Depth=3
	s_or_b64 exec, exec, s[48:49]
.LBB4_4352:                             ;   in Loop: Header=BB4_3496 Depth=3
	s_or_b64 exec, exec, s[40:41]
.LBB4_4353:                             ;   in Loop: Header=BB4_3496 Depth=3
	s_or_b64 exec, exec, s[38:39]
	v_cmp_lt_u32_e32 vcc, s63, v8
	s_and_saveexec_b64 s[40:41], vcc
	s_cbranch_execz .LBB4_4359
; %bb.4354:                             ;   in Loop: Header=BB4_3496 Depth=3
	v_cmp_ne_u32_e32 vcc, s80, v2
	v_bfrev_b32_e32 v5, 1
	s_and_saveexec_b64 s[38:39], vcc
	s_cbranch_execz .LBB4_4358
; %bb.4355:                             ;   in Loop: Header=BB4_3496 Depth=3
	v_bfe_u32 v0, v8, 24, 7
	v_cmp_ne_u32_e32 vcc, s81, v0
	v_mov_b32_e32 v5, 0x7f800001
	s_and_saveexec_b64 s[48:49], vcc
	s_cbranch_execz .LBB4_4357
; %bb.4356:                             ;   in Loop: Header=BB4_3496 Depth=3
	v_and_b32_e32 v7, 7, v2
	v_lshrrev_b32_e32 v16, 3, v0
	v_cmp_gt_u32_e32 vcc, 8, v0
	v_ffbh_u32_e32 v0, v7
	v_min_u32_e32 v0, 32, v0
	v_subrev_u32_e32 v5, 28, v0
	v_lshlrev_b64 v[5:6], v5, v[2:3]
	v_sub_u32_e32 v0, 29, v0
	v_and_b32_e32 v5, 7, v5
	v_cndmask_b32_e32 v0, v16, v0, vcc
	v_cndmask_b32_e32 v5, v7, v5, vcc
	v_lshlrev_b32_e32 v2, 24, v2
	v_lshlrev_b32_e32 v5, 20, v5
	v_and_b32_e32 v2, 0x80000000, v2
	v_lshl_add_u32 v0, v0, 23, v54
	v_or3_b32 v5, v2, v0, v5
.LBB4_4357:                             ;   in Loop: Header=BB4_3496 Depth=3
	s_or_b64 exec, exec, s[48:49]
.LBB4_4358:                             ;   in Loop: Header=BB4_3496 Depth=3
	s_or_b64 exec, exec, s[38:39]
.LBB4_4359:                             ;   in Loop: Header=BB4_3496 Depth=3
	s_or_b64 exec, exec, s[40:41]
	v_max_f32_e32 v0, v5, v5
	v_max_f32_e32 v2, v4, v4
	v_min_f32_e32 v4, v2, v0
.LBB4_4360:                             ;   in Loop: Header=BB4_3496 Depth=3
	v_and_b32_e32 v2, 0x7f800000, v4
	v_cmp_ne_u64_e32 vcc, s[76:77], v[2:3]
                                        ; implicit-def: $vgpr6
	s_and_saveexec_b64 s[40:41], vcc
	s_xor_b64 s[38:39], exec, s[40:41]
	s_cbranch_execz .LBB4_4374
; %bb.4361:                             ;   in Loop: Header=BB4_3496 Depth=3
	v_and_b32_e32 v2, 0x7fffffff, v4
	v_cmp_gt_u64_e32 vcc, s[78:79], v[2:3]
	v_and_b32_sdwa v18, v4, s80 dst_sel:DWORD dst_unused:UNUSED_PAD src0_sel:BYTE_3 src1_sel:DWORD
                                        ; implicit-def: $vgpr6
	s_and_saveexec_b64 s[40:41], vcc
	s_xor_b64 s[48:49], exec, s[40:41]
	s_cbranch_execz .LBB4_4371
; %bb.4362:                             ;   in Loop: Header=BB4_3496 Depth=3
	v_mov_b32_e32 v6, 0
	v_cmp_ne_u32_e32 vcc, 0, v4
	s_and_saveexec_b64 s[50:51], vcc
	s_cbranch_execz .LBB4_4370
; %bb.4363:                             ;   in Loop: Header=BB4_3496 Depth=3
	v_bfe_u32 v6, v4, 23, 8
	v_cmp_gt_u32_e64 s[40:41], s83, v6
	v_sub_u32_e32 v2, 0x79, v6
	v_and_b32_e32 v0, 0x7fffff, v4
	v_cmp_eq_u32_e32 vcc, 0, v6
	v_cndmask_b32_e64 v2, 0, v2, s[40:41]
	v_mov_b32_e32 v5, 0x78
	v_or_b32_e32 v4, 0x800000, v0
	v_cndmask_b32_e32 v7, v2, v5, vcc
	v_cndmask_b32_e32 v2, v4, v0, vcc
	v_add_u32_e32 v0, 20, v7
	v_lshlrev_b64 v[4:5], v0, -1
	v_add_u32_e32 v0, 19, v7
	v_lshlrev_b64 v[16:17], v0, 1
	v_bfi_b32 v5, v5, 0, 0
	v_bfi_b32 v4, v4, 0, v2
	v_cmp_eq_u64_e64 s[40:41], v[4:5], v[16:17]
	v_lshrrev_b64 v[16:17], v7, v[2:3]
	v_mov_b32_e32 v4, v16
	v_mov_b32_e32 v5, v17
	s_and_saveexec_b64 s[52:53], s[40:41]
; %bb.4364:                             ;   in Loop: Header=BB4_3496 Depth=3
	v_bfe_u32 v0, v16, 20, 1
	v_add_co_u32_e64 v0, s[40:41], v16, v0
	v_add_co_u32_e64 v4, s[40:41], -1, v0
; %bb.4365:                             ;   in Loop: Header=BB4_3496 Depth=3
	s_or_b64 exec, exec, s[52:53]
	v_add_u32_e32 v0, 0xffffff81, v6
	v_mov_b32_e32 v2, 0xffffff82
	v_cndmask_b32_e32 v0, v0, v2, vcc
	v_lshrrev_b32_e32 v2, 23, v16
	v_add3_u32 v6, v7, v0, v2
	v_add_u32_e32 v5, 6, v6
	v_and_b32_e32 v0, 0xfffff, v4
	v_add_u32_e32 v2, v0, v16
	v_cmp_ne_u32_e32 vcc, 0, v5
                                        ; implicit-def: $vgpr16_vgpr17
                                        ; implicit-def: $vgpr0
	s_and_saveexec_b64 s[40:41], vcc
	s_xor_b64 s[40:41], exec, s[40:41]
; %bb.4366:                             ;   in Loop: Header=BB4_3496 Depth=3
	v_cmp_lt_u64_e32 vcc, s[88:89], v[2:3]
	v_add_u32_e32 v0, 7, v6
	v_cndmask_b32_e64 v4, 0, 1, vcc
	v_lshrrev_b64 v[16:17], v4, v[2:3]
	v_cndmask_b32_e32 v0, v5, v0, vcc
; %bb.4367:                             ;   in Loop: Header=BB4_3496 Depth=3
	s_andn2_saveexec_b64 s[40:41], s[40:41]
; %bb.4368:                             ;   in Loop: Header=BB4_3496 Depth=3
	v_mov_b32_e32 v17, v3
	v_bfe_u32 v0, v2, 23, 1
	v_mov_b32_e32 v16, v2
; %bb.4369:                             ;   in Loop: Header=BB4_3496 Depth=3
	s_or_b64 exec, exec, s[40:41]
	v_lshrrev_b64 v[4:5], 20, v[16:17]
	v_cmp_gt_i32_e32 vcc, 16, v0
	v_cndmask_b32_e32 v5, 0, v5, vcc
	v_cndmask_b32_e32 v4, 7, v4, vcc
	v_cmp_eq_u32_e32 vcc, 0, v0
	v_min_i32_e32 v0, 15, v0
	v_cmp_eq_u64_e64 s[40:41], 0, v[4:5]
	v_lshlrev_b32_e32 v0, 3, v0
	v_and_b32_e32 v0, 0xf8, v0
	v_and_or_b32 v0, v4, 7, v0
	s_and_b64 s[40:41], vcc, s[40:41]
	v_cndmask_b32_e64 v0, v0, 0, s[40:41]
	v_or_b32_e32 v6, v0, v18
.LBB4_4370:                             ;   in Loop: Header=BB4_3496 Depth=3
	s_or_b64 exec, exec, s[50:51]
                                        ; implicit-def: $vgpr18
.LBB4_4371:                             ;   in Loop: Header=BB4_3496 Depth=3
	s_andn2_saveexec_b64 s[40:41], s[48:49]
; %bb.4372:                             ;   in Loop: Header=BB4_3496 Depth=3
	v_or_b32_e32 v6, 0x7e, v18
; %bb.4373:                             ;   in Loop: Header=BB4_3496 Depth=3
	s_or_b64 exec, exec, s[40:41]
                                        ; implicit-def: $vgpr4
.LBB4_4374:                             ;   in Loop: Header=BB4_3496 Depth=3
	s_andn2_saveexec_b64 s[40:41], s[38:39]
; %bb.4375:                             ;   in Loop: Header=BB4_3496 Depth=3
	v_or_b32_sdwa v6, v4, s81 dst_sel:DWORD dst_unused:UNUSED_PAD src0_sel:BYTE_3 src1_sel:DWORD
; %bb.4376:                             ;   in Loop: Header=BB4_3496 Depth=3
	s_or_b64 exec, exec, s[40:41]
	v_mov_b32_e32 v2, v13
	v_mov_b32_e32 v16, v9
	;; [unrolled: 1-line block ×3, first 2 shown]
	v_cmp_ne_u16_sdwa s[40:41], v13, v3 src0_sel:BYTE_0 src1_sel:DWORD
	s_and_b64 vcc, exec, s[28:29]
	s_mov_b64 s[38:39], -1
                                        ; implicit-def: $vgpr4
	s_cbranch_vccnz .LBB4_4390
; %bb.4377:                             ;   in Loop: Header=BB4_3496 Depth=3
	v_mov_b32_e32 v5, 0
	v_mov_b32_e32 v4, 0
	s_and_saveexec_b64 s[38:39], s[40:41]
	s_cbranch_execz .LBB4_4383
; %bb.4378:                             ;   in Loop: Header=BB4_3496 Depth=3
	v_cmp_ne_u16_sdwa vcc, v13, s80 src0_sel:BYTE_0 src1_sel:DWORD
	v_bfrev_b32_e32 v4, 1
	s_and_saveexec_b64 s[48:49], vcc
	s_cbranch_execz .LBB4_4382
; %bb.4379:                             ;   in Loop: Header=BB4_3496 Depth=3
	v_and_b32_e32 v0, 0x7f, v13
	v_cmp_ne_u32_e32 vcc, s81, v0
	v_mov_b32_e32 v4, 0x7f800001
	s_and_saveexec_b64 s[50:51], vcc
	s_cbranch_execz .LBB4_4381
; %bb.4380:                             ;   in Loop: Header=BB4_3496 Depth=3
	v_and_b32_e32 v4, 7, v13
	v_lshrrev_b32_e32 v7, 3, v0
	v_cmp_gt_u32_e32 vcc, 8, v0
	v_ffbh_u32_e32 v0, v4
	v_min_u32_e32 v0, 32, v0
	v_subrev_u32_e32 v4, 28, v0
	v_cndmask_b32_e32 v4, 0, v4, vcc
	v_lshlrev_b64 v[42:43], v4, v[2:3]
	v_sub_u32_e32 v0, 29, v0
	v_cndmask_b32_e32 v0, v7, v0, vcc
	v_lshlrev_b32_e32 v4, 20, v42
	v_lshlrev_b32_e32 v7, 24, v2
	v_and_b32_e32 v4, 0x700000, v4
	v_and_b32_e32 v7, 0x80000000, v7
	v_lshl_add_u32 v0, v0, 23, v54
	v_or3_b32 v4, v7, v0, v4
.LBB4_4381:                             ;   in Loop: Header=BB4_3496 Depth=3
	s_or_b64 exec, exec, s[50:51]
.LBB4_4382:                             ;   in Loop: Header=BB4_3496 Depth=3
	s_or_b64 exec, exec, s[48:49]
.LBB4_4383:                             ;   in Loop: Header=BB4_3496 Depth=3
	s_or_b64 exec, exec, s[38:39]
	v_cmp_ne_u16_sdwa vcc, v9, v3 src0_sel:BYTE_0 src1_sel:DWORD
	s_and_saveexec_b64 s[38:39], vcc
	s_cbranch_execz .LBB4_4389
; %bb.4384:                             ;   in Loop: Header=BB4_3496 Depth=3
	v_cmp_ne_u16_sdwa vcc, v9, s80 src0_sel:BYTE_0 src1_sel:DWORD
	v_bfrev_b32_e32 v5, 1
	s_and_saveexec_b64 s[48:49], vcc
	s_cbranch_execz .LBB4_4388
; %bb.4385:                             ;   in Loop: Header=BB4_3496 Depth=3
	v_and_b32_e32 v0, 0x7f, v9
	v_cmp_ne_u32_e32 vcc, s81, v0
	v_mov_b32_e32 v5, 0x7f800001
	s_and_saveexec_b64 s[50:51], vcc
	s_cbranch_execz .LBB4_4387
; %bb.4386:                             ;   in Loop: Header=BB4_3496 Depth=3
	v_and_b32_e32 v5, 7, v9
	v_lshrrev_b32_e32 v7, 3, v0
	v_cmp_gt_u32_e32 vcc, 8, v0
	v_ffbh_u32_e32 v0, v5
	v_min_u32_e32 v0, 32, v0
	v_subrev_u32_e32 v5, 28, v0
	v_cndmask_b32_e32 v5, 0, v5, vcc
	v_lshlrev_b64 v[42:43], v5, v[16:17]
	v_sub_u32_e32 v0, 29, v0
	v_cndmask_b32_e32 v0, v7, v0, vcc
	v_lshlrev_b32_e32 v5, 20, v42
	v_lshlrev_b32_e32 v7, 24, v16
	v_and_b32_e32 v5, 0x700000, v5
	v_and_b32_e32 v7, 0x80000000, v7
	v_lshl_add_u32 v0, v0, 23, v54
	v_or3_b32 v5, v7, v0, v5
.LBB4_4387:                             ;   in Loop: Header=BB4_3496 Depth=3
	s_or_b64 exec, exec, s[50:51]
.LBB4_4388:                             ;   in Loop: Header=BB4_3496 Depth=3
	s_or_b64 exec, exec, s[48:49]
.LBB4_4389:                             ;   in Loop: Header=BB4_3496 Depth=3
	s_or_b64 exec, exec, s[38:39]
	v_max_f32_e32 v0, v5, v5
	v_max_f32_e32 v4, v4, v4
	;; [unrolled: 1-line block ×3, first 2 shown]
	s_mov_b64 s[38:39], 0
.LBB4_4390:                             ;   in Loop: Header=BB4_3496 Depth=3
	s_and_b64 vcc, exec, s[38:39]
	s_cbranch_vccz .LBB4_4404
; %bb.4391:                             ;   in Loop: Header=BB4_3496 Depth=3
	v_mov_b32_e32 v5, 0
	v_mov_b32_e32 v4, 0
	s_and_saveexec_b64 s[38:39], s[40:41]
	s_cbranch_execz .LBB4_4397
; %bb.4392:                             ;   in Loop: Header=BB4_3496 Depth=3
	v_cmp_ne_u16_sdwa vcc, v13, s80 src0_sel:BYTE_0 src1_sel:DWORD
	v_bfrev_b32_e32 v4, 1
	s_and_saveexec_b64 s[40:41], vcc
	s_cbranch_execz .LBB4_4396
; %bb.4393:                             ;   in Loop: Header=BB4_3496 Depth=3
	v_and_b32_e32 v0, 0x7f, v13
	v_cmp_ne_u32_e32 vcc, s81, v0
	v_mov_b32_e32 v4, 0x7f800001
	s_and_saveexec_b64 s[48:49], vcc
	s_cbranch_execz .LBB4_4395
; %bb.4394:                             ;   in Loop: Header=BB4_3496 Depth=3
	v_and_b32_e32 v4, 7, v13
	v_lshrrev_b32_e32 v7, 3, v0
	v_cmp_gt_u32_e32 vcc, 8, v0
	v_ffbh_u32_e32 v0, v4
	v_min_u32_e32 v0, 32, v0
	v_subrev_u32_e32 v4, 28, v0
	v_cndmask_b32_e32 v4, 0, v4, vcc
	v_lshlrev_b64 v[42:43], v4, v[2:3]
	v_sub_u32_e32 v0, 29, v0
	v_cndmask_b32_e32 v0, v7, v0, vcc
	v_lshlrev_b32_e32 v4, 20, v42
	v_lshlrev_b32_e32 v7, 24, v2
	v_and_b32_e32 v4, 0x700000, v4
	v_and_b32_e32 v7, 0x80000000, v7
	v_lshl_add_u32 v0, v0, 23, v54
	v_or3_b32 v4, v7, v0, v4
.LBB4_4395:                             ;   in Loop: Header=BB4_3496 Depth=3
	s_or_b64 exec, exec, s[48:49]
.LBB4_4396:                             ;   in Loop: Header=BB4_3496 Depth=3
	s_or_b64 exec, exec, s[40:41]
.LBB4_4397:                             ;   in Loop: Header=BB4_3496 Depth=3
	s_or_b64 exec, exec, s[38:39]
	v_cmp_ne_u16_sdwa vcc, v9, v3 src0_sel:BYTE_0 src1_sel:DWORD
	s_and_saveexec_b64 s[40:41], vcc
	s_cbranch_execz .LBB4_4403
; %bb.4398:                             ;   in Loop: Header=BB4_3496 Depth=3
	v_cmp_ne_u16_sdwa vcc, v9, s80 src0_sel:BYTE_0 src1_sel:DWORD
	v_bfrev_b32_e32 v5, 1
	s_and_saveexec_b64 s[38:39], vcc
	s_cbranch_execz .LBB4_4402
; %bb.4399:                             ;   in Loop: Header=BB4_3496 Depth=3
	v_and_b32_e32 v0, 0x7f, v9
	v_cmp_ne_u32_e32 vcc, s81, v0
	v_mov_b32_e32 v5, 0x7f800001
	s_and_saveexec_b64 s[48:49], vcc
	s_cbranch_execz .LBB4_4401
; %bb.4400:                             ;   in Loop: Header=BB4_3496 Depth=3
	v_and_b32_e32 v5, 7, v9
	v_lshrrev_b32_e32 v7, 3, v0
	v_cmp_gt_u32_e32 vcc, 8, v0
	v_ffbh_u32_e32 v0, v5
	v_min_u32_e32 v0, 32, v0
	v_subrev_u32_e32 v5, 28, v0
	v_cndmask_b32_e32 v5, 0, v5, vcc
	v_lshlrev_b64 v[17:18], v5, v[16:17]
	v_sub_u32_e32 v0, 29, v0
	v_cndmask_b32_e32 v0, v7, v0, vcc
	v_lshlrev_b32_e32 v5, 20, v17
	v_lshlrev_b32_e32 v7, 24, v16
	v_and_b32_e32 v5, 0x700000, v5
	v_and_b32_e32 v7, 0x80000000, v7
	v_lshl_add_u32 v0, v0, 23, v54
	v_or3_b32 v5, v7, v0, v5
.LBB4_4401:                             ;   in Loop: Header=BB4_3496 Depth=3
	s_or_b64 exec, exec, s[48:49]
.LBB4_4402:                             ;   in Loop: Header=BB4_3496 Depth=3
	s_or_b64 exec, exec, s[38:39]
.LBB4_4403:                             ;   in Loop: Header=BB4_3496 Depth=3
	s_or_b64 exec, exec, s[40:41]
	v_max_f32_e32 v0, v5, v5
	v_max_f32_e32 v4, v4, v4
	v_min_f32_e32 v4, v4, v0
.LBB4_4404:                             ;   in Loop: Header=BB4_3496 Depth=3
	v_and_b32_e32 v17, 0x7f800000, v4
	v_mov_b32_e32 v18, v3
	v_cmp_ne_u64_e32 vcc, s[76:77], v[17:18]
                                        ; implicit-def: $vgpr58
	s_and_saveexec_b64 s[40:41], vcc
	s_xor_b64 s[38:39], exec, s[40:41]
	s_cbranch_execz .LBB4_4418
; %bb.4405:                             ;   in Loop: Header=BB4_3496 Depth=3
	v_and_b32_e32 v17, 0x7fffffff, v4
	v_mov_b32_e32 v18, v3
	v_cmp_gt_u64_e32 vcc, s[78:79], v[17:18]
	v_and_b32_sdwa v55, v4, s80 dst_sel:DWORD dst_unused:UNUSED_PAD src0_sel:BYTE_3 src1_sel:DWORD
                                        ; implicit-def: $vgpr58
	s_and_saveexec_b64 s[40:41], vcc
	s_xor_b64 s[48:49], exec, s[40:41]
	s_cbranch_execz .LBB4_4415
; %bb.4406:                             ;   in Loop: Header=BB4_3496 Depth=3
	v_mov_b32_e32 v58, 0
	v_cmp_ne_u32_e32 vcc, 0, v4
	s_and_saveexec_b64 s[50:51], vcc
	s_cbranch_execz .LBB4_4414
; %bb.4407:                             ;   in Loop: Header=BB4_3496 Depth=3
	v_bfe_u32 v7, v4, 23, 8
	v_and_b32_e32 v0, 0x7fffff, v4
	v_cmp_gt_u32_e64 s[40:41], s83, v7
	v_sub_u32_e32 v4, 0x79, v7
	v_cmp_eq_u32_e32 vcc, 0, v7
	v_cndmask_b32_e64 v4, 0, v4, s[40:41]
	v_mov_b32_e32 v17, 0x78
	v_or_b32_e32 v5, 0x800000, v0
	v_cndmask_b32_e32 v42, v4, v17, vcc
	v_cndmask_b32_e32 v4, v5, v0, vcc
	v_add_u32_e32 v0, 20, v42
	v_lshlrev_b64 v[17:18], v0, -1
	v_add_u32_e32 v0, 19, v42
	v_lshlrev_b64 v[43:44], v0, 1
	v_mov_b32_e32 v5, v3
	v_bfi_b32 v18, v18, 0, 0
	v_bfi_b32 v17, v17, 0, v4
	v_cmp_eq_u64_e64 s[40:41], v[17:18], v[43:44]
	v_lshrrev_b64 v[17:18], v42, v[4:5]
	v_mov_b32_e32 v4, v17
	v_mov_b32_e32 v5, v18
	s_and_saveexec_b64 s[52:53], s[40:41]
; %bb.4408:                             ;   in Loop: Header=BB4_3496 Depth=3
	v_bfe_u32 v0, v17, 20, 1
	v_add_co_u32_e64 v0, s[40:41], v17, v0
	v_add_co_u32_e64 v4, s[40:41], -1, v0
; %bb.4409:                             ;   in Loop: Header=BB4_3496 Depth=3
	s_or_b64 exec, exec, s[52:53]
	v_add_u32_e32 v0, 0xffffff81, v7
	v_mov_b32_e32 v5, 0xffffff82
	v_cndmask_b32_e32 v0, v0, v5, vcc
	v_lshrrev_b32_e32 v5, 23, v17
	v_add3_u32 v7, v42, v0, v5
	v_add_u32_e32 v5, 6, v7
	v_and_b32_e32 v0, 0xfffff, v4
	v_add_u32_e32 v17, v0, v17
	v_mov_b32_e32 v18, v3
	v_cmp_ne_u32_e32 vcc, 0, v5
                                        ; implicit-def: $vgpr0
	s_and_saveexec_b64 s[40:41], vcc
	s_xor_b64 s[40:41], exec, s[40:41]
; %bb.4410:                             ;   in Loop: Header=BB4_3496 Depth=3
	v_cmp_lt_u64_e32 vcc, s[88:89], v[17:18]
	v_add_u32_e32 v0, 7, v7
	v_cndmask_b32_e64 v4, 0, 1, vcc
	v_lshrrev_b64 v[17:18], v4, v[17:18]
	v_cndmask_b32_e32 v0, v5, v0, vcc
; %bb.4411:                             ;   in Loop: Header=BB4_3496 Depth=3
	s_andn2_saveexec_b64 s[40:41], s[40:41]
; %bb.4412:                             ;   in Loop: Header=BB4_3496 Depth=3
	v_bfe_u32 v0, v17, 23, 1
; %bb.4413:                             ;   in Loop: Header=BB4_3496 Depth=3
	s_or_b64 exec, exec, s[40:41]
	v_lshrrev_b64 v[4:5], 20, v[17:18]
	v_cmp_gt_i32_e32 vcc, 16, v0
	v_cndmask_b32_e32 v5, 0, v5, vcc
	v_cndmask_b32_e32 v4, 7, v4, vcc
	v_cmp_eq_u32_e32 vcc, 0, v0
	v_min_i32_e32 v0, 15, v0
	v_cmp_eq_u64_e64 s[40:41], 0, v[4:5]
	v_lshlrev_b32_e32 v0, 3, v0
	v_and_b32_e32 v0, 0xf8, v0
	v_and_or_b32 v0, v4, 7, v0
	s_and_b64 s[40:41], vcc, s[40:41]
	v_cndmask_b32_e64 v0, v0, 0, s[40:41]
	v_or_b32_e32 v58, v0, v55
.LBB4_4414:                             ;   in Loop: Header=BB4_3496 Depth=3
	s_or_b64 exec, exec, s[50:51]
                                        ; implicit-def: $vgpr55
.LBB4_4415:                             ;   in Loop: Header=BB4_3496 Depth=3
	s_andn2_saveexec_b64 s[40:41], s[48:49]
; %bb.4416:                             ;   in Loop: Header=BB4_3496 Depth=3
	v_or_b32_e32 v58, 0x7e, v55
; %bb.4417:                             ;   in Loop: Header=BB4_3496 Depth=3
	s_or_b64 exec, exec, s[40:41]
                                        ; implicit-def: $vgpr4
.LBB4_4418:                             ;   in Loop: Header=BB4_3496 Depth=3
	s_andn2_saveexec_b64 s[40:41], s[38:39]
; %bb.4419:                             ;   in Loop: Header=BB4_3496 Depth=3
	v_or_b32_sdwa v58, v4, s81 dst_sel:DWORD dst_unused:UNUSED_PAD src0_sel:BYTE_3 src1_sel:DWORD
; %bb.4420:                             ;   in Loop: Header=BB4_3496 Depth=3
	s_or_b64 exec, exec, s[40:41]
	v_lshrrev_b16_e32 v18, 8, v2
	v_lshrrev_b16_e32 v17, 8, v16
	v_cmp_ne_u16_e64 s[40:41], 0, v18
	s_and_b64 vcc, exec, s[28:29]
	s_mov_b64 s[38:39], -1
                                        ; implicit-def: $vgpr4
	s_cbranch_vccnz .LBB4_4434
; %bb.4421:                             ;   in Loop: Header=BB4_3496 Depth=3
	v_mov_b32_e32 v5, 0
	v_mov_b32_e32 v4, 0
	s_and_saveexec_b64 s[38:39], s[40:41]
	s_cbranch_execz .LBB4_4427
; %bb.4422:                             ;   in Loop: Header=BB4_3496 Depth=3
	v_cmp_ne_u16_e32 vcc, s80, v18
	v_bfrev_b32_e32 v4, 1
	s_and_saveexec_b64 s[48:49], vcc
	s_cbranch_execz .LBB4_4426
; %bb.4423:                             ;   in Loop: Header=BB4_3496 Depth=3
	v_and_b32_e32 v0, 0x7f, v18
	v_cmp_ne_u32_e32 vcc, s81, v0
	v_mov_b32_e32 v4, 0x7f800001
	s_and_saveexec_b64 s[50:51], vcc
	s_cbranch_execz .LBB4_4425
; %bb.4424:                             ;   in Loop: Header=BB4_3496 Depth=3
	v_and_b32_e32 v4, 7, v18
	v_lshrrev_b32_e32 v7, 3, v0
	v_cmp_gt_u32_e32 vcc, 8, v0
	v_ffbh_u32_e32 v0, v4
	v_min_u32_e32 v0, 32, v0
	v_subrev_u32_e32 v37, 28, v0
	v_lshlrev_b64 v[42:43], v37, v[18:19]
	v_sub_u32_e32 v0, 29, v0
	v_and_b32_e32 v37, 7, v42
	v_cndmask_b32_e32 v0, v7, v0, vcc
	v_cndmask_b32_e32 v4, v4, v37, vcc
	v_lshlrev_b32_e32 v7, 16, v2
	v_lshlrev_b32_e32 v4, 20, v4
	v_and_b32_e32 v7, 0x80000000, v7
	v_lshl_add_u32 v0, v0, 23, v54
	v_or3_b32 v4, v7, v0, v4
.LBB4_4425:                             ;   in Loop: Header=BB4_3496 Depth=3
	s_or_b64 exec, exec, s[50:51]
.LBB4_4426:                             ;   in Loop: Header=BB4_3496 Depth=3
	s_or_b64 exec, exec, s[48:49]
.LBB4_4427:                             ;   in Loop: Header=BB4_3496 Depth=3
	s_or_b64 exec, exec, s[38:39]
	v_cmp_ne_u16_e32 vcc, 0, v17
	s_and_saveexec_b64 s[38:39], vcc
	s_cbranch_execz .LBB4_4433
; %bb.4428:                             ;   in Loop: Header=BB4_3496 Depth=3
	v_cmp_ne_u16_e32 vcc, s80, v17
	v_bfrev_b32_e32 v5, 1
	s_and_saveexec_b64 s[48:49], vcc
	s_cbranch_execz .LBB4_4432
; %bb.4429:                             ;   in Loop: Header=BB4_3496 Depth=3
	v_and_b32_e32 v0, 0x7f, v17
	v_cmp_ne_u32_e32 vcc, s81, v0
	v_mov_b32_e32 v5, 0x7f800001
	s_and_saveexec_b64 s[50:51], vcc
	s_cbranch_execz .LBB4_4431
; %bb.4430:                             ;   in Loop: Header=BB4_3496 Depth=3
	v_and_b32_e32 v5, 7, v17
	v_lshrrev_b32_e32 v7, 3, v0
	v_cmp_gt_u32_e32 vcc, 8, v0
	v_ffbh_u32_e32 v0, v5
	v_min_u32_e32 v0, 32, v0
	v_subrev_u32_e32 v37, 28, v0
	v_lshlrev_b64 v[42:43], v37, v[17:18]
	v_sub_u32_e32 v0, 29, v0
	v_and_b32_e32 v37, 7, v42
	v_cndmask_b32_e32 v0, v7, v0, vcc
	v_cndmask_b32_e32 v5, v5, v37, vcc
	v_lshlrev_b32_e32 v7, 16, v16
	v_lshlrev_b32_e32 v5, 20, v5
	v_and_b32_e32 v7, 0x80000000, v7
	v_lshl_add_u32 v0, v0, 23, v54
	v_or3_b32 v5, v7, v0, v5
.LBB4_4431:                             ;   in Loop: Header=BB4_3496 Depth=3
	s_or_b64 exec, exec, s[50:51]
.LBB4_4432:                             ;   in Loop: Header=BB4_3496 Depth=3
	s_or_b64 exec, exec, s[48:49]
.LBB4_4433:                             ;   in Loop: Header=BB4_3496 Depth=3
	s_or_b64 exec, exec, s[38:39]
	v_max_f32_e32 v0, v5, v5
	v_max_f32_e32 v4, v4, v4
	v_max_f32_e32 v4, v4, v0
	s_mov_b64 s[38:39], 0
.LBB4_4434:                             ;   in Loop: Header=BB4_3496 Depth=3
	s_and_b64 vcc, exec, s[38:39]
	s_cbranch_vccz .LBB4_4448
; %bb.4435:                             ;   in Loop: Header=BB4_3496 Depth=3
	v_mov_b32_e32 v5, 0
	v_mov_b32_e32 v4, 0
	s_and_saveexec_b64 s[38:39], s[40:41]
	s_cbranch_execz .LBB4_4441
; %bb.4436:                             ;   in Loop: Header=BB4_3496 Depth=3
	v_cmp_ne_u16_e32 vcc, s80, v18
	v_bfrev_b32_e32 v4, 1
	s_and_saveexec_b64 s[40:41], vcc
	s_cbranch_execz .LBB4_4440
; %bb.4437:                             ;   in Loop: Header=BB4_3496 Depth=3
	v_and_b32_e32 v0, 0x7f, v18
	v_cmp_ne_u32_e32 vcc, s81, v0
	v_mov_b32_e32 v4, 0x7f800001
	s_and_saveexec_b64 s[48:49], vcc
	s_cbranch_execz .LBB4_4439
; %bb.4438:                             ;   in Loop: Header=BB4_3496 Depth=3
	v_and_b32_e32 v4, 7, v18
	v_lshrrev_b32_e32 v7, 3, v0
	v_cmp_gt_u32_e32 vcc, 8, v0
	v_ffbh_u32_e32 v0, v4
	v_min_u32_e32 v0, 32, v0
	v_subrev_u32_e32 v37, 28, v0
	v_lshlrev_b64 v[42:43], v37, v[18:19]
	v_sub_u32_e32 v0, 29, v0
	v_and_b32_e32 v18, 7, v42
	v_cndmask_b32_e32 v0, v7, v0, vcc
	v_cndmask_b32_e32 v4, v4, v18, vcc
	v_lshlrev_b32_e32 v2, 16, v2
	v_lshlrev_b32_e32 v4, 20, v4
	v_and_b32_e32 v2, 0x80000000, v2
	v_lshl_add_u32 v0, v0, 23, v54
	v_or3_b32 v4, v2, v0, v4
.LBB4_4439:                             ;   in Loop: Header=BB4_3496 Depth=3
	s_or_b64 exec, exec, s[48:49]
.LBB4_4440:                             ;   in Loop: Header=BB4_3496 Depth=3
	s_or_b64 exec, exec, s[40:41]
.LBB4_4441:                             ;   in Loop: Header=BB4_3496 Depth=3
	s_or_b64 exec, exec, s[38:39]
	v_cmp_ne_u16_e32 vcc, 0, v17
	s_and_saveexec_b64 s[40:41], vcc
	s_cbranch_execz .LBB4_4447
; %bb.4442:                             ;   in Loop: Header=BB4_3496 Depth=3
	v_cmp_ne_u16_e32 vcc, s80, v17
	v_bfrev_b32_e32 v5, 1
	s_and_saveexec_b64 s[38:39], vcc
	s_cbranch_execz .LBB4_4446
; %bb.4443:                             ;   in Loop: Header=BB4_3496 Depth=3
	v_and_b32_e32 v0, 0x7f, v17
	v_cmp_ne_u32_e32 vcc, s81, v0
	v_mov_b32_e32 v5, 0x7f800001
	s_and_saveexec_b64 s[48:49], vcc
	s_cbranch_execz .LBB4_4445
; %bb.4444:                             ;   in Loop: Header=BB4_3496 Depth=3
	v_and_b32_e32 v2, 7, v17
	v_lshrrev_b32_e32 v5, 3, v0
	v_cmp_gt_u32_e32 vcc, 8, v0
	v_ffbh_u32_e32 v0, v2
	v_min_u32_e32 v0, 32, v0
	v_subrev_u32_e32 v7, 28, v0
	v_lshlrev_b64 v[17:18], v7, v[17:18]
	v_sub_u32_e32 v0, 29, v0
	v_and_b32_e32 v7, 7, v17
	v_cndmask_b32_e32 v0, v5, v0, vcc
	v_cndmask_b32_e32 v2, v2, v7, vcc
	v_lshlrev_b32_e32 v5, 16, v16
	v_lshlrev_b32_e32 v2, 20, v2
	v_and_b32_e32 v5, 0x80000000, v5
	v_lshl_add_u32 v0, v0, 23, v54
	v_or3_b32 v5, v5, v0, v2
.LBB4_4445:                             ;   in Loop: Header=BB4_3496 Depth=3
	s_or_b64 exec, exec, s[48:49]
.LBB4_4446:                             ;   in Loop: Header=BB4_3496 Depth=3
	s_or_b64 exec, exec, s[38:39]
.LBB4_4447:                             ;   in Loop: Header=BB4_3496 Depth=3
	s_or_b64 exec, exec, s[40:41]
	v_max_f32_e32 v0, v5, v5
	v_max_f32_e32 v2, v4, v4
	v_min_f32_e32 v4, v2, v0
.LBB4_4448:                             ;   in Loop: Header=BB4_3496 Depth=3
	v_and_b32_e32 v2, 0x7f800000, v4
	v_cmp_ne_u64_e32 vcc, s[76:77], v[2:3]
                                        ; implicit-def: $vgpr18
	s_and_saveexec_b64 s[40:41], vcc
	s_xor_b64 s[38:39], exec, s[40:41]
	s_cbranch_execz .LBB4_4462
; %bb.4449:                             ;   in Loop: Header=BB4_3496 Depth=3
	v_and_b32_e32 v2, 0x7fffffff, v4
	v_cmp_gt_u64_e32 vcc, s[78:79], v[2:3]
	v_and_b32_sdwa v55, v4, s80 dst_sel:DWORD dst_unused:UNUSED_PAD src0_sel:BYTE_3 src1_sel:DWORD
                                        ; implicit-def: $vgpr18
	s_and_saveexec_b64 s[40:41], vcc
	s_xor_b64 s[48:49], exec, s[40:41]
	s_cbranch_execz .LBB4_4459
; %bb.4450:                             ;   in Loop: Header=BB4_3496 Depth=3
	v_mov_b32_e32 v18, 0
	v_cmp_ne_u32_e32 vcc, 0, v4
	s_and_saveexec_b64 s[50:51], vcc
	s_cbranch_execz .LBB4_4458
; %bb.4451:                             ;   in Loop: Header=BB4_3496 Depth=3
	v_bfe_u32 v7, v4, 23, 8
	v_cmp_gt_u32_e64 s[40:41], s83, v7
	v_sub_u32_e32 v2, 0x79, v7
	v_and_b32_e32 v0, 0x7fffff, v4
	v_cmp_eq_u32_e32 vcc, 0, v7
	v_cndmask_b32_e64 v2, 0, v2, s[40:41]
	v_mov_b32_e32 v5, 0x78
	v_or_b32_e32 v4, 0x800000, v0
	v_cndmask_b32_e32 v18, v2, v5, vcc
	v_cndmask_b32_e32 v2, v4, v0, vcc
	v_add_u32_e32 v0, 20, v18
	v_lshlrev_b64 v[4:5], v0, -1
	v_add_u32_e32 v0, 19, v18
	v_lshlrev_b64 v[16:17], v0, 1
	v_bfi_b32 v5, v5, 0, 0
	v_bfi_b32 v4, v4, 0, v2
	v_cmp_eq_u64_e64 s[40:41], v[4:5], v[16:17]
	v_lshrrev_b64 v[16:17], v18, v[2:3]
	v_mov_b32_e32 v4, v16
	v_mov_b32_e32 v5, v17
	s_and_saveexec_b64 s[52:53], s[40:41]
; %bb.4452:                             ;   in Loop: Header=BB4_3496 Depth=3
	v_bfe_u32 v0, v16, 20, 1
	v_add_co_u32_e64 v0, s[40:41], v16, v0
	v_add_co_u32_e64 v4, s[40:41], -1, v0
; %bb.4453:                             ;   in Loop: Header=BB4_3496 Depth=3
	s_or_b64 exec, exec, s[52:53]
	v_add_u32_e32 v0, 0xffffff81, v7
	v_mov_b32_e32 v2, 0xffffff82
	v_cndmask_b32_e32 v0, v0, v2, vcc
	v_lshrrev_b32_e32 v2, 23, v16
	v_add3_u32 v7, v18, v0, v2
	v_add_u32_e32 v5, 6, v7
	v_and_b32_e32 v0, 0xfffff, v4
	v_add_u32_e32 v2, v0, v16
	v_cmp_ne_u32_e32 vcc, 0, v5
                                        ; implicit-def: $vgpr16_vgpr17
                                        ; implicit-def: $vgpr0
	s_and_saveexec_b64 s[40:41], vcc
	s_xor_b64 s[40:41], exec, s[40:41]
; %bb.4454:                             ;   in Loop: Header=BB4_3496 Depth=3
	v_cmp_lt_u64_e32 vcc, s[88:89], v[2:3]
	v_add_u32_e32 v0, 7, v7
	v_cndmask_b32_e64 v4, 0, 1, vcc
	v_lshrrev_b64 v[16:17], v4, v[2:3]
	v_cndmask_b32_e32 v0, v5, v0, vcc
; %bb.4455:                             ;   in Loop: Header=BB4_3496 Depth=3
	s_andn2_saveexec_b64 s[40:41], s[40:41]
; %bb.4456:                             ;   in Loop: Header=BB4_3496 Depth=3
	v_mov_b32_e32 v17, v3
	v_bfe_u32 v0, v2, 23, 1
	v_mov_b32_e32 v16, v2
; %bb.4457:                             ;   in Loop: Header=BB4_3496 Depth=3
	s_or_b64 exec, exec, s[40:41]
	v_lshrrev_b64 v[4:5], 20, v[16:17]
	v_cmp_gt_i32_e32 vcc, 16, v0
	v_cndmask_b32_e32 v5, 0, v5, vcc
	v_cndmask_b32_e32 v4, 7, v4, vcc
	v_cmp_eq_u32_e32 vcc, 0, v0
	v_min_i32_e32 v0, 15, v0
	v_cmp_eq_u64_e64 s[40:41], 0, v[4:5]
	v_lshlrev_b32_e32 v0, 3, v0
	v_and_b32_e32 v0, 0xf8, v0
	v_and_or_b32 v0, v4, 7, v0
	s_and_b64 s[40:41], vcc, s[40:41]
	v_cndmask_b32_e64 v0, v0, 0, s[40:41]
	v_or_b32_e32 v18, v0, v55
.LBB4_4458:                             ;   in Loop: Header=BB4_3496 Depth=3
	s_or_b64 exec, exec, s[50:51]
                                        ; implicit-def: $vgpr55
.LBB4_4459:                             ;   in Loop: Header=BB4_3496 Depth=3
	s_andn2_saveexec_b64 s[40:41], s[48:49]
; %bb.4460:                             ;   in Loop: Header=BB4_3496 Depth=3
	v_or_b32_e32 v18, 0x7e, v55
; %bb.4461:                             ;   in Loop: Header=BB4_3496 Depth=3
	s_or_b64 exec, exec, s[40:41]
                                        ; implicit-def: $vgpr4
.LBB4_4462:                             ;   in Loop: Header=BB4_3496 Depth=3
	s_andn2_saveexec_b64 s[40:41], s[38:39]
; %bb.4463:                             ;   in Loop: Header=BB4_3496 Depth=3
	v_or_b32_sdwa v18, v4, s81 dst_sel:DWORD dst_unused:UNUSED_PAD src0_sel:BYTE_3 src1_sel:DWORD
; %bb.4464:                             ;   in Loop: Header=BB4_3496 Depth=3
	s_or_b64 exec, exec, s[40:41]
	v_lshrrev_b32_e32 v16, 16, v13
	v_lshrrev_b32_e32 v2, 16, v9
	v_cmp_ne_u16_sdwa s[40:41], v16, v3 src0_sel:BYTE_0 src1_sel:DWORD
	s_and_b64 vcc, exec, s[28:29]
	s_mov_b64 s[38:39], -1
                                        ; implicit-def: $vgpr4
	s_cbranch_vccnz .LBB4_4478
; %bb.4465:                             ;   in Loop: Header=BB4_3496 Depth=3
	v_mov_b32_e32 v5, 0
	v_mov_b32_e32 v4, 0
	s_and_saveexec_b64 s[38:39], s[40:41]
	s_cbranch_execz .LBB4_4471
; %bb.4466:                             ;   in Loop: Header=BB4_3496 Depth=3
	v_cmp_ne_u16_sdwa vcc, v16, s80 src0_sel:BYTE_0 src1_sel:DWORD
	v_bfrev_b32_e32 v4, 1
	s_and_saveexec_b64 s[48:49], vcc
	s_cbranch_execz .LBB4_4470
; %bb.4467:                             ;   in Loop: Header=BB4_3496 Depth=3
	v_bfe_u32 v0, v13, 16, 7
	v_cmp_ne_u32_e32 vcc, s81, v0
	v_mov_b32_e32 v4, 0x7f800001
	s_and_saveexec_b64 s[50:51], vcc
	s_cbranch_execz .LBB4_4469
; %bb.4468:                             ;   in Loop: Header=BB4_3496 Depth=3
	v_and_b32_e32 v4, 7, v16
	v_lshrrev_b32_e32 v7, 3, v0
	v_cmp_gt_u32_e32 vcc, 8, v0
	v_ffbh_u32_e32 v0, v4
	v_min_u32_e32 v0, 32, v0
	v_subrev_u32_e32 v17, 28, v0
	v_lshlrev_b64 v[42:43], v17, v[16:17]
	v_sub_u32_e32 v0, 29, v0
	v_and_b32_e32 v17, 7, v42
	v_cndmask_b32_e32 v0, v7, v0, vcc
	v_cndmask_b32_e32 v4, v4, v17, vcc
	v_lshlrev_b32_e32 v7, 24, v16
	v_lshlrev_b32_e32 v4, 20, v4
	v_and_b32_e32 v7, 0x80000000, v7
	v_lshl_add_u32 v0, v0, 23, v54
	v_or3_b32 v4, v7, v0, v4
.LBB4_4469:                             ;   in Loop: Header=BB4_3496 Depth=3
	s_or_b64 exec, exec, s[50:51]
.LBB4_4470:                             ;   in Loop: Header=BB4_3496 Depth=3
	s_or_b64 exec, exec, s[48:49]
.LBB4_4471:                             ;   in Loop: Header=BB4_3496 Depth=3
	s_or_b64 exec, exec, s[38:39]
	v_cmp_ne_u16_sdwa vcc, v2, v3 src0_sel:BYTE_0 src1_sel:DWORD
	s_and_saveexec_b64 s[38:39], vcc
	s_cbranch_execz .LBB4_4477
; %bb.4472:                             ;   in Loop: Header=BB4_3496 Depth=3
	v_cmp_ne_u16_sdwa vcc, v2, s80 src0_sel:BYTE_0 src1_sel:DWORD
	v_bfrev_b32_e32 v5, 1
	s_and_saveexec_b64 s[48:49], vcc
	s_cbranch_execz .LBB4_4476
; %bb.4473:                             ;   in Loop: Header=BB4_3496 Depth=3
	v_bfe_u32 v0, v9, 16, 7
	v_cmp_ne_u32_e32 vcc, s81, v0
	v_mov_b32_e32 v5, 0x7f800001
	s_and_saveexec_b64 s[50:51], vcc
	s_cbranch_execz .LBB4_4475
; %bb.4474:                             ;   in Loop: Header=BB4_3496 Depth=3
	v_and_b32_e32 v5, 7, v2
	v_lshrrev_b32_e32 v7, 3, v0
	v_cmp_gt_u32_e32 vcc, 8, v0
	v_ffbh_u32_e32 v0, v5
	v_min_u32_e32 v0, 32, v0
	v_subrev_u32_e32 v17, 28, v0
	v_lshlrev_b64 v[42:43], v17, v[2:3]
	v_sub_u32_e32 v0, 29, v0
	v_and_b32_e32 v17, 7, v42
	v_cndmask_b32_e32 v0, v7, v0, vcc
	v_cndmask_b32_e32 v5, v5, v17, vcc
	v_lshlrev_b32_e32 v7, 24, v2
	v_lshlrev_b32_e32 v5, 20, v5
	v_and_b32_e32 v7, 0x80000000, v7
	v_lshl_add_u32 v0, v0, 23, v54
	v_or3_b32 v5, v7, v0, v5
.LBB4_4475:                             ;   in Loop: Header=BB4_3496 Depth=3
	s_or_b64 exec, exec, s[50:51]
.LBB4_4476:                             ;   in Loop: Header=BB4_3496 Depth=3
	s_or_b64 exec, exec, s[48:49]
.LBB4_4477:                             ;   in Loop: Header=BB4_3496 Depth=3
	s_or_b64 exec, exec, s[38:39]
	v_max_f32_e32 v0, v5, v5
	v_max_f32_e32 v4, v4, v4
	;; [unrolled: 1-line block ×3, first 2 shown]
	s_mov_b64 s[38:39], 0
.LBB4_4478:                             ;   in Loop: Header=BB4_3496 Depth=3
	s_and_b64 vcc, exec, s[38:39]
	s_cbranch_vccz .LBB4_4492
; %bb.4479:                             ;   in Loop: Header=BB4_3496 Depth=3
	v_mov_b32_e32 v5, 0
	v_mov_b32_e32 v4, 0
	s_and_saveexec_b64 s[38:39], s[40:41]
	s_cbranch_execz .LBB4_4485
; %bb.4480:                             ;   in Loop: Header=BB4_3496 Depth=3
	v_cmp_ne_u16_sdwa vcc, v16, s80 src0_sel:BYTE_0 src1_sel:DWORD
	v_bfrev_b32_e32 v4, 1
	s_and_saveexec_b64 s[40:41], vcc
	s_cbranch_execz .LBB4_4484
; %bb.4481:                             ;   in Loop: Header=BB4_3496 Depth=3
	v_bfe_u32 v0, v13, 16, 7
	v_cmp_ne_u32_e32 vcc, s81, v0
	v_mov_b32_e32 v4, 0x7f800001
	s_and_saveexec_b64 s[48:49], vcc
	s_cbranch_execz .LBB4_4483
; %bb.4482:                             ;   in Loop: Header=BB4_3496 Depth=3
	v_and_b32_e32 v4, 7, v16
	v_lshrrev_b32_e32 v7, 3, v0
	v_cmp_gt_u32_e32 vcc, 8, v0
	v_ffbh_u32_e32 v0, v4
	v_min_u32_e32 v0, 32, v0
	v_subrev_u32_e32 v17, 28, v0
	v_lshlrev_b64 v[42:43], v17, v[16:17]
	v_sub_u32_e32 v0, 29, v0
	v_and_b32_e32 v17, 7, v42
	v_cndmask_b32_e32 v0, v7, v0, vcc
	v_cndmask_b32_e32 v4, v4, v17, vcc
	v_lshlrev_b32_e32 v7, 24, v16
	v_lshlrev_b32_e32 v4, 20, v4
	v_and_b32_e32 v7, 0x80000000, v7
	v_lshl_add_u32 v0, v0, 23, v54
	v_or3_b32 v4, v7, v0, v4
.LBB4_4483:                             ;   in Loop: Header=BB4_3496 Depth=3
	s_or_b64 exec, exec, s[48:49]
.LBB4_4484:                             ;   in Loop: Header=BB4_3496 Depth=3
	s_or_b64 exec, exec, s[40:41]
.LBB4_4485:                             ;   in Loop: Header=BB4_3496 Depth=3
	s_or_b64 exec, exec, s[38:39]
	v_cmp_ne_u16_sdwa vcc, v2, v3 src0_sel:BYTE_0 src1_sel:DWORD
	s_and_saveexec_b64 s[40:41], vcc
	s_cbranch_execz .LBB4_4491
; %bb.4486:                             ;   in Loop: Header=BB4_3496 Depth=3
	v_cmp_ne_u16_sdwa vcc, v2, s80 src0_sel:BYTE_0 src1_sel:DWORD
	v_bfrev_b32_e32 v5, 1
	s_and_saveexec_b64 s[38:39], vcc
	s_cbranch_execz .LBB4_4490
; %bb.4487:                             ;   in Loop: Header=BB4_3496 Depth=3
	v_bfe_u32 v0, v9, 16, 7
	v_cmp_ne_u32_e32 vcc, s81, v0
	v_mov_b32_e32 v5, 0x7f800001
	s_and_saveexec_b64 s[48:49], vcc
	s_cbranch_execz .LBB4_4489
; %bb.4488:                             ;   in Loop: Header=BB4_3496 Depth=3
	v_and_b32_e32 v5, 7, v2
	v_lshrrev_b32_e32 v7, 3, v0
	v_cmp_gt_u32_e32 vcc, 8, v0
	v_ffbh_u32_e32 v0, v5
	v_min_u32_e32 v0, 32, v0
	v_subrev_u32_e32 v16, 28, v0
	v_lshlrev_b64 v[16:17], v16, v[2:3]
	v_sub_u32_e32 v0, 29, v0
	v_and_b32_e32 v16, 7, v16
	v_cndmask_b32_e32 v0, v7, v0, vcc
	v_cndmask_b32_e32 v5, v5, v16, vcc
	v_lshlrev_b32_e32 v2, 24, v2
	v_lshlrev_b32_e32 v5, 20, v5
	v_and_b32_e32 v2, 0x80000000, v2
	v_lshl_add_u32 v0, v0, 23, v54
	v_or3_b32 v5, v2, v0, v5
.LBB4_4489:                             ;   in Loop: Header=BB4_3496 Depth=3
	s_or_b64 exec, exec, s[48:49]
.LBB4_4490:                             ;   in Loop: Header=BB4_3496 Depth=3
	s_or_b64 exec, exec, s[38:39]
.LBB4_4491:                             ;   in Loop: Header=BB4_3496 Depth=3
	s_or_b64 exec, exec, s[40:41]
	v_max_f32_e32 v0, v5, v5
	v_max_f32_e32 v2, v4, v4
	v_min_f32_e32 v4, v2, v0
.LBB4_4492:                             ;   in Loop: Header=BB4_3496 Depth=3
	v_and_b32_e32 v2, 0x7f800000, v4
	v_cmp_ne_u64_e32 vcc, s[76:77], v[2:3]
                                        ; implicit-def: $vgpr17
	s_and_saveexec_b64 s[40:41], vcc
	s_xor_b64 s[38:39], exec, s[40:41]
	s_cbranch_execz .LBB4_4506
; %bb.4493:                             ;   in Loop: Header=BB4_3496 Depth=3
	v_and_b32_e32 v2, 0x7fffffff, v4
	v_cmp_gt_u64_e32 vcc, s[78:79], v[2:3]
	v_and_b32_sdwa v55, v4, s80 dst_sel:DWORD dst_unused:UNUSED_PAD src0_sel:BYTE_3 src1_sel:DWORD
                                        ; implicit-def: $vgpr17
	s_and_saveexec_b64 s[40:41], vcc
	s_xor_b64 s[48:49], exec, s[40:41]
	s_cbranch_execz .LBB4_4503
; %bb.4494:                             ;   in Loop: Header=BB4_3496 Depth=3
	v_mov_b32_e32 v17, 0
	v_cmp_ne_u32_e32 vcc, 0, v4
	s_and_saveexec_b64 s[50:51], vcc
	s_cbranch_execz .LBB4_4502
; %bb.4495:                             ;   in Loop: Header=BB4_3496 Depth=3
	v_bfe_u32 v7, v4, 23, 8
	v_cmp_gt_u32_e64 s[40:41], s83, v7
	v_sub_u32_e32 v2, 0x79, v7
	v_and_b32_e32 v0, 0x7fffff, v4
	v_cmp_eq_u32_e32 vcc, 0, v7
	v_cndmask_b32_e64 v2, 0, v2, s[40:41]
	v_mov_b32_e32 v5, 0x78
	v_or_b32_e32 v4, 0x800000, v0
	v_cndmask_b32_e32 v42, v2, v5, vcc
	v_cndmask_b32_e32 v2, v4, v0, vcc
	v_add_u32_e32 v0, 20, v42
	v_lshlrev_b64 v[4:5], v0, -1
	v_add_u32_e32 v0, 19, v42
	v_lshlrev_b64 v[16:17], v0, 1
	v_bfi_b32 v5, v5, 0, 0
	v_bfi_b32 v4, v4, 0, v2
	v_cmp_eq_u64_e64 s[40:41], v[4:5], v[16:17]
	v_lshrrev_b64 v[16:17], v42, v[2:3]
	v_mov_b32_e32 v4, v16
	v_mov_b32_e32 v5, v17
	s_and_saveexec_b64 s[52:53], s[40:41]
; %bb.4496:                             ;   in Loop: Header=BB4_3496 Depth=3
	v_bfe_u32 v0, v16, 20, 1
	v_add_co_u32_e64 v0, s[40:41], v16, v0
	v_add_co_u32_e64 v4, s[40:41], -1, v0
; %bb.4497:                             ;   in Loop: Header=BB4_3496 Depth=3
	s_or_b64 exec, exec, s[52:53]
	v_add_u32_e32 v0, 0xffffff81, v7
	v_mov_b32_e32 v2, 0xffffff82
	v_cndmask_b32_e32 v0, v0, v2, vcc
	v_lshrrev_b32_e32 v2, 23, v16
	v_add3_u32 v7, v42, v0, v2
	v_add_u32_e32 v5, 6, v7
	v_and_b32_e32 v0, 0xfffff, v4
	v_add_u32_e32 v2, v0, v16
	v_cmp_ne_u32_e32 vcc, 0, v5
                                        ; implicit-def: $vgpr16_vgpr17
                                        ; implicit-def: $vgpr0
	s_and_saveexec_b64 s[40:41], vcc
	s_xor_b64 s[40:41], exec, s[40:41]
; %bb.4498:                             ;   in Loop: Header=BB4_3496 Depth=3
	v_cmp_lt_u64_e32 vcc, s[88:89], v[2:3]
	v_add_u32_e32 v0, 7, v7
	v_cndmask_b32_e64 v4, 0, 1, vcc
	v_lshrrev_b64 v[16:17], v4, v[2:3]
	v_cndmask_b32_e32 v0, v5, v0, vcc
; %bb.4499:                             ;   in Loop: Header=BB4_3496 Depth=3
	s_andn2_saveexec_b64 s[40:41], s[40:41]
; %bb.4500:                             ;   in Loop: Header=BB4_3496 Depth=3
	v_mov_b32_e32 v17, v3
	v_bfe_u32 v0, v2, 23, 1
	v_mov_b32_e32 v16, v2
; %bb.4501:                             ;   in Loop: Header=BB4_3496 Depth=3
	s_or_b64 exec, exec, s[40:41]
	v_lshrrev_b64 v[4:5], 20, v[16:17]
	v_cmp_gt_i32_e32 vcc, 16, v0
	v_cndmask_b32_e32 v5, 0, v5, vcc
	v_cndmask_b32_e32 v4, 7, v4, vcc
	v_cmp_eq_u32_e32 vcc, 0, v0
	v_min_i32_e32 v0, 15, v0
	v_cmp_eq_u64_e64 s[40:41], 0, v[4:5]
	v_lshlrev_b32_e32 v0, 3, v0
	v_and_b32_e32 v0, 0xf8, v0
	v_and_or_b32 v0, v4, 7, v0
	s_and_b64 s[40:41], vcc, s[40:41]
	v_cndmask_b32_e64 v0, v0, 0, s[40:41]
	v_or_b32_e32 v17, v0, v55
.LBB4_4502:                             ;   in Loop: Header=BB4_3496 Depth=3
	s_or_b64 exec, exec, s[50:51]
                                        ; implicit-def: $vgpr55
.LBB4_4503:                             ;   in Loop: Header=BB4_3496 Depth=3
	s_andn2_saveexec_b64 s[40:41], s[48:49]
; %bb.4504:                             ;   in Loop: Header=BB4_3496 Depth=3
	v_or_b32_e32 v17, 0x7e, v55
; %bb.4505:                             ;   in Loop: Header=BB4_3496 Depth=3
	s_or_b64 exec, exec, s[40:41]
                                        ; implicit-def: $vgpr4
.LBB4_4506:                             ;   in Loop: Header=BB4_3496 Depth=3
	s_andn2_saveexec_b64 s[40:41], s[38:39]
; %bb.4507:                             ;   in Loop: Header=BB4_3496 Depth=3
	v_or_b32_sdwa v17, v4, s81 dst_sel:DWORD dst_unused:UNUSED_PAD src0_sel:BYTE_3 src1_sel:DWORD
; %bb.4508:                             ;   in Loop: Header=BB4_3496 Depth=3
	s_or_b64 exec, exec, s[40:41]
	v_cmp_lt_u64_e64 s[40:41], s[62:63], v[12:13]
	v_lshrrev_b32_e32 v16, 24, v13
	v_lshrrev_b32_e32 v2, 24, v9
	s_and_b64 vcc, exec, s[28:29]
	s_mov_b64 s[38:39], -1
                                        ; implicit-def: $vgpr4
	s_cbranch_vccnz .LBB4_4522
; %bb.4509:                             ;   in Loop: Header=BB4_3496 Depth=3
	v_mov_b32_e32 v5, 0
	v_mov_b32_e32 v4, 0
	s_and_saveexec_b64 s[38:39], s[40:41]
	s_cbranch_execz .LBB4_4515
; %bb.4510:                             ;   in Loop: Header=BB4_3496 Depth=3
	v_cmp_ne_u32_e32 vcc, s80, v16
	v_bfrev_b32_e32 v4, 1
	s_and_saveexec_b64 s[48:49], vcc
	s_cbranch_execz .LBB4_4514
; %bb.4511:                             ;   in Loop: Header=BB4_3496 Depth=3
	v_bfe_u32 v0, v13, 24, 7
	v_cmp_ne_u32_e32 vcc, s81, v0
	v_mov_b32_e32 v4, 0x7f800001
	s_and_saveexec_b64 s[50:51], vcc
	s_cbranch_execz .LBB4_4513
; %bb.4512:                             ;   in Loop: Header=BB4_3496 Depth=3
	v_and_b32_e32 v4, 7, v16
	v_lshrrev_b32_e32 v7, 3, v0
	v_cmp_gt_u32_e32 vcc, 8, v0
	v_ffbh_u32_e32 v0, v4
	v_min_u32_e32 v0, 32, v0
	v_subrev_u32_e32 v12, 28, v0
	v_lshlrev_b64 v[42:43], v12, v[16:17]
	v_sub_u32_e32 v0, 29, v0
	v_and_b32_e32 v12, 7, v42
	v_cndmask_b32_e32 v0, v7, v0, vcc
	v_cndmask_b32_e32 v4, v4, v12, vcc
	v_lshlrev_b32_e32 v7, 24, v16
	v_lshlrev_b32_e32 v4, 20, v4
	v_and_b32_e32 v7, 0x80000000, v7
	v_lshl_add_u32 v0, v0, 23, v54
	v_or3_b32 v4, v7, v0, v4
.LBB4_4513:                             ;   in Loop: Header=BB4_3496 Depth=3
	s_or_b64 exec, exec, s[50:51]
.LBB4_4514:                             ;   in Loop: Header=BB4_3496 Depth=3
	s_or_b64 exec, exec, s[48:49]
.LBB4_4515:                             ;   in Loop: Header=BB4_3496 Depth=3
	s_or_b64 exec, exec, s[38:39]
	v_cmp_lt_u64_e32 vcc, s[62:63], v[8:9]
	s_and_saveexec_b64 s[38:39], vcc
	s_cbranch_execz .LBB4_4521
; %bb.4516:                             ;   in Loop: Header=BB4_3496 Depth=3
	v_cmp_ne_u32_e32 vcc, s80, v2
	v_bfrev_b32_e32 v5, 1
	s_and_saveexec_b64 s[48:49], vcc
	s_cbranch_execz .LBB4_4520
; %bb.4517:                             ;   in Loop: Header=BB4_3496 Depth=3
	v_bfe_u32 v0, v9, 24, 7
	v_cmp_ne_u32_e32 vcc, s81, v0
	v_mov_b32_e32 v5, 0x7f800001
	s_and_saveexec_b64 s[50:51], vcc
	s_cbranch_execz .LBB4_4519
; %bb.4518:                             ;   in Loop: Header=BB4_3496 Depth=3
	v_and_b32_e32 v5, 7, v2
	v_lshrrev_b32_e32 v7, 3, v0
	v_cmp_gt_u32_e32 vcc, 8, v0
	v_ffbh_u32_e32 v0, v5
	v_min_u32_e32 v0, 32, v0
	v_subrev_u32_e32 v12, 28, v0
	v_lshlrev_b64 v[42:43], v12, v[2:3]
	v_sub_u32_e32 v0, 29, v0
	v_and_b32_e32 v12, 7, v42
	v_cndmask_b32_e32 v0, v7, v0, vcc
	v_cndmask_b32_e32 v5, v5, v12, vcc
	v_lshlrev_b32_e32 v7, 24, v2
	v_lshlrev_b32_e32 v5, 20, v5
	v_and_b32_e32 v7, 0x80000000, v7
	v_lshl_add_u32 v0, v0, 23, v54
	v_or3_b32 v5, v7, v0, v5
.LBB4_4519:                             ;   in Loop: Header=BB4_3496 Depth=3
	s_or_b64 exec, exec, s[50:51]
.LBB4_4520:                             ;   in Loop: Header=BB4_3496 Depth=3
	s_or_b64 exec, exec, s[48:49]
.LBB4_4521:                             ;   in Loop: Header=BB4_3496 Depth=3
	s_or_b64 exec, exec, s[38:39]
	v_max_f32_e32 v0, v5, v5
	v_max_f32_e32 v4, v4, v4
	;; [unrolled: 1-line block ×3, first 2 shown]
	s_mov_b64 s[38:39], 0
.LBB4_4522:                             ;   in Loop: Header=BB4_3496 Depth=3
	s_and_b64 vcc, exec, s[38:39]
	s_cbranch_vccz .LBB4_4536
; %bb.4523:                             ;   in Loop: Header=BB4_3496 Depth=3
	v_mov_b32_e32 v5, 0
	v_mov_b32_e32 v4, 0
	s_and_saveexec_b64 s[38:39], s[40:41]
	s_cbranch_execz .LBB4_4529
; %bb.4524:                             ;   in Loop: Header=BB4_3496 Depth=3
	v_cmp_ne_u32_e32 vcc, s80, v16
	v_bfrev_b32_e32 v4, 1
	s_and_saveexec_b64 s[40:41], vcc
	s_cbranch_execz .LBB4_4528
; %bb.4525:                             ;   in Loop: Header=BB4_3496 Depth=3
	v_bfe_u32 v0, v13, 24, 7
	v_cmp_ne_u32_e32 vcc, s81, v0
	v_mov_b32_e32 v4, 0x7f800001
	s_and_saveexec_b64 s[48:49], vcc
	s_cbranch_execz .LBB4_4527
; %bb.4526:                             ;   in Loop: Header=BB4_3496 Depth=3
	v_and_b32_e32 v4, 7, v16
	v_lshrrev_b32_e32 v7, 3, v0
	v_cmp_gt_u32_e32 vcc, 8, v0
	v_ffbh_u32_e32 v0, v4
	v_min_u32_e32 v0, 32, v0
	v_subrev_u32_e32 v12, 28, v0
	v_lshlrev_b64 v[12:13], v12, v[16:17]
	v_sub_u32_e32 v0, 29, v0
	v_and_b32_e32 v12, 7, v12
	v_cndmask_b32_e32 v0, v7, v0, vcc
	v_cndmask_b32_e32 v4, v4, v12, vcc
	v_lshlrev_b32_e32 v7, 24, v16
	v_lshlrev_b32_e32 v4, 20, v4
	v_and_b32_e32 v7, 0x80000000, v7
	v_lshl_add_u32 v0, v0, 23, v54
	v_or3_b32 v4, v7, v0, v4
.LBB4_4527:                             ;   in Loop: Header=BB4_3496 Depth=3
	s_or_b64 exec, exec, s[48:49]
.LBB4_4528:                             ;   in Loop: Header=BB4_3496 Depth=3
	s_or_b64 exec, exec, s[40:41]
.LBB4_4529:                             ;   in Loop: Header=BB4_3496 Depth=3
	s_or_b64 exec, exec, s[38:39]
	v_cmp_lt_u64_e32 vcc, s[62:63], v[8:9]
	s_and_saveexec_b64 s[40:41], vcc
	s_cbranch_execz .LBB4_4535
; %bb.4530:                             ;   in Loop: Header=BB4_3496 Depth=3
	v_cmp_ne_u32_e32 vcc, s80, v2
	v_bfrev_b32_e32 v5, 1
	s_and_saveexec_b64 s[38:39], vcc
	s_cbranch_execz .LBB4_4534
; %bb.4531:                             ;   in Loop: Header=BB4_3496 Depth=3
	v_bfe_u32 v0, v9, 24, 7
	v_cmp_ne_u32_e32 vcc, s81, v0
	v_mov_b32_e32 v5, 0x7f800001
	s_and_saveexec_b64 s[48:49], vcc
	s_cbranch_execz .LBB4_4533
; %bb.4532:                             ;   in Loop: Header=BB4_3496 Depth=3
	v_and_b32_e32 v5, 7, v2
	v_lshrrev_b32_e32 v9, 3, v0
	v_cmp_gt_u32_e32 vcc, 8, v0
	v_ffbh_u32_e32 v0, v5
	v_min_u32_e32 v0, 32, v0
	v_subrev_u32_e32 v7, 28, v0
	v_lshlrev_b64 v[7:8], v7, v[2:3]
	v_sub_u32_e32 v0, 29, v0
	v_and_b32_e32 v7, 7, v7
	v_cndmask_b32_e32 v0, v9, v0, vcc
	v_cndmask_b32_e32 v5, v5, v7, vcc
	v_lshlrev_b32_e32 v2, 24, v2
	v_lshlrev_b32_e32 v5, 20, v5
	v_and_b32_e32 v2, 0x80000000, v2
	v_lshl_add_u32 v0, v0, 23, v54
	v_or3_b32 v5, v2, v0, v5
.LBB4_4533:                             ;   in Loop: Header=BB4_3496 Depth=3
	s_or_b64 exec, exec, s[48:49]
.LBB4_4534:                             ;   in Loop: Header=BB4_3496 Depth=3
	s_or_b64 exec, exec, s[38:39]
.LBB4_4535:                             ;   in Loop: Header=BB4_3496 Depth=3
	s_or_b64 exec, exec, s[40:41]
	v_max_f32_e32 v0, v5, v5
	v_max_f32_e32 v2, v4, v4
	v_min_f32_e32 v4, v2, v0
.LBB4_4536:                             ;   in Loop: Header=BB4_3496 Depth=3
	v_and_b32_e32 v2, 0x7f800000, v4
	v_cmp_ne_u64_e32 vcc, s[76:77], v[2:3]
                                        ; implicit-def: $vgpr16
	s_and_saveexec_b64 s[40:41], vcc
	s_xor_b64 s[38:39], exec, s[40:41]
	s_cbranch_execz .LBB4_4550
; %bb.4537:                             ;   in Loop: Header=BB4_3496 Depth=3
	v_and_b32_e32 v2, 0x7fffffff, v4
	v_cmp_gt_u64_e32 vcc, s[78:79], v[2:3]
	v_and_b32_sdwa v12, v4, s80 dst_sel:DWORD dst_unused:UNUSED_PAD src0_sel:BYTE_3 src1_sel:DWORD
                                        ; implicit-def: $vgpr16
	s_and_saveexec_b64 s[40:41], vcc
	s_xor_b64 s[48:49], exec, s[40:41]
	s_cbranch_execz .LBB4_4547
; %bb.4538:                             ;   in Loop: Header=BB4_3496 Depth=3
	v_mov_b32_e32 v16, 0
	v_cmp_ne_u32_e32 vcc, 0, v4
	s_and_saveexec_b64 s[50:51], vcc
	s_cbranch_execz .LBB4_4546
; %bb.4539:                             ;   in Loop: Header=BB4_3496 Depth=3
	v_bfe_u32 v7, v4, 23, 8
	v_cmp_gt_u32_e64 s[40:41], s83, v7
	v_sub_u32_e32 v2, 0x79, v7
	v_and_b32_e32 v0, 0x7fffff, v4
	v_cmp_eq_u32_e32 vcc, 0, v7
	v_cndmask_b32_e64 v2, 0, v2, s[40:41]
	v_mov_b32_e32 v5, 0x78
	v_or_b32_e32 v4, 0x800000, v0
	v_cndmask_b32_e32 v13, v2, v5, vcc
	v_cndmask_b32_e32 v2, v4, v0, vcc
	v_add_u32_e32 v0, 20, v13
	v_lshlrev_b64 v[4:5], v0, -1
	v_add_u32_e32 v0, 19, v13
	v_lshlrev_b64 v[8:9], v0, 1
	v_bfi_b32 v5, v5, 0, 0
	v_bfi_b32 v4, v4, 0, v2
	v_cmp_eq_u64_e64 s[40:41], v[4:5], v[8:9]
	v_lshrrev_b64 v[8:9], v13, v[2:3]
	v_mov_b32_e32 v4, v8
	v_mov_b32_e32 v5, v9
	s_and_saveexec_b64 s[52:53], s[40:41]
; %bb.4540:                             ;   in Loop: Header=BB4_3496 Depth=3
	v_bfe_u32 v0, v8, 20, 1
	v_add_co_u32_e64 v0, s[40:41], v8, v0
	v_add_co_u32_e64 v4, s[40:41], -1, v0
; %bb.4541:                             ;   in Loop: Header=BB4_3496 Depth=3
	s_or_b64 exec, exec, s[52:53]
	v_add_u32_e32 v0, 0xffffff81, v7
	v_mov_b32_e32 v2, 0xffffff82
	v_cndmask_b32_e32 v0, v0, v2, vcc
	v_lshrrev_b32_e32 v2, 23, v8
	v_add3_u32 v7, v13, v0, v2
	v_add_u32_e32 v5, 6, v7
	v_and_b32_e32 v0, 0xfffff, v4
	v_add_u32_e32 v2, v0, v8
	v_cmp_ne_u32_e32 vcc, 0, v5
                                        ; implicit-def: $vgpr8_vgpr9
                                        ; implicit-def: $vgpr0
	s_and_saveexec_b64 s[40:41], vcc
	s_xor_b64 s[40:41], exec, s[40:41]
; %bb.4542:                             ;   in Loop: Header=BB4_3496 Depth=3
	v_cmp_lt_u64_e32 vcc, s[88:89], v[2:3]
	v_add_u32_e32 v0, 7, v7
	v_cndmask_b32_e64 v4, 0, 1, vcc
	v_lshrrev_b64 v[8:9], v4, v[2:3]
	v_cndmask_b32_e32 v0, v5, v0, vcc
; %bb.4543:                             ;   in Loop: Header=BB4_3496 Depth=3
	s_andn2_saveexec_b64 s[40:41], s[40:41]
; %bb.4544:                             ;   in Loop: Header=BB4_3496 Depth=3
	v_mov_b32_e32 v9, v3
	v_bfe_u32 v0, v2, 23, 1
	v_mov_b32_e32 v8, v2
; %bb.4545:                             ;   in Loop: Header=BB4_3496 Depth=3
	s_or_b64 exec, exec, s[40:41]
	v_lshrrev_b64 v[4:5], 20, v[8:9]
	v_cmp_gt_i32_e32 vcc, 16, v0
	v_cndmask_b32_e32 v5, 0, v5, vcc
	v_cndmask_b32_e32 v4, 7, v4, vcc
	v_cmp_eq_u32_e32 vcc, 0, v0
	v_min_i32_e32 v0, 15, v0
	v_cmp_eq_u64_e64 s[40:41], 0, v[4:5]
	v_lshlrev_b32_e32 v0, 3, v0
	v_and_b32_e32 v0, 0xf8, v0
	v_and_or_b32 v0, v4, 7, v0
	s_and_b64 s[40:41], vcc, s[40:41]
	v_cndmask_b32_e64 v0, v0, 0, s[40:41]
	v_or_b32_e32 v16, v0, v12
.LBB4_4546:                             ;   in Loop: Header=BB4_3496 Depth=3
	s_or_b64 exec, exec, s[50:51]
                                        ; implicit-def: $vgpr12
.LBB4_4547:                             ;   in Loop: Header=BB4_3496 Depth=3
	s_andn2_saveexec_b64 s[40:41], s[48:49]
; %bb.4548:                             ;   in Loop: Header=BB4_3496 Depth=3
	v_or_b32_e32 v16, 0x7e, v12
; %bb.4549:                             ;   in Loop: Header=BB4_3496 Depth=3
	s_or_b64 exec, exec, s[40:41]
                                        ; implicit-def: $vgpr4
.LBB4_4550:                             ;   in Loop: Header=BB4_3496 Depth=3
	s_andn2_saveexec_b64 s[40:41], s[38:39]
; %bb.4551:                             ;   in Loop: Header=BB4_3496 Depth=3
	v_or_b32_sdwa v16, v4, s81 dst_sel:DWORD dst_unused:UNUSED_PAD src0_sel:BYTE_3 src1_sel:DWORD
; %bb.4552:                             ;   in Loop: Header=BB4_3496 Depth=3
	s_or_b64 exec, exec, s[40:41]
	v_cmp_ne_u16_sdwa s[40:41], v14, v3 src0_sel:BYTE_0 src1_sel:DWORD
	s_and_b64 vcc, exec, s[28:29]
	s_mov_b64 s[38:39], -1
                                        ; implicit-def: $vgpr4
	s_cbranch_vccnz .LBB4_4566
; %bb.4553:                             ;   in Loop: Header=BB4_3496 Depth=3
	v_mov_b32_e32 v4, 0
	v_mov_b32_e32 v2, 0
	s_and_saveexec_b64 s[38:39], s[40:41]
	s_cbranch_execz .LBB4_4559
; %bb.4554:                             ;   in Loop: Header=BB4_3496 Depth=3
	v_cmp_ne_u16_sdwa vcc, v14, s80 src0_sel:BYTE_0 src1_sel:DWORD
	v_bfrev_b32_e32 v2, 1
	s_and_saveexec_b64 s[48:49], vcc
	s_cbranch_execz .LBB4_4558
; %bb.4555:                             ;   in Loop: Header=BB4_3496 Depth=3
	v_and_b32_e32 v0, 0x7f, v14
	v_cmp_ne_u32_e32 vcc, s81, v0
	v_mov_b32_e32 v2, 0x7f800001
	s_and_saveexec_b64 s[50:51], vcc
	s_cbranch_execz .LBB4_4557
; %bb.4556:                             ;   in Loop: Header=BB4_3496 Depth=3
	v_and_b32_e32 v2, 7, v14
	v_lshrrev_b32_e32 v5, 3, v0
	v_cmp_gt_u32_e32 vcc, 8, v0
	v_ffbh_u32_e32 v0, v2
	v_min_u32_e32 v0, 32, v0
	v_subrev_u32_e32 v2, 28, v0
	v_cndmask_b32_e32 v2, 0, v2, vcc
	v_lshlrev_b64 v[7:8], v2, v[14:15]
	v_sub_u32_e32 v0, 29, v0
	v_cndmask_b32_e32 v0, v5, v0, vcc
	v_lshlrev_b32_e32 v2, 20, v7
	v_lshlrev_b32_e32 v5, 24, v14
	v_and_b32_e32 v2, 0x700000, v2
	v_and_b32_e32 v5, 0x80000000, v5
	v_lshl_add_u32 v0, v0, 23, v54
	v_or3_b32 v2, v5, v0, v2
.LBB4_4557:                             ;   in Loop: Header=BB4_3496 Depth=3
	s_or_b64 exec, exec, s[50:51]
.LBB4_4558:                             ;   in Loop: Header=BB4_3496 Depth=3
	s_or_b64 exec, exec, s[48:49]
.LBB4_4559:                             ;   in Loop: Header=BB4_3496 Depth=3
	s_or_b64 exec, exec, s[38:39]
	v_cmp_ne_u16_sdwa vcc, v10, v3 src0_sel:BYTE_0 src1_sel:DWORD
	s_and_saveexec_b64 s[38:39], vcc
	s_cbranch_execz .LBB4_4565
; %bb.4560:                             ;   in Loop: Header=BB4_3496 Depth=3
	v_cmp_ne_u16_sdwa vcc, v10, s80 src0_sel:BYTE_0 src1_sel:DWORD
	v_bfrev_b32_e32 v4, 1
	s_and_saveexec_b64 s[48:49], vcc
	s_cbranch_execz .LBB4_4564
; %bb.4561:                             ;   in Loop: Header=BB4_3496 Depth=3
	v_and_b32_e32 v0, 0x7f, v10
	v_cmp_ne_u32_e32 vcc, s81, v0
	v_mov_b32_e32 v4, 0x7f800001
	s_and_saveexec_b64 s[50:51], vcc
	s_cbranch_execz .LBB4_4563
; %bb.4562:                             ;   in Loop: Header=BB4_3496 Depth=3
	v_and_b32_e32 v4, 7, v10
	v_lshrrev_b32_e32 v5, 3, v0
	v_cmp_gt_u32_e32 vcc, 8, v0
	v_ffbh_u32_e32 v0, v4
	v_min_u32_e32 v0, 32, v0
	v_subrev_u32_e32 v4, 28, v0
	v_sub_u32_e32 v0, 29, v0
	v_cndmask_b32_e32 v4, 0, v4, vcc
	v_cndmask_b32_e32 v0, v5, v0, vcc
	v_lshlrev_b64 v[4:5], v4, v[10:11]
	v_lshlrev_b32_e32 v5, 24, v10
	v_lshlrev_b32_e32 v4, 20, v4
	v_and_b32_e32 v4, 0x700000, v4
	v_and_b32_e32 v5, 0x80000000, v5
	v_lshl_add_u32 v0, v0, 23, v54
	v_or3_b32 v4, v5, v0, v4
.LBB4_4563:                             ;   in Loop: Header=BB4_3496 Depth=3
	s_or_b64 exec, exec, s[50:51]
.LBB4_4564:                             ;   in Loop: Header=BB4_3496 Depth=3
	s_or_b64 exec, exec, s[48:49]
.LBB4_4565:                             ;   in Loop: Header=BB4_3496 Depth=3
	s_or_b64 exec, exec, s[38:39]
	v_max_f32_e32 v0, v4, v4
	v_max_f32_e32 v2, v2, v2
	;; [unrolled: 1-line block ×3, first 2 shown]
	s_mov_b64 s[38:39], 0
.LBB4_4566:                             ;   in Loop: Header=BB4_3496 Depth=3
	s_and_b64 vcc, exec, s[38:39]
	s_cbranch_vccz .LBB4_4580
; %bb.4567:                             ;   in Loop: Header=BB4_3496 Depth=3
	v_mov_b32_e32 v4, 0
	v_mov_b32_e32 v2, 0
	s_and_saveexec_b64 s[38:39], s[40:41]
	s_cbranch_execz .LBB4_4573
; %bb.4568:                             ;   in Loop: Header=BB4_3496 Depth=3
	v_cmp_ne_u16_sdwa vcc, v14, s80 src0_sel:BYTE_0 src1_sel:DWORD
	v_bfrev_b32_e32 v2, 1
	s_and_saveexec_b64 s[40:41], vcc
	s_cbranch_execz .LBB4_4572
; %bb.4569:                             ;   in Loop: Header=BB4_3496 Depth=3
	v_and_b32_e32 v0, 0x7f, v14
	v_cmp_ne_u32_e32 vcc, s81, v0
	v_mov_b32_e32 v2, 0x7f800001
	s_and_saveexec_b64 s[48:49], vcc
	s_cbranch_execz .LBB4_4571
; %bb.4570:                             ;   in Loop: Header=BB4_3496 Depth=3
	v_and_b32_e32 v2, 7, v14
	v_lshrrev_b32_e32 v5, 3, v0
	v_cmp_gt_u32_e32 vcc, 8, v0
	v_ffbh_u32_e32 v0, v2
	v_min_u32_e32 v0, 32, v0
	v_subrev_u32_e32 v2, 28, v0
	v_cndmask_b32_e32 v2, 0, v2, vcc
	v_lshlrev_b64 v[7:8], v2, v[14:15]
	v_sub_u32_e32 v0, 29, v0
	v_cndmask_b32_e32 v0, v5, v0, vcc
	v_lshlrev_b32_e32 v2, 20, v7
	v_lshlrev_b32_e32 v5, 24, v14
	v_and_b32_e32 v2, 0x700000, v2
	v_and_b32_e32 v5, 0x80000000, v5
	v_lshl_add_u32 v0, v0, 23, v54
	v_or3_b32 v2, v5, v0, v2
.LBB4_4571:                             ;   in Loop: Header=BB4_3496 Depth=3
	s_or_b64 exec, exec, s[48:49]
.LBB4_4572:                             ;   in Loop: Header=BB4_3496 Depth=3
	s_or_b64 exec, exec, s[40:41]
.LBB4_4573:                             ;   in Loop: Header=BB4_3496 Depth=3
	s_or_b64 exec, exec, s[38:39]
	v_cmp_ne_u16_sdwa vcc, v10, v3 src0_sel:BYTE_0 src1_sel:DWORD
	s_and_saveexec_b64 s[40:41], vcc
	s_cbranch_execz .LBB4_4579
; %bb.4574:                             ;   in Loop: Header=BB4_3496 Depth=3
	v_cmp_ne_u16_sdwa vcc, v10, s80 src0_sel:BYTE_0 src1_sel:DWORD
	v_bfrev_b32_e32 v4, 1
	s_and_saveexec_b64 s[38:39], vcc
	s_cbranch_execz .LBB4_4578
; %bb.4575:                             ;   in Loop: Header=BB4_3496 Depth=3
	v_and_b32_e32 v0, 0x7f, v10
	v_cmp_ne_u32_e32 vcc, s81, v0
	v_mov_b32_e32 v4, 0x7f800001
	s_and_saveexec_b64 s[48:49], vcc
	s_cbranch_execz .LBB4_4577
; %bb.4576:                             ;   in Loop: Header=BB4_3496 Depth=3
	v_and_b32_e32 v4, 7, v10
	v_lshrrev_b32_e32 v5, 3, v0
	v_cmp_gt_u32_e32 vcc, 8, v0
	v_ffbh_u32_e32 v0, v4
	v_min_u32_e32 v0, 32, v0
	v_subrev_u32_e32 v4, 28, v0
	v_sub_u32_e32 v0, 29, v0
	v_cndmask_b32_e32 v4, 0, v4, vcc
	v_cndmask_b32_e32 v0, v5, v0, vcc
	v_lshlrev_b64 v[4:5], v4, v[10:11]
	v_lshlrev_b32_e32 v5, 24, v10
	v_lshlrev_b32_e32 v4, 20, v4
	v_and_b32_e32 v4, 0x700000, v4
	v_and_b32_e32 v5, 0x80000000, v5
	v_lshl_add_u32 v0, v0, 23, v54
	v_or3_b32 v4, v5, v0, v4
.LBB4_4577:                             ;   in Loop: Header=BB4_3496 Depth=3
	s_or_b64 exec, exec, s[48:49]
.LBB4_4578:                             ;   in Loop: Header=BB4_3496 Depth=3
	s_or_b64 exec, exec, s[38:39]
.LBB4_4579:                             ;   in Loop: Header=BB4_3496 Depth=3
	s_or_b64 exec, exec, s[40:41]
	v_max_f32_e32 v0, v4, v4
	v_max_f32_e32 v2, v2, v2
	v_min_f32_e32 v4, v2, v0
.LBB4_4580:                             ;   in Loop: Header=BB4_3496 Depth=3
	v_and_b32_e32 v2, 0x7f800000, v4
	v_cmp_ne_u64_e32 vcc, s[76:77], v[2:3]
                                        ; implicit-def: $vgpr59
	s_and_saveexec_b64 s[40:41], vcc
	s_xor_b64 s[38:39], exec, s[40:41]
	s_cbranch_execz .LBB4_4594
; %bb.4581:                             ;   in Loop: Header=BB4_3496 Depth=3
	v_and_b32_e32 v2, 0x7fffffff, v4
	v_cmp_gt_u64_e32 vcc, s[78:79], v[2:3]
	v_and_b32_sdwa v12, v4, s80 dst_sel:DWORD dst_unused:UNUSED_PAD src0_sel:BYTE_3 src1_sel:DWORD
                                        ; implicit-def: $vgpr59
	s_and_saveexec_b64 s[40:41], vcc
	s_xor_b64 s[48:49], exec, s[40:41]
	s_cbranch_execz .LBB4_4591
; %bb.4582:                             ;   in Loop: Header=BB4_3496 Depth=3
	v_mov_b32_e32 v59, 0
	v_cmp_ne_u32_e32 vcc, 0, v4
	s_and_saveexec_b64 s[50:51], vcc
	s_cbranch_execz .LBB4_4590
; %bb.4583:                             ;   in Loop: Header=BB4_3496 Depth=3
	v_bfe_u32 v7, v4, 23, 8
	v_cmp_gt_u32_e64 s[40:41], s83, v7
	v_sub_u32_e32 v2, 0x79, v7
	v_and_b32_e32 v0, 0x7fffff, v4
	v_cmp_eq_u32_e32 vcc, 0, v7
	v_cndmask_b32_e64 v2, 0, v2, s[40:41]
	v_mov_b32_e32 v5, 0x78
	v_or_b32_e32 v4, 0x800000, v0
	v_cndmask_b32_e32 v13, v2, v5, vcc
	v_cndmask_b32_e32 v2, v4, v0, vcc
	v_add_u32_e32 v0, 20, v13
	v_lshlrev_b64 v[4:5], v0, -1
	v_add_u32_e32 v0, 19, v13
	v_lshlrev_b64 v[8:9], v0, 1
	v_bfi_b32 v5, v5, 0, 0
	v_bfi_b32 v4, v4, 0, v2
	v_cmp_eq_u64_e64 s[40:41], v[4:5], v[8:9]
	v_lshrrev_b64 v[8:9], v13, v[2:3]
	v_mov_b32_e32 v4, v8
	v_mov_b32_e32 v5, v9
	s_and_saveexec_b64 s[52:53], s[40:41]
; %bb.4584:                             ;   in Loop: Header=BB4_3496 Depth=3
	v_bfe_u32 v0, v8, 20, 1
	v_add_co_u32_e64 v0, s[40:41], v8, v0
	v_add_co_u32_e64 v4, s[40:41], -1, v0
; %bb.4585:                             ;   in Loop: Header=BB4_3496 Depth=3
	s_or_b64 exec, exec, s[52:53]
	v_add_u32_e32 v0, 0xffffff81, v7
	v_mov_b32_e32 v2, 0xffffff82
	v_cndmask_b32_e32 v0, v0, v2, vcc
	v_lshrrev_b32_e32 v2, 23, v8
	v_add3_u32 v7, v13, v0, v2
	v_add_u32_e32 v5, 6, v7
	v_and_b32_e32 v0, 0xfffff, v4
	v_add_u32_e32 v2, v0, v8
	v_cmp_ne_u32_e32 vcc, 0, v5
                                        ; implicit-def: $vgpr8_vgpr9
                                        ; implicit-def: $vgpr0
	s_and_saveexec_b64 s[40:41], vcc
	s_xor_b64 s[40:41], exec, s[40:41]
; %bb.4586:                             ;   in Loop: Header=BB4_3496 Depth=3
	v_cmp_lt_u64_e32 vcc, s[88:89], v[2:3]
	v_add_u32_e32 v0, 7, v7
	v_cndmask_b32_e64 v4, 0, 1, vcc
	v_lshrrev_b64 v[8:9], v4, v[2:3]
	v_cndmask_b32_e32 v0, v5, v0, vcc
; %bb.4587:                             ;   in Loop: Header=BB4_3496 Depth=3
	s_andn2_saveexec_b64 s[40:41], s[40:41]
; %bb.4588:                             ;   in Loop: Header=BB4_3496 Depth=3
	v_mov_b32_e32 v9, v3
	v_bfe_u32 v0, v2, 23, 1
	v_mov_b32_e32 v8, v2
; %bb.4589:                             ;   in Loop: Header=BB4_3496 Depth=3
	s_or_b64 exec, exec, s[40:41]
	v_lshrrev_b64 v[4:5], 20, v[8:9]
	v_cmp_gt_i32_e32 vcc, 16, v0
	v_cndmask_b32_e32 v5, 0, v5, vcc
	v_cndmask_b32_e32 v4, 7, v4, vcc
	v_cmp_eq_u32_e32 vcc, 0, v0
	v_min_i32_e32 v0, 15, v0
	v_cmp_eq_u64_e64 s[40:41], 0, v[4:5]
	v_lshlrev_b32_e32 v0, 3, v0
	v_and_b32_e32 v0, 0xf8, v0
	v_and_or_b32 v0, v4, 7, v0
	s_and_b64 s[40:41], vcc, s[40:41]
	v_cndmask_b32_e64 v0, v0, 0, s[40:41]
	v_or_b32_e32 v59, v0, v12
.LBB4_4590:                             ;   in Loop: Header=BB4_3496 Depth=3
	s_or_b64 exec, exec, s[50:51]
                                        ; implicit-def: $vgpr12
.LBB4_4591:                             ;   in Loop: Header=BB4_3496 Depth=3
	s_andn2_saveexec_b64 s[40:41], s[48:49]
; %bb.4592:                             ;   in Loop: Header=BB4_3496 Depth=3
	v_or_b32_e32 v59, 0x7e, v12
; %bb.4593:                             ;   in Loop: Header=BB4_3496 Depth=3
	s_or_b64 exec, exec, s[40:41]
                                        ; implicit-def: $vgpr4
.LBB4_4594:                             ;   in Loop: Header=BB4_3496 Depth=3
	s_andn2_saveexec_b64 s[40:41], s[38:39]
; %bb.4595:                             ;   in Loop: Header=BB4_3496 Depth=3
	v_or_b32_sdwa v59, v4, s81 dst_sel:DWORD dst_unused:UNUSED_PAD src0_sel:BYTE_3 src1_sel:DWORD
; %bb.4596:                             ;   in Loop: Header=BB4_3496 Depth=3
	s_or_b64 exec, exec, s[40:41]
	v_lshrrev_b16_e32 v8, 8, v14
	v_lshrrev_b16_e32 v2, 8, v10
	v_cmp_ne_u16_e64 s[40:41], 0, v8
	s_and_b64 vcc, exec, s[28:29]
	s_mov_b64 s[38:39], -1
                                        ; implicit-def: $vgpr4
	s_cbranch_vccnz .LBB4_4610
; %bb.4597:                             ;   in Loop: Header=BB4_3496 Depth=3
	v_mov_b32_e32 v5, 0
	v_mov_b32_e32 v4, 0
	s_and_saveexec_b64 s[38:39], s[40:41]
	s_cbranch_execz .LBB4_4603
; %bb.4598:                             ;   in Loop: Header=BB4_3496 Depth=3
	v_cmp_ne_u16_e32 vcc, s80, v8
	v_bfrev_b32_e32 v4, 1
	s_and_saveexec_b64 s[48:49], vcc
	s_cbranch_execz .LBB4_4602
; %bb.4599:                             ;   in Loop: Header=BB4_3496 Depth=3
	v_and_b32_e32 v0, 0x7f, v8
	v_cmp_ne_u32_e32 vcc, s81, v0
	v_mov_b32_e32 v4, 0x7f800001
	s_and_saveexec_b64 s[50:51], vcc
	s_cbranch_execz .LBB4_4601
; %bb.4600:                             ;   in Loop: Header=BB4_3496 Depth=3
	v_and_b32_e32 v4, 7, v8
	v_lshrrev_b32_e32 v7, 3, v0
	v_cmp_gt_u32_e32 vcc, 8, v0
	v_ffbh_u32_e32 v0, v4
	v_min_u32_e32 v0, 32, v0
	v_subrev_u32_e32 v9, 28, v0
	v_lshlrev_b64 v[12:13], v9, v[8:9]
	v_sub_u32_e32 v0, 29, v0
	v_and_b32_e32 v9, 7, v12
	v_cndmask_b32_e32 v0, v7, v0, vcc
	v_cndmask_b32_e32 v4, v4, v9, vcc
	v_lshlrev_b32_e32 v7, 16, v14
	v_lshlrev_b32_e32 v4, 20, v4
	v_and_b32_e32 v7, 0x80000000, v7
	v_lshl_add_u32 v0, v0, 23, v54
	v_or3_b32 v4, v7, v0, v4
.LBB4_4601:                             ;   in Loop: Header=BB4_3496 Depth=3
	s_or_b64 exec, exec, s[50:51]
.LBB4_4602:                             ;   in Loop: Header=BB4_3496 Depth=3
	s_or_b64 exec, exec, s[48:49]
.LBB4_4603:                             ;   in Loop: Header=BB4_3496 Depth=3
	s_or_b64 exec, exec, s[38:39]
	v_cmp_ne_u16_e32 vcc, 0, v2
	s_and_saveexec_b64 s[38:39], vcc
	s_cbranch_execz .LBB4_4609
; %bb.4604:                             ;   in Loop: Header=BB4_3496 Depth=3
	v_cmp_ne_u16_e32 vcc, s80, v2
	v_bfrev_b32_e32 v5, 1
	s_and_saveexec_b64 s[48:49], vcc
	s_cbranch_execz .LBB4_4608
; %bb.4605:                             ;   in Loop: Header=BB4_3496 Depth=3
	v_and_b32_e32 v0, 0x7f, v2
	v_cmp_ne_u32_e32 vcc, s81, v0
	v_mov_b32_e32 v5, 0x7f800001
	s_and_saveexec_b64 s[50:51], vcc
	s_cbranch_execz .LBB4_4607
; %bb.4606:                             ;   in Loop: Header=BB4_3496 Depth=3
	v_and_b32_e32 v5, 7, v2
	v_lshrrev_b32_e32 v7, 3, v0
	v_cmp_gt_u32_e32 vcc, 8, v0
	v_ffbh_u32_e32 v0, v5
	v_min_u32_e32 v0, 32, v0
	v_subrev_u32_e32 v9, 28, v0
	v_lshlrev_b64 v[12:13], v9, v[2:3]
	v_sub_u32_e32 v0, 29, v0
	v_and_b32_e32 v9, 7, v12
	v_cndmask_b32_e32 v0, v7, v0, vcc
	v_cndmask_b32_e32 v5, v5, v9, vcc
	v_lshlrev_b32_e32 v7, 16, v10
	v_lshlrev_b32_e32 v5, 20, v5
	v_and_b32_e32 v7, 0x80000000, v7
	v_lshl_add_u32 v0, v0, 23, v54
	v_or3_b32 v5, v7, v0, v5
.LBB4_4607:                             ;   in Loop: Header=BB4_3496 Depth=3
	s_or_b64 exec, exec, s[50:51]
.LBB4_4608:                             ;   in Loop: Header=BB4_3496 Depth=3
	s_or_b64 exec, exec, s[48:49]
.LBB4_4609:                             ;   in Loop: Header=BB4_3496 Depth=3
	s_or_b64 exec, exec, s[38:39]
	v_max_f32_e32 v0, v5, v5
	v_max_f32_e32 v4, v4, v4
	;; [unrolled: 1-line block ×3, first 2 shown]
	s_mov_b64 s[38:39], 0
.LBB4_4610:                             ;   in Loop: Header=BB4_3496 Depth=3
	s_and_b64 vcc, exec, s[38:39]
	s_cbranch_vccz .LBB4_4624
; %bb.4611:                             ;   in Loop: Header=BB4_3496 Depth=3
	v_mov_b32_e32 v5, 0
	v_mov_b32_e32 v4, 0
	s_and_saveexec_b64 s[38:39], s[40:41]
	s_cbranch_execz .LBB4_4617
; %bb.4612:                             ;   in Loop: Header=BB4_3496 Depth=3
	v_cmp_ne_u16_e32 vcc, s80, v8
	v_bfrev_b32_e32 v4, 1
	s_and_saveexec_b64 s[40:41], vcc
	s_cbranch_execz .LBB4_4616
; %bb.4613:                             ;   in Loop: Header=BB4_3496 Depth=3
	v_and_b32_e32 v0, 0x7f, v8
	v_cmp_ne_u32_e32 vcc, s81, v0
	v_mov_b32_e32 v4, 0x7f800001
	s_and_saveexec_b64 s[48:49], vcc
	s_cbranch_execz .LBB4_4615
; %bb.4614:                             ;   in Loop: Header=BB4_3496 Depth=3
	v_and_b32_e32 v4, 7, v8
	v_lshrrev_b32_e32 v9, 3, v0
	v_cmp_gt_u32_e32 vcc, 8, v0
	v_ffbh_u32_e32 v0, v4
	v_min_u32_e32 v0, 32, v0
	v_subrev_u32_e32 v7, 28, v0
	v_lshlrev_b64 v[7:8], v7, v[8:9]
	v_sub_u32_e32 v0, 29, v0
	v_and_b32_e32 v7, 7, v7
	v_cndmask_b32_e32 v0, v9, v0, vcc
	v_cndmask_b32_e32 v4, v4, v7, vcc
	v_lshlrev_b32_e32 v7, 16, v14
	v_lshlrev_b32_e32 v4, 20, v4
	v_and_b32_e32 v7, 0x80000000, v7
	v_lshl_add_u32 v0, v0, 23, v54
	v_or3_b32 v4, v7, v0, v4
.LBB4_4615:                             ;   in Loop: Header=BB4_3496 Depth=3
	s_or_b64 exec, exec, s[48:49]
.LBB4_4616:                             ;   in Loop: Header=BB4_3496 Depth=3
	s_or_b64 exec, exec, s[40:41]
.LBB4_4617:                             ;   in Loop: Header=BB4_3496 Depth=3
	s_or_b64 exec, exec, s[38:39]
	v_cmp_ne_u16_e32 vcc, 0, v2
	s_and_saveexec_b64 s[40:41], vcc
	s_cbranch_execz .LBB4_4623
; %bb.4618:                             ;   in Loop: Header=BB4_3496 Depth=3
	v_cmp_ne_u16_e32 vcc, s80, v2
	v_bfrev_b32_e32 v5, 1
	s_and_saveexec_b64 s[38:39], vcc
	s_cbranch_execz .LBB4_4622
; %bb.4619:                             ;   in Loop: Header=BB4_3496 Depth=3
	v_and_b32_e32 v0, 0x7f, v2
	v_cmp_ne_u32_e32 vcc, s81, v0
	v_mov_b32_e32 v5, 0x7f800001
	s_and_saveexec_b64 s[48:49], vcc
	s_cbranch_execz .LBB4_4621
; %bb.4620:                             ;   in Loop: Header=BB4_3496 Depth=3
	v_and_b32_e32 v5, 7, v2
	v_lshrrev_b32_e32 v9, 3, v0
	v_cmp_gt_u32_e32 vcc, 8, v0
	v_ffbh_u32_e32 v0, v5
	v_min_u32_e32 v0, 32, v0
	v_subrev_u32_e32 v7, 28, v0
	v_lshlrev_b64 v[7:8], v7, v[2:3]
	v_sub_u32_e32 v0, 29, v0
	v_and_b32_e32 v2, 7, v7
	v_cndmask_b32_e32 v0, v9, v0, vcc
	v_cndmask_b32_e32 v2, v5, v2, vcc
	v_lshlrev_b32_e32 v5, 16, v10
	v_lshlrev_b32_e32 v2, 20, v2
	v_and_b32_e32 v5, 0x80000000, v5
	v_lshl_add_u32 v0, v0, 23, v54
	v_or3_b32 v5, v5, v0, v2
.LBB4_4621:                             ;   in Loop: Header=BB4_3496 Depth=3
	s_or_b64 exec, exec, s[48:49]
.LBB4_4622:                             ;   in Loop: Header=BB4_3496 Depth=3
	s_or_b64 exec, exec, s[38:39]
.LBB4_4623:                             ;   in Loop: Header=BB4_3496 Depth=3
	s_or_b64 exec, exec, s[40:41]
	v_max_f32_e32 v0, v5, v5
	v_max_f32_e32 v2, v4, v4
	v_min_f32_e32 v4, v2, v0
.LBB4_4624:                             ;   in Loop: Header=BB4_3496 Depth=3
	v_and_b32_e32 v2, 0x7f800000, v4
	v_cmp_ne_u64_e32 vcc, s[76:77], v[2:3]
                                        ; implicit-def: $vgpr43
	s_and_saveexec_b64 s[40:41], vcc
	s_xor_b64 s[38:39], exec, s[40:41]
	s_cbranch_execz .LBB4_4638
; %bb.4625:                             ;   in Loop: Header=BB4_3496 Depth=3
	v_and_b32_e32 v2, 0x7fffffff, v4
	v_cmp_gt_u64_e32 vcc, s[78:79], v[2:3]
	v_and_b32_sdwa v12, v4, s80 dst_sel:DWORD dst_unused:UNUSED_PAD src0_sel:BYTE_3 src1_sel:DWORD
                                        ; implicit-def: $vgpr43
	s_and_saveexec_b64 s[40:41], vcc
	s_xor_b64 s[48:49], exec, s[40:41]
	s_cbranch_execz .LBB4_4635
; %bb.4626:                             ;   in Loop: Header=BB4_3496 Depth=3
	v_mov_b32_e32 v43, 0
	v_cmp_ne_u32_e32 vcc, 0, v4
	s_and_saveexec_b64 s[50:51], vcc
	s_cbranch_execz .LBB4_4634
; %bb.4627:                             ;   in Loop: Header=BB4_3496 Depth=3
	v_bfe_u32 v7, v4, 23, 8
	v_cmp_gt_u32_e64 s[40:41], s83, v7
	v_sub_u32_e32 v2, 0x79, v7
	v_and_b32_e32 v0, 0x7fffff, v4
	v_cmp_eq_u32_e32 vcc, 0, v7
	v_cndmask_b32_e64 v2, 0, v2, s[40:41]
	v_mov_b32_e32 v5, 0x78
	v_or_b32_e32 v4, 0x800000, v0
	v_cndmask_b32_e32 v13, v2, v5, vcc
	v_cndmask_b32_e32 v2, v4, v0, vcc
	v_add_u32_e32 v0, 20, v13
	v_lshlrev_b64 v[4:5], v0, -1
	v_add_u32_e32 v0, 19, v13
	v_lshlrev_b64 v[8:9], v0, 1
	v_bfi_b32 v5, v5, 0, 0
	v_bfi_b32 v4, v4, 0, v2
	v_cmp_eq_u64_e64 s[40:41], v[4:5], v[8:9]
	v_lshrrev_b64 v[8:9], v13, v[2:3]
	v_mov_b32_e32 v4, v8
	v_mov_b32_e32 v5, v9
	s_and_saveexec_b64 s[52:53], s[40:41]
; %bb.4628:                             ;   in Loop: Header=BB4_3496 Depth=3
	v_bfe_u32 v0, v8, 20, 1
	v_add_co_u32_e64 v0, s[40:41], v8, v0
	v_add_co_u32_e64 v4, s[40:41], -1, v0
; %bb.4629:                             ;   in Loop: Header=BB4_3496 Depth=3
	s_or_b64 exec, exec, s[52:53]
	v_add_u32_e32 v0, 0xffffff81, v7
	v_mov_b32_e32 v2, 0xffffff82
	v_cndmask_b32_e32 v0, v0, v2, vcc
	v_lshrrev_b32_e32 v2, 23, v8
	v_add3_u32 v7, v13, v0, v2
	v_add_u32_e32 v5, 6, v7
	v_and_b32_e32 v0, 0xfffff, v4
	v_add_u32_e32 v2, v0, v8
	v_cmp_ne_u32_e32 vcc, 0, v5
                                        ; implicit-def: $vgpr8_vgpr9
                                        ; implicit-def: $vgpr0
	s_and_saveexec_b64 s[40:41], vcc
	s_xor_b64 s[40:41], exec, s[40:41]
; %bb.4630:                             ;   in Loop: Header=BB4_3496 Depth=3
	v_cmp_lt_u64_e32 vcc, s[88:89], v[2:3]
	v_add_u32_e32 v0, 7, v7
	v_cndmask_b32_e64 v4, 0, 1, vcc
	v_lshrrev_b64 v[8:9], v4, v[2:3]
	v_cndmask_b32_e32 v0, v5, v0, vcc
; %bb.4631:                             ;   in Loop: Header=BB4_3496 Depth=3
	s_andn2_saveexec_b64 s[40:41], s[40:41]
; %bb.4632:                             ;   in Loop: Header=BB4_3496 Depth=3
	v_mov_b32_e32 v9, v3
	v_bfe_u32 v0, v2, 23, 1
	v_mov_b32_e32 v8, v2
; %bb.4633:                             ;   in Loop: Header=BB4_3496 Depth=3
	s_or_b64 exec, exec, s[40:41]
	v_lshrrev_b64 v[4:5], 20, v[8:9]
	v_cmp_gt_i32_e32 vcc, 16, v0
	v_cndmask_b32_e32 v5, 0, v5, vcc
	v_cndmask_b32_e32 v4, 7, v4, vcc
	v_cmp_eq_u32_e32 vcc, 0, v0
	v_min_i32_e32 v0, 15, v0
	v_cmp_eq_u64_e64 s[40:41], 0, v[4:5]
	v_lshlrev_b32_e32 v0, 3, v0
	v_and_b32_e32 v0, 0xf8, v0
	v_and_or_b32 v0, v4, 7, v0
	s_and_b64 s[40:41], vcc, s[40:41]
	v_cndmask_b32_e64 v0, v0, 0, s[40:41]
	v_or_b32_e32 v43, v0, v12
.LBB4_4634:                             ;   in Loop: Header=BB4_3496 Depth=3
	s_or_b64 exec, exec, s[50:51]
                                        ; implicit-def: $vgpr12
.LBB4_4635:                             ;   in Loop: Header=BB4_3496 Depth=3
	s_andn2_saveexec_b64 s[40:41], s[48:49]
; %bb.4636:                             ;   in Loop: Header=BB4_3496 Depth=3
	v_or_b32_e32 v43, 0x7e, v12
; %bb.4637:                             ;   in Loop: Header=BB4_3496 Depth=3
	s_or_b64 exec, exec, s[40:41]
                                        ; implicit-def: $vgpr4
.LBB4_4638:                             ;   in Loop: Header=BB4_3496 Depth=3
	s_andn2_saveexec_b64 s[40:41], s[38:39]
; %bb.4639:                             ;   in Loop: Header=BB4_3496 Depth=3
	v_or_b32_sdwa v43, v4, s81 dst_sel:DWORD dst_unused:UNUSED_PAD src0_sel:BYTE_3 src1_sel:DWORD
; %bb.4640:                             ;   in Loop: Header=BB4_3496 Depth=3
	s_or_b64 exec, exec, s[40:41]
	v_lshrrev_b32_e32 v8, 16, v14
	v_lshrrev_b32_e32 v2, 16, v10
	v_cmp_ne_u16_sdwa s[40:41], v8, v3 src0_sel:BYTE_0 src1_sel:DWORD
	s_and_b64 vcc, exec, s[28:29]
	s_mov_b64 s[38:39], -1
                                        ; implicit-def: $vgpr4
	s_cbranch_vccnz .LBB4_4654
; %bb.4641:                             ;   in Loop: Header=BB4_3496 Depth=3
	v_mov_b32_e32 v5, 0
	v_mov_b32_e32 v4, 0
	s_and_saveexec_b64 s[38:39], s[40:41]
	s_cbranch_execz .LBB4_4647
; %bb.4642:                             ;   in Loop: Header=BB4_3496 Depth=3
	v_cmp_ne_u16_sdwa vcc, v8, s80 src0_sel:BYTE_0 src1_sel:DWORD
	v_bfrev_b32_e32 v4, 1
	s_and_saveexec_b64 s[48:49], vcc
	s_cbranch_execz .LBB4_4646
; %bb.4643:                             ;   in Loop: Header=BB4_3496 Depth=3
	v_bfe_u32 v0, v14, 16, 7
	v_cmp_ne_u32_e32 vcc, s81, v0
	v_mov_b32_e32 v4, 0x7f800001
	s_and_saveexec_b64 s[50:51], vcc
	s_cbranch_execz .LBB4_4645
; %bb.4644:                             ;   in Loop: Header=BB4_3496 Depth=3
	v_and_b32_e32 v4, 7, v8
	v_lshrrev_b32_e32 v7, 3, v0
	v_cmp_gt_u32_e32 vcc, 8, v0
	v_ffbh_u32_e32 v0, v4
	v_min_u32_e32 v0, 32, v0
	v_subrev_u32_e32 v9, 28, v0
	v_lshlrev_b64 v[12:13], v9, v[8:9]
	v_sub_u32_e32 v0, 29, v0
	v_and_b32_e32 v9, 7, v12
	v_cndmask_b32_e32 v0, v7, v0, vcc
	v_cndmask_b32_e32 v4, v4, v9, vcc
	v_lshlrev_b32_e32 v7, 24, v8
	v_lshlrev_b32_e32 v4, 20, v4
	v_and_b32_e32 v7, 0x80000000, v7
	v_lshl_add_u32 v0, v0, 23, v54
	v_or3_b32 v4, v7, v0, v4
.LBB4_4645:                             ;   in Loop: Header=BB4_3496 Depth=3
	s_or_b64 exec, exec, s[50:51]
.LBB4_4646:                             ;   in Loop: Header=BB4_3496 Depth=3
	s_or_b64 exec, exec, s[48:49]
.LBB4_4647:                             ;   in Loop: Header=BB4_3496 Depth=3
	s_or_b64 exec, exec, s[38:39]
	v_cmp_ne_u16_sdwa vcc, v2, v3 src0_sel:BYTE_0 src1_sel:DWORD
	s_and_saveexec_b64 s[38:39], vcc
	s_cbranch_execz .LBB4_4653
; %bb.4648:                             ;   in Loop: Header=BB4_3496 Depth=3
	v_cmp_ne_u16_sdwa vcc, v2, s80 src0_sel:BYTE_0 src1_sel:DWORD
	v_bfrev_b32_e32 v5, 1
	s_and_saveexec_b64 s[48:49], vcc
	s_cbranch_execz .LBB4_4652
; %bb.4649:                             ;   in Loop: Header=BB4_3496 Depth=3
	v_bfe_u32 v0, v10, 16, 7
	v_cmp_ne_u32_e32 vcc, s81, v0
	v_mov_b32_e32 v5, 0x7f800001
	s_and_saveexec_b64 s[50:51], vcc
	s_cbranch_execz .LBB4_4651
; %bb.4650:                             ;   in Loop: Header=BB4_3496 Depth=3
	v_and_b32_e32 v5, 7, v2
	v_lshrrev_b32_e32 v7, 3, v0
	v_cmp_gt_u32_e32 vcc, 8, v0
	v_ffbh_u32_e32 v0, v5
	v_min_u32_e32 v0, 32, v0
	v_subrev_u32_e32 v9, 28, v0
	v_lshlrev_b64 v[12:13], v9, v[2:3]
	v_sub_u32_e32 v0, 29, v0
	v_and_b32_e32 v9, 7, v12
	v_cndmask_b32_e32 v0, v7, v0, vcc
	v_cndmask_b32_e32 v5, v5, v9, vcc
	v_lshlrev_b32_e32 v7, 24, v2
	v_lshlrev_b32_e32 v5, 20, v5
	v_and_b32_e32 v7, 0x80000000, v7
	v_lshl_add_u32 v0, v0, 23, v54
	v_or3_b32 v5, v7, v0, v5
.LBB4_4651:                             ;   in Loop: Header=BB4_3496 Depth=3
	s_or_b64 exec, exec, s[50:51]
.LBB4_4652:                             ;   in Loop: Header=BB4_3496 Depth=3
	s_or_b64 exec, exec, s[48:49]
.LBB4_4653:                             ;   in Loop: Header=BB4_3496 Depth=3
	s_or_b64 exec, exec, s[38:39]
	v_max_f32_e32 v0, v5, v5
	v_max_f32_e32 v4, v4, v4
	;; [unrolled: 1-line block ×3, first 2 shown]
	s_mov_b64 s[38:39], 0
.LBB4_4654:                             ;   in Loop: Header=BB4_3496 Depth=3
	s_and_b64 vcc, exec, s[38:39]
	s_cbranch_vccz .LBB4_4668
; %bb.4655:                             ;   in Loop: Header=BB4_3496 Depth=3
	v_mov_b32_e32 v5, 0
	v_mov_b32_e32 v4, 0
	s_and_saveexec_b64 s[38:39], s[40:41]
	s_cbranch_execz .LBB4_4661
; %bb.4656:                             ;   in Loop: Header=BB4_3496 Depth=3
	v_cmp_ne_u16_sdwa vcc, v8, s80 src0_sel:BYTE_0 src1_sel:DWORD
	v_bfrev_b32_e32 v4, 1
	s_and_saveexec_b64 s[40:41], vcc
	s_cbranch_execz .LBB4_4660
; %bb.4657:                             ;   in Loop: Header=BB4_3496 Depth=3
	v_bfe_u32 v0, v14, 16, 7
	v_cmp_ne_u32_e32 vcc, s81, v0
	v_mov_b32_e32 v4, 0x7f800001
	s_and_saveexec_b64 s[48:49], vcc
	s_cbranch_execz .LBB4_4659
; %bb.4658:                             ;   in Loop: Header=BB4_3496 Depth=3
	v_and_b32_e32 v4, 7, v8
	v_lshrrev_b32_e32 v7, 3, v0
	v_cmp_gt_u32_e32 vcc, 8, v0
	v_ffbh_u32_e32 v0, v4
	v_min_u32_e32 v0, 32, v0
	v_subrev_u32_e32 v9, 28, v0
	v_lshlrev_b64 v[12:13], v9, v[8:9]
	v_sub_u32_e32 v0, 29, v0
	v_and_b32_e32 v9, 7, v12
	v_cndmask_b32_e32 v0, v7, v0, vcc
	v_cndmask_b32_e32 v4, v4, v9, vcc
	v_lshlrev_b32_e32 v7, 24, v8
	v_lshlrev_b32_e32 v4, 20, v4
	v_and_b32_e32 v7, 0x80000000, v7
	v_lshl_add_u32 v0, v0, 23, v54
	v_or3_b32 v4, v7, v0, v4
.LBB4_4659:                             ;   in Loop: Header=BB4_3496 Depth=3
	s_or_b64 exec, exec, s[48:49]
.LBB4_4660:                             ;   in Loop: Header=BB4_3496 Depth=3
	s_or_b64 exec, exec, s[40:41]
.LBB4_4661:                             ;   in Loop: Header=BB4_3496 Depth=3
	s_or_b64 exec, exec, s[38:39]
	v_cmp_ne_u16_sdwa vcc, v2, v3 src0_sel:BYTE_0 src1_sel:DWORD
	s_and_saveexec_b64 s[40:41], vcc
	s_cbranch_execz .LBB4_4667
; %bb.4662:                             ;   in Loop: Header=BB4_3496 Depth=3
	v_cmp_ne_u16_sdwa vcc, v2, s80 src0_sel:BYTE_0 src1_sel:DWORD
	v_bfrev_b32_e32 v5, 1
	s_and_saveexec_b64 s[38:39], vcc
	s_cbranch_execz .LBB4_4666
; %bb.4663:                             ;   in Loop: Header=BB4_3496 Depth=3
	v_bfe_u32 v0, v10, 16, 7
	v_cmp_ne_u32_e32 vcc, s81, v0
	v_mov_b32_e32 v5, 0x7f800001
	s_and_saveexec_b64 s[48:49], vcc
	s_cbranch_execz .LBB4_4665
; %bb.4664:                             ;   in Loop: Header=BB4_3496 Depth=3
	v_and_b32_e32 v5, 7, v2
	v_lshrrev_b32_e32 v9, 3, v0
	v_cmp_gt_u32_e32 vcc, 8, v0
	v_ffbh_u32_e32 v0, v5
	v_min_u32_e32 v0, 32, v0
	v_subrev_u32_e32 v7, 28, v0
	v_lshlrev_b64 v[7:8], v7, v[2:3]
	v_sub_u32_e32 v0, 29, v0
	v_and_b32_e32 v7, 7, v7
	v_cndmask_b32_e32 v0, v9, v0, vcc
	v_cndmask_b32_e32 v5, v5, v7, vcc
	v_lshlrev_b32_e32 v2, 24, v2
	v_lshlrev_b32_e32 v5, 20, v5
	v_and_b32_e32 v2, 0x80000000, v2
	v_lshl_add_u32 v0, v0, 23, v54
	v_or3_b32 v5, v2, v0, v5
.LBB4_4665:                             ;   in Loop: Header=BB4_3496 Depth=3
	s_or_b64 exec, exec, s[48:49]
.LBB4_4666:                             ;   in Loop: Header=BB4_3496 Depth=3
	s_or_b64 exec, exec, s[38:39]
.LBB4_4667:                             ;   in Loop: Header=BB4_3496 Depth=3
	s_or_b64 exec, exec, s[40:41]
	v_max_f32_e32 v0, v5, v5
	v_max_f32_e32 v2, v4, v4
	v_min_f32_e32 v4, v2, v0
.LBB4_4668:                             ;   in Loop: Header=BB4_3496 Depth=3
	v_and_b32_e32 v2, 0x7f800000, v4
	v_cmp_ne_u64_e32 vcc, s[76:77], v[2:3]
                                        ; implicit-def: $vgpr55
	s_and_saveexec_b64 s[40:41], vcc
	s_xor_b64 s[38:39], exec, s[40:41]
	s_cbranch_execz .LBB4_4682
; %bb.4669:                             ;   in Loop: Header=BB4_3496 Depth=3
	v_and_b32_e32 v2, 0x7fffffff, v4
	v_cmp_gt_u64_e32 vcc, s[78:79], v[2:3]
	v_and_b32_sdwa v12, v4, s80 dst_sel:DWORD dst_unused:UNUSED_PAD src0_sel:BYTE_3 src1_sel:DWORD
                                        ; implicit-def: $vgpr55
	s_and_saveexec_b64 s[40:41], vcc
	s_xor_b64 s[48:49], exec, s[40:41]
	s_cbranch_execz .LBB4_4679
; %bb.4670:                             ;   in Loop: Header=BB4_3496 Depth=3
	v_mov_b32_e32 v55, 0
	v_cmp_ne_u32_e32 vcc, 0, v4
	s_and_saveexec_b64 s[50:51], vcc
	s_cbranch_execz .LBB4_4678
; %bb.4671:                             ;   in Loop: Header=BB4_3496 Depth=3
	v_bfe_u32 v7, v4, 23, 8
	v_cmp_gt_u32_e64 s[40:41], s83, v7
	v_sub_u32_e32 v2, 0x79, v7
	v_and_b32_e32 v0, 0x7fffff, v4
	v_cmp_eq_u32_e32 vcc, 0, v7
	v_cndmask_b32_e64 v2, 0, v2, s[40:41]
	v_mov_b32_e32 v5, 0x78
	v_or_b32_e32 v4, 0x800000, v0
	v_cndmask_b32_e32 v13, v2, v5, vcc
	v_cndmask_b32_e32 v2, v4, v0, vcc
	v_add_u32_e32 v0, 20, v13
	v_lshlrev_b64 v[4:5], v0, -1
	v_add_u32_e32 v0, 19, v13
	v_lshlrev_b64 v[8:9], v0, 1
	v_bfi_b32 v5, v5, 0, 0
	v_bfi_b32 v4, v4, 0, v2
	v_cmp_eq_u64_e64 s[40:41], v[4:5], v[8:9]
	v_lshrrev_b64 v[8:9], v13, v[2:3]
	v_mov_b32_e32 v4, v8
	v_mov_b32_e32 v5, v9
	s_and_saveexec_b64 s[52:53], s[40:41]
; %bb.4672:                             ;   in Loop: Header=BB4_3496 Depth=3
	v_bfe_u32 v0, v8, 20, 1
	v_add_co_u32_e64 v0, s[40:41], v8, v0
	v_add_co_u32_e64 v4, s[40:41], -1, v0
; %bb.4673:                             ;   in Loop: Header=BB4_3496 Depth=3
	s_or_b64 exec, exec, s[52:53]
	v_add_u32_e32 v0, 0xffffff81, v7
	v_mov_b32_e32 v2, 0xffffff82
	v_cndmask_b32_e32 v0, v0, v2, vcc
	v_lshrrev_b32_e32 v2, 23, v8
	v_add3_u32 v7, v13, v0, v2
	v_add_u32_e32 v5, 6, v7
	v_and_b32_e32 v0, 0xfffff, v4
	v_add_u32_e32 v2, v0, v8
	v_cmp_ne_u32_e32 vcc, 0, v5
                                        ; implicit-def: $vgpr8_vgpr9
                                        ; implicit-def: $vgpr0
	s_and_saveexec_b64 s[40:41], vcc
	s_xor_b64 s[40:41], exec, s[40:41]
; %bb.4674:                             ;   in Loop: Header=BB4_3496 Depth=3
	v_cmp_lt_u64_e32 vcc, s[88:89], v[2:3]
	v_add_u32_e32 v0, 7, v7
	v_cndmask_b32_e64 v4, 0, 1, vcc
	v_lshrrev_b64 v[8:9], v4, v[2:3]
	v_cndmask_b32_e32 v0, v5, v0, vcc
; %bb.4675:                             ;   in Loop: Header=BB4_3496 Depth=3
	s_andn2_saveexec_b64 s[40:41], s[40:41]
; %bb.4676:                             ;   in Loop: Header=BB4_3496 Depth=3
	v_mov_b32_e32 v9, v3
	v_bfe_u32 v0, v2, 23, 1
	v_mov_b32_e32 v8, v2
; %bb.4677:                             ;   in Loop: Header=BB4_3496 Depth=3
	s_or_b64 exec, exec, s[40:41]
	v_lshrrev_b64 v[4:5], 20, v[8:9]
	v_cmp_gt_i32_e32 vcc, 16, v0
	v_cndmask_b32_e32 v5, 0, v5, vcc
	v_cndmask_b32_e32 v4, 7, v4, vcc
	v_cmp_eq_u32_e32 vcc, 0, v0
	v_min_i32_e32 v0, 15, v0
	v_cmp_eq_u64_e64 s[40:41], 0, v[4:5]
	v_lshlrev_b32_e32 v0, 3, v0
	v_and_b32_e32 v0, 0xf8, v0
	v_and_or_b32 v0, v4, 7, v0
	s_and_b64 s[40:41], vcc, s[40:41]
	v_cndmask_b32_e64 v0, v0, 0, s[40:41]
	v_or_b32_e32 v55, v0, v12
.LBB4_4678:                             ;   in Loop: Header=BB4_3496 Depth=3
	s_or_b64 exec, exec, s[50:51]
                                        ; implicit-def: $vgpr12
.LBB4_4679:                             ;   in Loop: Header=BB4_3496 Depth=3
	s_andn2_saveexec_b64 s[40:41], s[48:49]
; %bb.4680:                             ;   in Loop: Header=BB4_3496 Depth=3
	v_or_b32_e32 v55, 0x7e, v12
; %bb.4681:                             ;   in Loop: Header=BB4_3496 Depth=3
	s_or_b64 exec, exec, s[40:41]
                                        ; implicit-def: $vgpr4
.LBB4_4682:                             ;   in Loop: Header=BB4_3496 Depth=3
	s_andn2_saveexec_b64 s[40:41], s[38:39]
; %bb.4683:                             ;   in Loop: Header=BB4_3496 Depth=3
	v_or_b32_sdwa v55, v4, s81 dst_sel:DWORD dst_unused:UNUSED_PAD src0_sel:BYTE_3 src1_sel:DWORD
; %bb.4684:                             ;   in Loop: Header=BB4_3496 Depth=3
	s_or_b64 exec, exec, s[40:41]
	v_lshrrev_b32_e32 v8, 24, v14
	v_lshrrev_b32_e32 v2, 24, v10
	v_cmp_lt_u32_e64 s[40:41], s63, v14
	s_and_b64 vcc, exec, s[28:29]
	s_mov_b64 s[38:39], -1
                                        ; implicit-def: $vgpr4
	s_cbranch_vccnz .LBB4_4698
; %bb.4685:                             ;   in Loop: Header=BB4_3496 Depth=3
	v_mov_b32_e32 v5, 0
	v_mov_b32_e32 v4, 0
	s_and_saveexec_b64 s[38:39], s[40:41]
	s_cbranch_execz .LBB4_4691
; %bb.4686:                             ;   in Loop: Header=BB4_3496 Depth=3
	v_cmp_ne_u32_e32 vcc, s80, v8
	v_bfrev_b32_e32 v4, 1
	s_and_saveexec_b64 s[48:49], vcc
	s_cbranch_execz .LBB4_4690
; %bb.4687:                             ;   in Loop: Header=BB4_3496 Depth=3
	v_bfe_u32 v0, v14, 24, 7
	v_cmp_ne_u32_e32 vcc, s81, v0
	v_mov_b32_e32 v4, 0x7f800001
	s_and_saveexec_b64 s[50:51], vcc
	s_cbranch_execz .LBB4_4689
; %bb.4688:                             ;   in Loop: Header=BB4_3496 Depth=3
	v_and_b32_e32 v4, 7, v8
	v_lshrrev_b32_e32 v7, 3, v0
	v_cmp_gt_u32_e32 vcc, 8, v0
	v_ffbh_u32_e32 v0, v4
	v_min_u32_e32 v0, 32, v0
	v_subrev_u32_e32 v9, 28, v0
	v_lshlrev_b64 v[12:13], v9, v[8:9]
	v_sub_u32_e32 v0, 29, v0
	v_and_b32_e32 v9, 7, v12
	v_cndmask_b32_e32 v0, v7, v0, vcc
	v_cndmask_b32_e32 v4, v4, v9, vcc
	v_lshlrev_b32_e32 v7, 24, v8
	v_lshlrev_b32_e32 v4, 20, v4
	v_and_b32_e32 v7, 0x80000000, v7
	v_lshl_add_u32 v0, v0, 23, v54
	v_or3_b32 v4, v7, v0, v4
.LBB4_4689:                             ;   in Loop: Header=BB4_3496 Depth=3
	s_or_b64 exec, exec, s[50:51]
.LBB4_4690:                             ;   in Loop: Header=BB4_3496 Depth=3
	s_or_b64 exec, exec, s[48:49]
.LBB4_4691:                             ;   in Loop: Header=BB4_3496 Depth=3
	s_or_b64 exec, exec, s[38:39]
	v_cmp_lt_u32_e32 vcc, s63, v10
	s_and_saveexec_b64 s[38:39], vcc
	s_cbranch_execz .LBB4_4697
; %bb.4692:                             ;   in Loop: Header=BB4_3496 Depth=3
	v_cmp_ne_u32_e32 vcc, s80, v2
	v_bfrev_b32_e32 v5, 1
	s_and_saveexec_b64 s[48:49], vcc
	s_cbranch_execz .LBB4_4696
; %bb.4693:                             ;   in Loop: Header=BB4_3496 Depth=3
	v_bfe_u32 v0, v10, 24, 7
	v_cmp_ne_u32_e32 vcc, s81, v0
	v_mov_b32_e32 v5, 0x7f800001
	s_and_saveexec_b64 s[50:51], vcc
	s_cbranch_execz .LBB4_4695
; %bb.4694:                             ;   in Loop: Header=BB4_3496 Depth=3
	v_and_b32_e32 v5, 7, v2
	v_lshrrev_b32_e32 v7, 3, v0
	v_cmp_gt_u32_e32 vcc, 8, v0
	v_ffbh_u32_e32 v0, v5
	v_min_u32_e32 v0, 32, v0
	v_subrev_u32_e32 v9, 28, v0
	v_lshlrev_b64 v[12:13], v9, v[2:3]
	v_sub_u32_e32 v0, 29, v0
	v_and_b32_e32 v9, 7, v12
	v_cndmask_b32_e32 v0, v7, v0, vcc
	v_cndmask_b32_e32 v5, v5, v9, vcc
	v_lshlrev_b32_e32 v7, 24, v2
	v_lshlrev_b32_e32 v5, 20, v5
	v_and_b32_e32 v7, 0x80000000, v7
	v_lshl_add_u32 v0, v0, 23, v54
	v_or3_b32 v5, v7, v0, v5
.LBB4_4695:                             ;   in Loop: Header=BB4_3496 Depth=3
	s_or_b64 exec, exec, s[50:51]
.LBB4_4696:                             ;   in Loop: Header=BB4_3496 Depth=3
	s_or_b64 exec, exec, s[48:49]
.LBB4_4697:                             ;   in Loop: Header=BB4_3496 Depth=3
	s_or_b64 exec, exec, s[38:39]
	v_max_f32_e32 v0, v5, v5
	v_max_f32_e32 v4, v4, v4
	;; [unrolled: 1-line block ×3, first 2 shown]
	s_mov_b64 s[38:39], 0
.LBB4_4698:                             ;   in Loop: Header=BB4_3496 Depth=3
	s_and_b64 vcc, exec, s[38:39]
	s_cbranch_vccz .LBB4_4712
; %bb.4699:                             ;   in Loop: Header=BB4_3496 Depth=3
	v_mov_b32_e32 v5, 0
	v_mov_b32_e32 v4, 0
	s_and_saveexec_b64 s[38:39], s[40:41]
	s_cbranch_execz .LBB4_4705
; %bb.4700:                             ;   in Loop: Header=BB4_3496 Depth=3
	v_cmp_ne_u32_e32 vcc, s80, v8
	v_bfrev_b32_e32 v4, 1
	s_and_saveexec_b64 s[40:41], vcc
	s_cbranch_execz .LBB4_4704
; %bb.4701:                             ;   in Loop: Header=BB4_3496 Depth=3
	v_bfe_u32 v0, v14, 24, 7
	v_cmp_ne_u32_e32 vcc, s81, v0
	v_mov_b32_e32 v4, 0x7f800001
	s_and_saveexec_b64 s[48:49], vcc
	s_cbranch_execz .LBB4_4703
; %bb.4702:                             ;   in Loop: Header=BB4_3496 Depth=3
	v_and_b32_e32 v4, 7, v8
	v_lshrrev_b32_e32 v7, 3, v0
	v_cmp_gt_u32_e32 vcc, 8, v0
	v_ffbh_u32_e32 v0, v4
	v_min_u32_e32 v0, 32, v0
	v_subrev_u32_e32 v9, 28, v0
	v_lshlrev_b64 v[12:13], v9, v[8:9]
	v_sub_u32_e32 v0, 29, v0
	v_and_b32_e32 v9, 7, v12
	v_cndmask_b32_e32 v0, v7, v0, vcc
	v_cndmask_b32_e32 v4, v4, v9, vcc
	v_lshlrev_b32_e32 v7, 24, v8
	v_lshlrev_b32_e32 v4, 20, v4
	v_and_b32_e32 v7, 0x80000000, v7
	v_lshl_add_u32 v0, v0, 23, v54
	v_or3_b32 v4, v7, v0, v4
.LBB4_4703:                             ;   in Loop: Header=BB4_3496 Depth=3
	s_or_b64 exec, exec, s[48:49]
.LBB4_4704:                             ;   in Loop: Header=BB4_3496 Depth=3
	s_or_b64 exec, exec, s[40:41]
.LBB4_4705:                             ;   in Loop: Header=BB4_3496 Depth=3
	s_or_b64 exec, exec, s[38:39]
	v_cmp_lt_u32_e32 vcc, s63, v10
	s_and_saveexec_b64 s[40:41], vcc
	s_cbranch_execz .LBB4_4711
; %bb.4706:                             ;   in Loop: Header=BB4_3496 Depth=3
	v_cmp_ne_u32_e32 vcc, s80, v2
	v_bfrev_b32_e32 v5, 1
	s_and_saveexec_b64 s[38:39], vcc
	s_cbranch_execz .LBB4_4710
; %bb.4707:                             ;   in Loop: Header=BB4_3496 Depth=3
	v_bfe_u32 v0, v10, 24, 7
	v_cmp_ne_u32_e32 vcc, s81, v0
	v_mov_b32_e32 v5, 0x7f800001
	s_and_saveexec_b64 s[48:49], vcc
	s_cbranch_execz .LBB4_4709
; %bb.4708:                             ;   in Loop: Header=BB4_3496 Depth=3
	v_and_b32_e32 v5, 7, v2
	v_lshrrev_b32_e32 v9, 3, v0
	v_cmp_gt_u32_e32 vcc, 8, v0
	v_ffbh_u32_e32 v0, v5
	v_min_u32_e32 v0, 32, v0
	v_subrev_u32_e32 v7, 28, v0
	v_lshlrev_b64 v[7:8], v7, v[2:3]
	v_sub_u32_e32 v0, 29, v0
	v_and_b32_e32 v7, 7, v7
	v_cndmask_b32_e32 v0, v9, v0, vcc
	v_cndmask_b32_e32 v5, v5, v7, vcc
	v_lshlrev_b32_e32 v2, 24, v2
	v_lshlrev_b32_e32 v5, 20, v5
	v_and_b32_e32 v2, 0x80000000, v2
	v_lshl_add_u32 v0, v0, 23, v54
	v_or3_b32 v5, v2, v0, v5
.LBB4_4709:                             ;   in Loop: Header=BB4_3496 Depth=3
	s_or_b64 exec, exec, s[48:49]
.LBB4_4710:                             ;   in Loop: Header=BB4_3496 Depth=3
	s_or_b64 exec, exec, s[38:39]
.LBB4_4711:                             ;   in Loop: Header=BB4_3496 Depth=3
	s_or_b64 exec, exec, s[40:41]
	v_max_f32_e32 v0, v5, v5
	v_max_f32_e32 v2, v4, v4
	v_min_f32_e32 v4, v2, v0
.LBB4_4712:                             ;   in Loop: Header=BB4_3496 Depth=3
	v_and_b32_e32 v2, 0x7f800000, v4
	v_cmp_ne_u64_e32 vcc, s[76:77], v[2:3]
                                        ; implicit-def: $vgpr42
	s_and_saveexec_b64 s[40:41], vcc
	s_xor_b64 s[38:39], exec, s[40:41]
	s_cbranch_execz .LBB4_4726
; %bb.4713:                             ;   in Loop: Header=BB4_3496 Depth=3
	v_and_b32_e32 v2, 0x7fffffff, v4
	v_cmp_gt_u64_e32 vcc, s[78:79], v[2:3]
	v_and_b32_sdwa v12, v4, s80 dst_sel:DWORD dst_unused:UNUSED_PAD src0_sel:BYTE_3 src1_sel:DWORD
                                        ; implicit-def: $vgpr42
	s_and_saveexec_b64 s[40:41], vcc
	s_xor_b64 s[48:49], exec, s[40:41]
	s_cbranch_execz .LBB4_4723
; %bb.4714:                             ;   in Loop: Header=BB4_3496 Depth=3
	v_mov_b32_e32 v42, 0
	v_cmp_ne_u32_e32 vcc, 0, v4
	s_and_saveexec_b64 s[50:51], vcc
	s_cbranch_execz .LBB4_4722
; %bb.4715:                             ;   in Loop: Header=BB4_3496 Depth=3
	v_bfe_u32 v7, v4, 23, 8
	v_cmp_gt_u32_e64 s[40:41], s83, v7
	v_sub_u32_e32 v2, 0x79, v7
	v_and_b32_e32 v0, 0x7fffff, v4
	v_cmp_eq_u32_e32 vcc, 0, v7
	v_cndmask_b32_e64 v2, 0, v2, s[40:41]
	v_mov_b32_e32 v5, 0x78
	v_or_b32_e32 v4, 0x800000, v0
	v_cndmask_b32_e32 v13, v2, v5, vcc
	v_cndmask_b32_e32 v2, v4, v0, vcc
	v_add_u32_e32 v0, 20, v13
	v_lshlrev_b64 v[4:5], v0, -1
	v_add_u32_e32 v0, 19, v13
	v_lshlrev_b64 v[8:9], v0, 1
	v_bfi_b32 v5, v5, 0, 0
	v_bfi_b32 v4, v4, 0, v2
	v_cmp_eq_u64_e64 s[40:41], v[4:5], v[8:9]
	v_lshrrev_b64 v[8:9], v13, v[2:3]
	v_mov_b32_e32 v4, v8
	v_mov_b32_e32 v5, v9
	s_and_saveexec_b64 s[52:53], s[40:41]
; %bb.4716:                             ;   in Loop: Header=BB4_3496 Depth=3
	v_bfe_u32 v0, v8, 20, 1
	v_add_co_u32_e64 v0, s[40:41], v8, v0
	v_add_co_u32_e64 v4, s[40:41], -1, v0
; %bb.4717:                             ;   in Loop: Header=BB4_3496 Depth=3
	s_or_b64 exec, exec, s[52:53]
	v_add_u32_e32 v0, 0xffffff81, v7
	v_mov_b32_e32 v2, 0xffffff82
	v_cndmask_b32_e32 v0, v0, v2, vcc
	v_lshrrev_b32_e32 v2, 23, v8
	v_add3_u32 v7, v13, v0, v2
	v_add_u32_e32 v5, 6, v7
	v_and_b32_e32 v0, 0xfffff, v4
	v_add_u32_e32 v2, v0, v8
	v_cmp_ne_u32_e32 vcc, 0, v5
                                        ; implicit-def: $vgpr8_vgpr9
                                        ; implicit-def: $vgpr0
	s_and_saveexec_b64 s[40:41], vcc
	s_xor_b64 s[40:41], exec, s[40:41]
; %bb.4718:                             ;   in Loop: Header=BB4_3496 Depth=3
	v_cmp_lt_u64_e32 vcc, s[88:89], v[2:3]
	v_add_u32_e32 v0, 7, v7
	v_cndmask_b32_e64 v4, 0, 1, vcc
	v_lshrrev_b64 v[8:9], v4, v[2:3]
	v_cndmask_b32_e32 v0, v5, v0, vcc
; %bb.4719:                             ;   in Loop: Header=BB4_3496 Depth=3
	s_andn2_saveexec_b64 s[40:41], s[40:41]
; %bb.4720:                             ;   in Loop: Header=BB4_3496 Depth=3
	v_mov_b32_e32 v9, v3
	v_bfe_u32 v0, v2, 23, 1
	v_mov_b32_e32 v8, v2
; %bb.4721:                             ;   in Loop: Header=BB4_3496 Depth=3
	s_or_b64 exec, exec, s[40:41]
	v_lshrrev_b64 v[4:5], 20, v[8:9]
	v_cmp_gt_i32_e32 vcc, 16, v0
	v_cndmask_b32_e32 v5, 0, v5, vcc
	v_cndmask_b32_e32 v4, 7, v4, vcc
	v_cmp_eq_u32_e32 vcc, 0, v0
	v_min_i32_e32 v0, 15, v0
	v_cmp_eq_u64_e64 s[40:41], 0, v[4:5]
	v_lshlrev_b32_e32 v0, 3, v0
	v_and_b32_e32 v0, 0xf8, v0
	v_and_or_b32 v0, v4, 7, v0
	s_and_b64 s[40:41], vcc, s[40:41]
	v_cndmask_b32_e64 v0, v0, 0, s[40:41]
	v_or_b32_e32 v42, v0, v12
.LBB4_4722:                             ;   in Loop: Header=BB4_3496 Depth=3
	s_or_b64 exec, exec, s[50:51]
                                        ; implicit-def: $vgpr12
.LBB4_4723:                             ;   in Loop: Header=BB4_3496 Depth=3
	s_andn2_saveexec_b64 s[40:41], s[48:49]
; %bb.4724:                             ;   in Loop: Header=BB4_3496 Depth=3
	v_or_b32_e32 v42, 0x7e, v12
; %bb.4725:                             ;   in Loop: Header=BB4_3496 Depth=3
	s_or_b64 exec, exec, s[40:41]
                                        ; implicit-def: $vgpr4
.LBB4_4726:                             ;   in Loop: Header=BB4_3496 Depth=3
	s_andn2_saveexec_b64 s[40:41], s[38:39]
; %bb.4727:                             ;   in Loop: Header=BB4_3496 Depth=3
	v_or_b32_sdwa v42, v4, s81 dst_sel:DWORD dst_unused:UNUSED_PAD src0_sel:BYTE_3 src1_sel:DWORD
; %bb.4728:                             ;   in Loop: Header=BB4_3496 Depth=3
	s_or_b64 exec, exec, s[40:41]
	v_mov_b32_e32 v2, v15
	v_mov_b32_e32 v8, v11
	;; [unrolled: 1-line block ×3, first 2 shown]
	v_cmp_ne_u16_sdwa s[40:41], v15, v3 src0_sel:BYTE_0 src1_sel:DWORD
	s_and_b64 vcc, exec, s[28:29]
	s_mov_b64 s[38:39], -1
                                        ; implicit-def: $vgpr4
	s_cbranch_vccnz .LBB4_4742
; %bb.4729:                             ;   in Loop: Header=BB4_3496 Depth=3
	v_mov_b32_e32 v5, 0
	v_mov_b32_e32 v4, 0
	s_and_saveexec_b64 s[38:39], s[40:41]
	s_cbranch_execz .LBB4_4735
; %bb.4730:                             ;   in Loop: Header=BB4_3496 Depth=3
	v_cmp_ne_u16_sdwa vcc, v15, s80 src0_sel:BYTE_0 src1_sel:DWORD
	v_bfrev_b32_e32 v4, 1
	s_and_saveexec_b64 s[48:49], vcc
	s_cbranch_execz .LBB4_4734
; %bb.4731:                             ;   in Loop: Header=BB4_3496 Depth=3
	v_and_b32_e32 v0, 0x7f, v15
	v_cmp_ne_u32_e32 vcc, s81, v0
	v_mov_b32_e32 v4, 0x7f800001
	s_and_saveexec_b64 s[50:51], vcc
	s_cbranch_execz .LBB4_4733
; %bb.4732:                             ;   in Loop: Header=BB4_3496 Depth=3
	v_and_b32_e32 v4, 7, v15
	v_lshrrev_b32_e32 v7, 3, v0
	v_cmp_gt_u32_e32 vcc, 8, v0
	v_ffbh_u32_e32 v0, v4
	v_min_u32_e32 v0, 32, v0
	v_subrev_u32_e32 v4, 28, v0
	v_cndmask_b32_e32 v4, 0, v4, vcc
	v_lshlrev_b64 v[12:13], v4, v[2:3]
	v_sub_u32_e32 v0, 29, v0
	v_cndmask_b32_e32 v0, v7, v0, vcc
	v_lshlrev_b32_e32 v4, 20, v12
	v_lshlrev_b32_e32 v7, 24, v2
	v_and_b32_e32 v4, 0x700000, v4
	v_and_b32_e32 v7, 0x80000000, v7
	v_lshl_add_u32 v0, v0, 23, v54
	v_or3_b32 v4, v7, v0, v4
.LBB4_4733:                             ;   in Loop: Header=BB4_3496 Depth=3
	s_or_b64 exec, exec, s[50:51]
.LBB4_4734:                             ;   in Loop: Header=BB4_3496 Depth=3
	s_or_b64 exec, exec, s[48:49]
.LBB4_4735:                             ;   in Loop: Header=BB4_3496 Depth=3
	s_or_b64 exec, exec, s[38:39]
	v_cmp_ne_u16_sdwa vcc, v11, v3 src0_sel:BYTE_0 src1_sel:DWORD
	s_and_saveexec_b64 s[38:39], vcc
	s_cbranch_execz .LBB4_4741
; %bb.4736:                             ;   in Loop: Header=BB4_3496 Depth=3
	v_cmp_ne_u16_sdwa vcc, v11, s80 src0_sel:BYTE_0 src1_sel:DWORD
	v_bfrev_b32_e32 v5, 1
	s_and_saveexec_b64 s[48:49], vcc
	s_cbranch_execz .LBB4_4740
; %bb.4737:                             ;   in Loop: Header=BB4_3496 Depth=3
	v_and_b32_e32 v0, 0x7f, v11
	v_cmp_ne_u32_e32 vcc, s81, v0
	v_mov_b32_e32 v5, 0x7f800001
	s_and_saveexec_b64 s[50:51], vcc
	s_cbranch_execz .LBB4_4739
; %bb.4738:                             ;   in Loop: Header=BB4_3496 Depth=3
	v_and_b32_e32 v5, 7, v11
	v_lshrrev_b32_e32 v7, 3, v0
	v_cmp_gt_u32_e32 vcc, 8, v0
	v_ffbh_u32_e32 v0, v5
	v_min_u32_e32 v0, 32, v0
	v_subrev_u32_e32 v5, 28, v0
	v_cndmask_b32_e32 v5, 0, v5, vcc
	v_lshlrev_b64 v[12:13], v5, v[8:9]
	v_sub_u32_e32 v0, 29, v0
	v_cndmask_b32_e32 v0, v7, v0, vcc
	v_lshlrev_b32_e32 v5, 20, v12
	v_lshlrev_b32_e32 v7, 24, v8
	v_and_b32_e32 v5, 0x700000, v5
	v_and_b32_e32 v7, 0x80000000, v7
	v_lshl_add_u32 v0, v0, 23, v54
	v_or3_b32 v5, v7, v0, v5
.LBB4_4739:                             ;   in Loop: Header=BB4_3496 Depth=3
	s_or_b64 exec, exec, s[50:51]
.LBB4_4740:                             ;   in Loop: Header=BB4_3496 Depth=3
	s_or_b64 exec, exec, s[48:49]
.LBB4_4741:                             ;   in Loop: Header=BB4_3496 Depth=3
	s_or_b64 exec, exec, s[38:39]
	v_max_f32_e32 v0, v5, v5
	v_max_f32_e32 v4, v4, v4
	;; [unrolled: 1-line block ×3, first 2 shown]
	s_mov_b64 s[38:39], 0
.LBB4_4742:                             ;   in Loop: Header=BB4_3496 Depth=3
	s_and_b64 vcc, exec, s[38:39]
	s_cbranch_vccz .LBB4_4756
; %bb.4743:                             ;   in Loop: Header=BB4_3496 Depth=3
	v_mov_b32_e32 v5, 0
	v_mov_b32_e32 v4, 0
	s_and_saveexec_b64 s[38:39], s[40:41]
	s_cbranch_execz .LBB4_4749
; %bb.4744:                             ;   in Loop: Header=BB4_3496 Depth=3
	v_cmp_ne_u16_sdwa vcc, v15, s80 src0_sel:BYTE_0 src1_sel:DWORD
	v_bfrev_b32_e32 v4, 1
	s_and_saveexec_b64 s[40:41], vcc
	s_cbranch_execz .LBB4_4748
; %bb.4745:                             ;   in Loop: Header=BB4_3496 Depth=3
	v_and_b32_e32 v0, 0x7f, v15
	v_cmp_ne_u32_e32 vcc, s81, v0
	v_mov_b32_e32 v4, 0x7f800001
	s_and_saveexec_b64 s[48:49], vcc
	s_cbranch_execz .LBB4_4747
; %bb.4746:                             ;   in Loop: Header=BB4_3496 Depth=3
	v_and_b32_e32 v4, 7, v15
	v_lshrrev_b32_e32 v7, 3, v0
	v_cmp_gt_u32_e32 vcc, 8, v0
	v_ffbh_u32_e32 v0, v4
	v_min_u32_e32 v0, 32, v0
	v_subrev_u32_e32 v4, 28, v0
	v_cndmask_b32_e32 v4, 0, v4, vcc
	v_lshlrev_b64 v[12:13], v4, v[2:3]
	v_sub_u32_e32 v0, 29, v0
	v_cndmask_b32_e32 v0, v7, v0, vcc
	v_lshlrev_b32_e32 v4, 20, v12
	v_lshlrev_b32_e32 v7, 24, v2
	v_and_b32_e32 v4, 0x700000, v4
	v_and_b32_e32 v7, 0x80000000, v7
	v_lshl_add_u32 v0, v0, 23, v54
	v_or3_b32 v4, v7, v0, v4
.LBB4_4747:                             ;   in Loop: Header=BB4_3496 Depth=3
	s_or_b64 exec, exec, s[48:49]
.LBB4_4748:                             ;   in Loop: Header=BB4_3496 Depth=3
	s_or_b64 exec, exec, s[40:41]
.LBB4_4749:                             ;   in Loop: Header=BB4_3496 Depth=3
	s_or_b64 exec, exec, s[38:39]
	v_cmp_ne_u16_sdwa vcc, v11, v3 src0_sel:BYTE_0 src1_sel:DWORD
	s_and_saveexec_b64 s[40:41], vcc
	s_cbranch_execz .LBB4_4755
; %bb.4750:                             ;   in Loop: Header=BB4_3496 Depth=3
	v_cmp_ne_u16_sdwa vcc, v11, s80 src0_sel:BYTE_0 src1_sel:DWORD
	v_bfrev_b32_e32 v5, 1
	s_and_saveexec_b64 s[38:39], vcc
	s_cbranch_execz .LBB4_4754
; %bb.4751:                             ;   in Loop: Header=BB4_3496 Depth=3
	v_and_b32_e32 v0, 0x7f, v11
	v_cmp_ne_u32_e32 vcc, s81, v0
	v_mov_b32_e32 v5, 0x7f800001
	s_and_saveexec_b64 s[48:49], vcc
	s_cbranch_execz .LBB4_4753
; %bb.4752:                             ;   in Loop: Header=BB4_3496 Depth=3
	v_and_b32_e32 v5, 7, v11
	v_lshrrev_b32_e32 v7, 3, v0
	v_cmp_gt_u32_e32 vcc, 8, v0
	v_ffbh_u32_e32 v0, v5
	v_min_u32_e32 v0, 32, v0
	v_subrev_u32_e32 v5, 28, v0
	v_cndmask_b32_e32 v5, 0, v5, vcc
	v_lshlrev_b64 v[12:13], v5, v[8:9]
	v_sub_u32_e32 v0, 29, v0
	v_cndmask_b32_e32 v0, v7, v0, vcc
	v_lshlrev_b32_e32 v5, 20, v12
	v_lshlrev_b32_e32 v7, 24, v8
	v_and_b32_e32 v5, 0x700000, v5
	v_and_b32_e32 v7, 0x80000000, v7
	v_lshl_add_u32 v0, v0, 23, v54
	v_or3_b32 v5, v7, v0, v5
.LBB4_4753:                             ;   in Loop: Header=BB4_3496 Depth=3
	s_or_b64 exec, exec, s[48:49]
.LBB4_4754:                             ;   in Loop: Header=BB4_3496 Depth=3
	s_or_b64 exec, exec, s[38:39]
.LBB4_4755:                             ;   in Loop: Header=BB4_3496 Depth=3
	s_or_b64 exec, exec, s[40:41]
	v_max_f32_e32 v0, v5, v5
	v_max_f32_e32 v4, v4, v4
	v_min_f32_e32 v4, v4, v0
.LBB4_4756:                             ;   in Loop: Header=BB4_3496 Depth=3
	v_and_b32_e32 v12, 0x7f800000, v4
	v_mov_b32_e32 v13, v3
	v_cmp_ne_u64_e32 vcc, s[76:77], v[12:13]
                                        ; implicit-def: $vgpr13
	s_and_saveexec_b64 s[40:41], vcc
	s_xor_b64 s[38:39], exec, s[40:41]
	s_cbranch_execz .LBB4_4770
; %bb.4757:                             ;   in Loop: Header=BB4_3496 Depth=3
	v_and_b32_e32 v12, 0x7fffffff, v4
	v_mov_b32_e32 v13, v3
	v_cmp_gt_u64_e32 vcc, s[78:79], v[12:13]
	v_and_b32_sdwa v9, v4, s80 dst_sel:DWORD dst_unused:UNUSED_PAD src0_sel:BYTE_3 src1_sel:DWORD
                                        ; implicit-def: $vgpr13
	s_and_saveexec_b64 s[40:41], vcc
	s_xor_b64 s[48:49], exec, s[40:41]
	s_cbranch_execz .LBB4_4767
; %bb.4758:                             ;   in Loop: Header=BB4_3496 Depth=3
	v_mov_b32_e32 v13, 0
	v_cmp_ne_u32_e32 vcc, 0, v4
	s_and_saveexec_b64 s[50:51], vcc
	s_cbranch_execz .LBB4_4766
; %bb.4759:                             ;   in Loop: Header=BB4_3496 Depth=3
	v_bfe_u32 v7, v4, 23, 8
	v_and_b32_e32 v0, 0x7fffff, v4
	v_cmp_gt_u32_e64 s[40:41], s83, v7
	v_sub_u32_e32 v4, 0x79, v7
	v_cmp_eq_u32_e32 vcc, 0, v7
	v_cndmask_b32_e64 v4, 0, v4, s[40:41]
	v_mov_b32_e32 v12, 0x78
	v_or_b32_e32 v5, 0x800000, v0
	v_cndmask_b32_e32 v44, v4, v12, vcc
	v_cndmask_b32_e32 v4, v5, v0, vcc
	v_add_u32_e32 v0, 20, v44
	v_lshlrev_b64 v[12:13], v0, -1
	v_add_u32_e32 v0, 19, v44
	v_lshlrev_b64 v[50:51], v0, 1
	v_mov_b32_e32 v5, v3
	v_bfi_b32 v13, v13, 0, 0
	v_bfi_b32 v12, v12, 0, v4
	v_cmp_eq_u64_e64 s[40:41], v[12:13], v[50:51]
	v_lshrrev_b64 v[12:13], v44, v[4:5]
	v_mov_b32_e32 v4, v12
	v_mov_b32_e32 v5, v13
	s_and_saveexec_b64 s[52:53], s[40:41]
; %bb.4760:                             ;   in Loop: Header=BB4_3496 Depth=3
	v_bfe_u32 v0, v12, 20, 1
	v_add_co_u32_e64 v0, s[40:41], v12, v0
	v_add_co_u32_e64 v4, s[40:41], -1, v0
; %bb.4761:                             ;   in Loop: Header=BB4_3496 Depth=3
	s_or_b64 exec, exec, s[52:53]
	v_add_u32_e32 v0, 0xffffff81, v7
	v_mov_b32_e32 v5, 0xffffff82
	v_cndmask_b32_e32 v0, v0, v5, vcc
	v_lshrrev_b32_e32 v5, 23, v12
	v_add3_u32 v7, v44, v0, v5
	v_add_u32_e32 v5, 6, v7
	v_and_b32_e32 v0, 0xfffff, v4
	v_add_u32_e32 v12, v0, v12
	v_mov_b32_e32 v13, v3
	v_cmp_ne_u32_e32 vcc, 0, v5
                                        ; implicit-def: $vgpr0
	s_and_saveexec_b64 s[40:41], vcc
	s_xor_b64 s[40:41], exec, s[40:41]
; %bb.4762:                             ;   in Loop: Header=BB4_3496 Depth=3
	v_cmp_lt_u64_e32 vcc, s[88:89], v[12:13]
	v_add_u32_e32 v0, 7, v7
	v_cndmask_b32_e64 v4, 0, 1, vcc
	v_lshrrev_b64 v[12:13], v4, v[12:13]
	v_cndmask_b32_e32 v0, v5, v0, vcc
; %bb.4763:                             ;   in Loop: Header=BB4_3496 Depth=3
	s_andn2_saveexec_b64 s[40:41], s[40:41]
; %bb.4764:                             ;   in Loop: Header=BB4_3496 Depth=3
	v_bfe_u32 v0, v12, 23, 1
; %bb.4765:                             ;   in Loop: Header=BB4_3496 Depth=3
	s_or_b64 exec, exec, s[40:41]
	v_lshrrev_b64 v[4:5], 20, v[12:13]
	v_cmp_gt_i32_e32 vcc, 16, v0
	v_cndmask_b32_e32 v5, 0, v5, vcc
	v_cndmask_b32_e32 v4, 7, v4, vcc
	v_cmp_eq_u32_e32 vcc, 0, v0
	v_min_i32_e32 v0, 15, v0
	v_cmp_eq_u64_e64 s[40:41], 0, v[4:5]
	v_lshlrev_b32_e32 v0, 3, v0
	v_and_b32_e32 v0, 0xf8, v0
	v_and_or_b32 v0, v4, 7, v0
	s_and_b64 s[40:41], vcc, s[40:41]
	v_cndmask_b32_e64 v0, v0, 0, s[40:41]
	v_or_b32_e32 v13, v0, v9
.LBB4_4766:                             ;   in Loop: Header=BB4_3496 Depth=3
	s_or_b64 exec, exec, s[50:51]
                                        ; implicit-def: $vgpr9
.LBB4_4767:                             ;   in Loop: Header=BB4_3496 Depth=3
	s_andn2_saveexec_b64 s[40:41], s[48:49]
; %bb.4768:                             ;   in Loop: Header=BB4_3496 Depth=3
	v_or_b32_e32 v13, 0x7e, v9
; %bb.4769:                             ;   in Loop: Header=BB4_3496 Depth=3
	s_or_b64 exec, exec, s[40:41]
                                        ; implicit-def: $vgpr4
.LBB4_4770:                             ;   in Loop: Header=BB4_3496 Depth=3
	s_andn2_saveexec_b64 s[40:41], s[38:39]
; %bb.4771:                             ;   in Loop: Header=BB4_3496 Depth=3
	v_or_b32_sdwa v13, v4, s81 dst_sel:DWORD dst_unused:UNUSED_PAD src0_sel:BYTE_3 src1_sel:DWORD
; %bb.4772:                             ;   in Loop: Header=BB4_3496 Depth=3
	s_or_b64 exec, exec, s[40:41]
	v_lshrrev_b16_e32 v12, 8, v2
	v_lshrrev_b16_e32 v9, 8, v8
	v_cmp_ne_u16_e64 s[40:41], 0, v12
	s_and_b64 vcc, exec, s[28:29]
	s_mov_b64 s[38:39], -1
                                        ; implicit-def: $vgpr4
	s_cbranch_vccnz .LBB4_4786
; %bb.4773:                             ;   in Loop: Header=BB4_3496 Depth=3
	v_mov_b32_e32 v5, 0
	v_mov_b32_e32 v4, 0
	s_and_saveexec_b64 s[38:39], s[40:41]
	s_cbranch_execz .LBB4_4779
; %bb.4774:                             ;   in Loop: Header=BB4_3496 Depth=3
	v_cmp_ne_u16_e32 vcc, s80, v12
	v_bfrev_b32_e32 v4, 1
	s_and_saveexec_b64 s[48:49], vcc
	s_cbranch_execz .LBB4_4778
; %bb.4775:                             ;   in Loop: Header=BB4_3496 Depth=3
	v_and_b32_e32 v0, 0x7f, v12
	v_cmp_ne_u32_e32 vcc, s81, v0
	v_mov_b32_e32 v4, 0x7f800001
	s_and_saveexec_b64 s[50:51], vcc
	s_cbranch_execz .LBB4_4777
; %bb.4776:                             ;   in Loop: Header=BB4_3496 Depth=3
	v_and_b32_e32 v4, 7, v12
	v_lshrrev_b32_e32 v7, 3, v0
	v_cmp_gt_u32_e32 vcc, 8, v0
	v_ffbh_u32_e32 v0, v4
	v_min_u32_e32 v0, 32, v0
	v_subrev_u32_e32 v37, 28, v0
	v_lshlrev_b64 v[50:51], v37, v[12:13]
	v_sub_u32_e32 v0, 29, v0
	v_and_b32_e32 v37, 7, v50
	v_cndmask_b32_e32 v0, v7, v0, vcc
	v_cndmask_b32_e32 v4, v4, v37, vcc
	v_lshlrev_b32_e32 v7, 16, v2
	v_lshlrev_b32_e32 v4, 20, v4
	v_and_b32_e32 v7, 0x80000000, v7
	v_lshl_add_u32 v0, v0, 23, v54
	v_or3_b32 v4, v7, v0, v4
.LBB4_4777:                             ;   in Loop: Header=BB4_3496 Depth=3
	s_or_b64 exec, exec, s[50:51]
.LBB4_4778:                             ;   in Loop: Header=BB4_3496 Depth=3
	s_or_b64 exec, exec, s[48:49]
.LBB4_4779:                             ;   in Loop: Header=BB4_3496 Depth=3
	s_or_b64 exec, exec, s[38:39]
	v_cmp_ne_u16_e32 vcc, 0, v9
	s_and_saveexec_b64 s[38:39], vcc
	s_cbranch_execz .LBB4_4785
; %bb.4780:                             ;   in Loop: Header=BB4_3496 Depth=3
	v_cmp_ne_u16_e32 vcc, s80, v9
	v_bfrev_b32_e32 v5, 1
	s_and_saveexec_b64 s[48:49], vcc
	s_cbranch_execz .LBB4_4784
; %bb.4781:                             ;   in Loop: Header=BB4_3496 Depth=3
	v_and_b32_e32 v0, 0x7f, v9
	v_cmp_ne_u32_e32 vcc, s81, v0
	v_mov_b32_e32 v5, 0x7f800001
	s_and_saveexec_b64 s[50:51], vcc
	s_cbranch_execz .LBB4_4783
; %bb.4782:                             ;   in Loop: Header=BB4_3496 Depth=3
	v_and_b32_e32 v5, 7, v9
	v_lshrrev_b32_e32 v7, 3, v0
	v_cmp_gt_u32_e32 vcc, 8, v0
	v_ffbh_u32_e32 v0, v5
	v_min_u32_e32 v0, 32, v0
	v_subrev_u32_e32 v37, 28, v0
	v_lshlrev_b64 v[50:51], v37, v[9:10]
	v_sub_u32_e32 v0, 29, v0
	v_and_b32_e32 v37, 7, v50
	v_cndmask_b32_e32 v0, v7, v0, vcc
	v_cndmask_b32_e32 v5, v5, v37, vcc
	v_lshlrev_b32_e32 v7, 16, v8
	v_lshlrev_b32_e32 v5, 20, v5
	v_and_b32_e32 v7, 0x80000000, v7
	v_lshl_add_u32 v0, v0, 23, v54
	v_or3_b32 v5, v7, v0, v5
.LBB4_4783:                             ;   in Loop: Header=BB4_3496 Depth=3
	s_or_b64 exec, exec, s[50:51]
.LBB4_4784:                             ;   in Loop: Header=BB4_3496 Depth=3
	s_or_b64 exec, exec, s[48:49]
.LBB4_4785:                             ;   in Loop: Header=BB4_3496 Depth=3
	s_or_b64 exec, exec, s[38:39]
	v_max_f32_e32 v0, v5, v5
	v_max_f32_e32 v4, v4, v4
	;; [unrolled: 1-line block ×3, first 2 shown]
	s_mov_b64 s[38:39], 0
.LBB4_4786:                             ;   in Loop: Header=BB4_3496 Depth=3
	s_and_b64 vcc, exec, s[38:39]
	s_cbranch_vccz .LBB4_4800
; %bb.4787:                             ;   in Loop: Header=BB4_3496 Depth=3
	v_mov_b32_e32 v5, 0
	v_mov_b32_e32 v4, 0
	s_and_saveexec_b64 s[38:39], s[40:41]
	s_cbranch_execz .LBB4_4793
; %bb.4788:                             ;   in Loop: Header=BB4_3496 Depth=3
	v_cmp_ne_u16_e32 vcc, s80, v12
	v_bfrev_b32_e32 v4, 1
	s_and_saveexec_b64 s[40:41], vcc
	s_cbranch_execz .LBB4_4792
; %bb.4789:                             ;   in Loop: Header=BB4_3496 Depth=3
	v_and_b32_e32 v0, 0x7f, v12
	v_cmp_ne_u32_e32 vcc, s81, v0
	v_mov_b32_e32 v4, 0x7f800001
	s_and_saveexec_b64 s[48:49], vcc
	s_cbranch_execz .LBB4_4791
; %bb.4790:                             ;   in Loop: Header=BB4_3496 Depth=3
	v_and_b32_e32 v4, 7, v12
	v_lshrrev_b32_e32 v7, 3, v0
	v_cmp_gt_u32_e32 vcc, 8, v0
	v_ffbh_u32_e32 v0, v4
	v_min_u32_e32 v0, 32, v0
	v_subrev_u32_e32 v37, 28, v0
	v_lshlrev_b64 v[50:51], v37, v[12:13]
	v_sub_u32_e32 v0, 29, v0
	v_and_b32_e32 v12, 7, v50
	v_cndmask_b32_e32 v0, v7, v0, vcc
	v_cndmask_b32_e32 v4, v4, v12, vcc
	v_lshlrev_b32_e32 v2, 16, v2
	v_lshlrev_b32_e32 v4, 20, v4
	v_and_b32_e32 v2, 0x80000000, v2
	v_lshl_add_u32 v0, v0, 23, v54
	v_or3_b32 v4, v2, v0, v4
.LBB4_4791:                             ;   in Loop: Header=BB4_3496 Depth=3
	s_or_b64 exec, exec, s[48:49]
.LBB4_4792:                             ;   in Loop: Header=BB4_3496 Depth=3
	s_or_b64 exec, exec, s[40:41]
.LBB4_4793:                             ;   in Loop: Header=BB4_3496 Depth=3
	s_or_b64 exec, exec, s[38:39]
	v_cmp_ne_u16_e32 vcc, 0, v9
	s_and_saveexec_b64 s[40:41], vcc
	s_cbranch_execz .LBB4_4799
; %bb.4794:                             ;   in Loop: Header=BB4_3496 Depth=3
	v_cmp_ne_u16_e32 vcc, s80, v9
	v_bfrev_b32_e32 v5, 1
	s_and_saveexec_b64 s[38:39], vcc
	s_cbranch_execz .LBB4_4798
; %bb.4795:                             ;   in Loop: Header=BB4_3496 Depth=3
	v_and_b32_e32 v0, 0x7f, v9
	v_cmp_ne_u32_e32 vcc, s81, v0
	v_mov_b32_e32 v5, 0x7f800001
	s_and_saveexec_b64 s[48:49], vcc
	s_cbranch_execz .LBB4_4797
; %bb.4796:                             ;   in Loop: Header=BB4_3496 Depth=3
	v_and_b32_e32 v2, 7, v9
	v_lshrrev_b32_e32 v5, 3, v0
	v_cmp_gt_u32_e32 vcc, 8, v0
	v_ffbh_u32_e32 v0, v2
	v_min_u32_e32 v0, 32, v0
	v_subrev_u32_e32 v7, 28, v0
	v_lshlrev_b64 v[50:51], v7, v[9:10]
	v_sub_u32_e32 v0, 29, v0
	v_and_b32_e32 v7, 7, v50
	v_cndmask_b32_e32 v0, v5, v0, vcc
	v_cndmask_b32_e32 v2, v2, v7, vcc
	v_lshlrev_b32_e32 v5, 16, v8
	v_lshlrev_b32_e32 v2, 20, v2
	v_and_b32_e32 v5, 0x80000000, v5
	v_lshl_add_u32 v0, v0, 23, v54
	v_or3_b32 v5, v5, v0, v2
.LBB4_4797:                             ;   in Loop: Header=BB4_3496 Depth=3
	s_or_b64 exec, exec, s[48:49]
.LBB4_4798:                             ;   in Loop: Header=BB4_3496 Depth=3
	s_or_b64 exec, exec, s[38:39]
.LBB4_4799:                             ;   in Loop: Header=BB4_3496 Depth=3
	s_or_b64 exec, exec, s[40:41]
	v_max_f32_e32 v0, v5, v5
	v_max_f32_e32 v2, v4, v4
	v_min_f32_e32 v4, v2, v0
.LBB4_4800:                             ;   in Loop: Header=BB4_3496 Depth=3
	v_and_b32_e32 v2, 0x7f800000, v4
	v_cmp_ne_u64_e32 vcc, s[76:77], v[2:3]
                                        ; implicit-def: $vgpr12
	s_and_saveexec_b64 s[40:41], vcc
	s_xor_b64 s[38:39], exec, s[40:41]
	s_cbranch_execz .LBB4_4814
; %bb.4801:                             ;   in Loop: Header=BB4_3496 Depth=3
	v_and_b32_e32 v2, 0x7fffffff, v4
	v_cmp_gt_u64_e32 vcc, s[78:79], v[2:3]
	v_and_b32_sdwa v44, v4, s80 dst_sel:DWORD dst_unused:UNUSED_PAD src0_sel:BYTE_3 src1_sel:DWORD
                                        ; implicit-def: $vgpr12
	s_and_saveexec_b64 s[40:41], vcc
	s_xor_b64 s[48:49], exec, s[40:41]
	s_cbranch_execz .LBB4_4811
; %bb.4802:                             ;   in Loop: Header=BB4_3496 Depth=3
	v_mov_b32_e32 v12, 0
	v_cmp_ne_u32_e32 vcc, 0, v4
	s_and_saveexec_b64 s[50:51], vcc
	s_cbranch_execz .LBB4_4810
; %bb.4803:                             ;   in Loop: Header=BB4_3496 Depth=3
	v_bfe_u32 v7, v4, 23, 8
	v_cmp_gt_u32_e64 s[40:41], s83, v7
	v_sub_u32_e32 v2, 0x79, v7
	v_and_b32_e32 v0, 0x7fffff, v4
	v_cmp_eq_u32_e32 vcc, 0, v7
	v_cndmask_b32_e64 v2, 0, v2, s[40:41]
	v_mov_b32_e32 v5, 0x78
	v_or_b32_e32 v4, 0x800000, v0
	v_cndmask_b32_e32 v12, v2, v5, vcc
	v_cndmask_b32_e32 v2, v4, v0, vcc
	v_add_u32_e32 v0, 20, v12
	v_lshlrev_b64 v[4:5], v0, -1
	v_add_u32_e32 v0, 19, v12
	v_lshlrev_b64 v[8:9], v0, 1
	v_bfi_b32 v5, v5, 0, 0
	v_bfi_b32 v4, v4, 0, v2
	v_cmp_eq_u64_e64 s[40:41], v[4:5], v[8:9]
	v_lshrrev_b64 v[8:9], v12, v[2:3]
	v_mov_b32_e32 v4, v8
	v_mov_b32_e32 v5, v9
	s_and_saveexec_b64 s[52:53], s[40:41]
; %bb.4804:                             ;   in Loop: Header=BB4_3496 Depth=3
	v_bfe_u32 v0, v8, 20, 1
	v_add_co_u32_e64 v0, s[40:41], v8, v0
	v_add_co_u32_e64 v4, s[40:41], -1, v0
; %bb.4805:                             ;   in Loop: Header=BB4_3496 Depth=3
	s_or_b64 exec, exec, s[52:53]
	v_add_u32_e32 v0, 0xffffff81, v7
	v_mov_b32_e32 v2, 0xffffff82
	v_cndmask_b32_e32 v0, v0, v2, vcc
	v_lshrrev_b32_e32 v2, 23, v8
	v_add3_u32 v7, v12, v0, v2
	v_add_u32_e32 v5, 6, v7
	v_and_b32_e32 v0, 0xfffff, v4
	v_add_u32_e32 v2, v0, v8
	v_cmp_ne_u32_e32 vcc, 0, v5
                                        ; implicit-def: $vgpr8_vgpr9
                                        ; implicit-def: $vgpr0
	s_and_saveexec_b64 s[40:41], vcc
	s_xor_b64 s[40:41], exec, s[40:41]
; %bb.4806:                             ;   in Loop: Header=BB4_3496 Depth=3
	v_cmp_lt_u64_e32 vcc, s[88:89], v[2:3]
	v_add_u32_e32 v0, 7, v7
	v_cndmask_b32_e64 v4, 0, 1, vcc
	v_lshrrev_b64 v[8:9], v4, v[2:3]
	v_cndmask_b32_e32 v0, v5, v0, vcc
; %bb.4807:                             ;   in Loop: Header=BB4_3496 Depth=3
	s_andn2_saveexec_b64 s[40:41], s[40:41]
; %bb.4808:                             ;   in Loop: Header=BB4_3496 Depth=3
	v_mov_b32_e32 v9, v3
	v_bfe_u32 v0, v2, 23, 1
	v_mov_b32_e32 v8, v2
; %bb.4809:                             ;   in Loop: Header=BB4_3496 Depth=3
	s_or_b64 exec, exec, s[40:41]
	v_lshrrev_b64 v[4:5], 20, v[8:9]
	v_cmp_gt_i32_e32 vcc, 16, v0
	v_cndmask_b32_e32 v5, 0, v5, vcc
	v_cndmask_b32_e32 v4, 7, v4, vcc
	v_cmp_eq_u32_e32 vcc, 0, v0
	v_min_i32_e32 v0, 15, v0
	v_cmp_eq_u64_e64 s[40:41], 0, v[4:5]
	v_lshlrev_b32_e32 v0, 3, v0
	v_and_b32_e32 v0, 0xf8, v0
	v_and_or_b32 v0, v4, 7, v0
	s_and_b64 s[40:41], vcc, s[40:41]
	v_cndmask_b32_e64 v0, v0, 0, s[40:41]
	v_or_b32_e32 v12, v0, v44
.LBB4_4810:                             ;   in Loop: Header=BB4_3496 Depth=3
	s_or_b64 exec, exec, s[50:51]
                                        ; implicit-def: $vgpr44
.LBB4_4811:                             ;   in Loop: Header=BB4_3496 Depth=3
	s_andn2_saveexec_b64 s[40:41], s[48:49]
; %bb.4812:                             ;   in Loop: Header=BB4_3496 Depth=3
	v_or_b32_e32 v12, 0x7e, v44
; %bb.4813:                             ;   in Loop: Header=BB4_3496 Depth=3
	s_or_b64 exec, exec, s[40:41]
                                        ; implicit-def: $vgpr4
.LBB4_4814:                             ;   in Loop: Header=BB4_3496 Depth=3
	s_andn2_saveexec_b64 s[40:41], s[38:39]
; %bb.4815:                             ;   in Loop: Header=BB4_3496 Depth=3
	v_or_b32_sdwa v12, v4, s81 dst_sel:DWORD dst_unused:UNUSED_PAD src0_sel:BYTE_3 src1_sel:DWORD
; %bb.4816:                             ;   in Loop: Header=BB4_3496 Depth=3
	s_or_b64 exec, exec, s[40:41]
	v_lshrrev_b32_e32 v8, 16, v15
	v_lshrrev_b32_e32 v2, 16, v11
	v_cmp_ne_u16_sdwa s[40:41], v8, v3 src0_sel:BYTE_0 src1_sel:DWORD
	s_and_b64 vcc, exec, s[28:29]
	s_mov_b64 s[38:39], -1
                                        ; implicit-def: $vgpr4
	s_cbranch_vccnz .LBB4_4830
; %bb.4817:                             ;   in Loop: Header=BB4_3496 Depth=3
	v_mov_b32_e32 v5, 0
	v_mov_b32_e32 v4, 0
	s_and_saveexec_b64 s[38:39], s[40:41]
	s_cbranch_execz .LBB4_4823
; %bb.4818:                             ;   in Loop: Header=BB4_3496 Depth=3
	v_cmp_ne_u16_sdwa vcc, v8, s80 src0_sel:BYTE_0 src1_sel:DWORD
	v_bfrev_b32_e32 v4, 1
	s_and_saveexec_b64 s[48:49], vcc
	s_cbranch_execz .LBB4_4822
; %bb.4819:                             ;   in Loop: Header=BB4_3496 Depth=3
	v_bfe_u32 v0, v15, 16, 7
	v_cmp_ne_u32_e32 vcc, s81, v0
	v_mov_b32_e32 v4, 0x7f800001
	s_and_saveexec_b64 s[50:51], vcc
	s_cbranch_execz .LBB4_4821
; %bb.4820:                             ;   in Loop: Header=BB4_3496 Depth=3
	v_and_b32_e32 v4, 7, v8
	v_lshrrev_b32_e32 v7, 3, v0
	v_cmp_gt_u32_e32 vcc, 8, v0
	v_ffbh_u32_e32 v0, v4
	v_min_u32_e32 v0, 32, v0
	v_subrev_u32_e32 v9, 28, v0
	v_lshlrev_b64 v[50:51], v9, v[8:9]
	v_sub_u32_e32 v0, 29, v0
	v_and_b32_e32 v9, 7, v50
	v_cndmask_b32_e32 v0, v7, v0, vcc
	v_cndmask_b32_e32 v4, v4, v9, vcc
	v_lshlrev_b32_e32 v7, 24, v8
	v_lshlrev_b32_e32 v4, 20, v4
	v_and_b32_e32 v7, 0x80000000, v7
	v_lshl_add_u32 v0, v0, 23, v54
	v_or3_b32 v4, v7, v0, v4
.LBB4_4821:                             ;   in Loop: Header=BB4_3496 Depth=3
	s_or_b64 exec, exec, s[50:51]
.LBB4_4822:                             ;   in Loop: Header=BB4_3496 Depth=3
	s_or_b64 exec, exec, s[48:49]
.LBB4_4823:                             ;   in Loop: Header=BB4_3496 Depth=3
	s_or_b64 exec, exec, s[38:39]
	v_cmp_ne_u16_sdwa vcc, v2, v3 src0_sel:BYTE_0 src1_sel:DWORD
	s_and_saveexec_b64 s[38:39], vcc
	s_cbranch_execz .LBB4_4829
; %bb.4824:                             ;   in Loop: Header=BB4_3496 Depth=3
	v_cmp_ne_u16_sdwa vcc, v2, s80 src0_sel:BYTE_0 src1_sel:DWORD
	v_bfrev_b32_e32 v5, 1
	s_and_saveexec_b64 s[48:49], vcc
	s_cbranch_execz .LBB4_4828
; %bb.4825:                             ;   in Loop: Header=BB4_3496 Depth=3
	v_bfe_u32 v0, v11, 16, 7
	v_cmp_ne_u32_e32 vcc, s81, v0
	v_mov_b32_e32 v5, 0x7f800001
	s_and_saveexec_b64 s[50:51], vcc
	s_cbranch_execz .LBB4_4827
; %bb.4826:                             ;   in Loop: Header=BB4_3496 Depth=3
	v_and_b32_e32 v5, 7, v2
	v_lshrrev_b32_e32 v7, 3, v0
	v_cmp_gt_u32_e32 vcc, 8, v0
	v_ffbh_u32_e32 v0, v5
	v_min_u32_e32 v0, 32, v0
	v_subrev_u32_e32 v9, 28, v0
	v_lshlrev_b64 v[50:51], v9, v[2:3]
	v_sub_u32_e32 v0, 29, v0
	v_and_b32_e32 v9, 7, v50
	v_cndmask_b32_e32 v0, v7, v0, vcc
	v_cndmask_b32_e32 v5, v5, v9, vcc
	v_lshlrev_b32_e32 v7, 24, v2
	v_lshlrev_b32_e32 v5, 20, v5
	v_and_b32_e32 v7, 0x80000000, v7
	v_lshl_add_u32 v0, v0, 23, v54
	v_or3_b32 v5, v7, v0, v5
.LBB4_4827:                             ;   in Loop: Header=BB4_3496 Depth=3
	s_or_b64 exec, exec, s[50:51]
.LBB4_4828:                             ;   in Loop: Header=BB4_3496 Depth=3
	s_or_b64 exec, exec, s[48:49]
.LBB4_4829:                             ;   in Loop: Header=BB4_3496 Depth=3
	s_or_b64 exec, exec, s[38:39]
	v_max_f32_e32 v0, v5, v5
	v_max_f32_e32 v4, v4, v4
	;; [unrolled: 1-line block ×3, first 2 shown]
	s_mov_b64 s[38:39], 0
.LBB4_4830:                             ;   in Loop: Header=BB4_3496 Depth=3
	s_and_b64 vcc, exec, s[38:39]
	s_cbranch_vccz .LBB4_4844
; %bb.4831:                             ;   in Loop: Header=BB4_3496 Depth=3
	v_mov_b32_e32 v5, 0
	v_mov_b32_e32 v4, 0
	s_and_saveexec_b64 s[38:39], s[40:41]
	s_cbranch_execz .LBB4_4837
; %bb.4832:                             ;   in Loop: Header=BB4_3496 Depth=3
	v_cmp_ne_u16_sdwa vcc, v8, s80 src0_sel:BYTE_0 src1_sel:DWORD
	v_bfrev_b32_e32 v4, 1
	s_and_saveexec_b64 s[40:41], vcc
	s_cbranch_execz .LBB4_4836
; %bb.4833:                             ;   in Loop: Header=BB4_3496 Depth=3
	v_bfe_u32 v0, v15, 16, 7
	v_cmp_ne_u32_e32 vcc, s81, v0
	v_mov_b32_e32 v4, 0x7f800001
	s_and_saveexec_b64 s[48:49], vcc
	s_cbranch_execz .LBB4_4835
; %bb.4834:                             ;   in Loop: Header=BB4_3496 Depth=3
	v_and_b32_e32 v4, 7, v8
	v_lshrrev_b32_e32 v7, 3, v0
	v_cmp_gt_u32_e32 vcc, 8, v0
	v_ffbh_u32_e32 v0, v4
	v_min_u32_e32 v0, 32, v0
	v_subrev_u32_e32 v9, 28, v0
	v_lshlrev_b64 v[50:51], v9, v[8:9]
	v_sub_u32_e32 v0, 29, v0
	v_and_b32_e32 v9, 7, v50
	v_cndmask_b32_e32 v0, v7, v0, vcc
	v_cndmask_b32_e32 v4, v4, v9, vcc
	v_lshlrev_b32_e32 v7, 24, v8
	v_lshlrev_b32_e32 v4, 20, v4
	v_and_b32_e32 v7, 0x80000000, v7
	v_lshl_add_u32 v0, v0, 23, v54
	v_or3_b32 v4, v7, v0, v4
.LBB4_4835:                             ;   in Loop: Header=BB4_3496 Depth=3
	s_or_b64 exec, exec, s[48:49]
.LBB4_4836:                             ;   in Loop: Header=BB4_3496 Depth=3
	s_or_b64 exec, exec, s[40:41]
.LBB4_4837:                             ;   in Loop: Header=BB4_3496 Depth=3
	s_or_b64 exec, exec, s[38:39]
	v_cmp_ne_u16_sdwa vcc, v2, v3 src0_sel:BYTE_0 src1_sel:DWORD
	s_and_saveexec_b64 s[40:41], vcc
	s_cbranch_execz .LBB4_4843
; %bb.4838:                             ;   in Loop: Header=BB4_3496 Depth=3
	v_cmp_ne_u16_sdwa vcc, v2, s80 src0_sel:BYTE_0 src1_sel:DWORD
	v_bfrev_b32_e32 v5, 1
	s_and_saveexec_b64 s[38:39], vcc
	s_cbranch_execz .LBB4_4842
; %bb.4839:                             ;   in Loop: Header=BB4_3496 Depth=3
	v_bfe_u32 v0, v11, 16, 7
	v_cmp_ne_u32_e32 vcc, s81, v0
	v_mov_b32_e32 v5, 0x7f800001
	s_and_saveexec_b64 s[48:49], vcc
	s_cbranch_execz .LBB4_4841
; %bb.4840:                             ;   in Loop: Header=BB4_3496 Depth=3
	v_and_b32_e32 v5, 7, v2
	v_lshrrev_b32_e32 v9, 3, v0
	v_cmp_gt_u32_e32 vcc, 8, v0
	v_ffbh_u32_e32 v0, v5
	v_min_u32_e32 v0, 32, v0
	v_subrev_u32_e32 v7, 28, v0
	v_lshlrev_b64 v[7:8], v7, v[2:3]
	v_sub_u32_e32 v0, 29, v0
	v_and_b32_e32 v7, 7, v7
	v_cndmask_b32_e32 v0, v9, v0, vcc
	v_cndmask_b32_e32 v5, v5, v7, vcc
	v_lshlrev_b32_e32 v2, 24, v2
	v_lshlrev_b32_e32 v5, 20, v5
	v_and_b32_e32 v2, 0x80000000, v2
	v_lshl_add_u32 v0, v0, 23, v54
	v_or3_b32 v5, v2, v0, v5
.LBB4_4841:                             ;   in Loop: Header=BB4_3496 Depth=3
	s_or_b64 exec, exec, s[48:49]
.LBB4_4842:                             ;   in Loop: Header=BB4_3496 Depth=3
	s_or_b64 exec, exec, s[38:39]
.LBB4_4843:                             ;   in Loop: Header=BB4_3496 Depth=3
	s_or_b64 exec, exec, s[40:41]
	v_max_f32_e32 v0, v5, v5
	v_max_f32_e32 v2, v4, v4
	v_min_f32_e32 v4, v2, v0
.LBB4_4844:                             ;   in Loop: Header=BB4_3496 Depth=3
	v_and_b32_e32 v2, 0x7f800000, v4
	v_cmp_ne_u64_e32 vcc, s[76:77], v[2:3]
                                        ; implicit-def: $vgpr44
	s_and_saveexec_b64 s[40:41], vcc
	s_xor_b64 s[38:39], exec, s[40:41]
	s_cbranch_execz .LBB4_4858
; %bb.4845:                             ;   in Loop: Header=BB4_3496 Depth=3
	v_and_b32_e32 v2, 0x7fffffff, v4
	v_cmp_gt_u64_e32 vcc, s[78:79], v[2:3]
	v_and_b32_sdwa v7, v4, s80 dst_sel:DWORD dst_unused:UNUSED_PAD src0_sel:BYTE_3 src1_sel:DWORD
                                        ; implicit-def: $vgpr44
	s_and_saveexec_b64 s[40:41], vcc
	s_xor_b64 s[48:49], exec, s[40:41]
	s_cbranch_execz .LBB4_4855
; %bb.4846:                             ;   in Loop: Header=BB4_3496 Depth=3
	v_mov_b32_e32 v44, 0
	v_cmp_ne_u32_e32 vcc, 0, v4
	s_and_saveexec_b64 s[50:51], vcc
	s_cbranch_execz .LBB4_4854
; %bb.4847:                             ;   in Loop: Header=BB4_3496 Depth=3
	v_bfe_u32 v44, v4, 23, 8
	v_cmp_gt_u32_e64 s[40:41], s83, v44
	v_sub_u32_e32 v2, 0x79, v44
	v_and_b32_e32 v0, 0x7fffff, v4
	v_cmp_eq_u32_e32 vcc, 0, v44
	v_cndmask_b32_e64 v2, 0, v2, s[40:41]
	v_mov_b32_e32 v5, 0x78
	v_or_b32_e32 v4, 0x800000, v0
	v_cndmask_b32_e32 v37, v2, v5, vcc
	v_cndmask_b32_e32 v2, v4, v0, vcc
	v_add_u32_e32 v0, 20, v37
	v_lshlrev_b64 v[4:5], v0, -1
	v_add_u32_e32 v0, 19, v37
	v_lshlrev_b64 v[8:9], v0, 1
	v_bfi_b32 v5, v5, 0, 0
	v_bfi_b32 v4, v4, 0, v2
	v_cmp_eq_u64_e64 s[40:41], v[4:5], v[8:9]
	v_lshrrev_b64 v[8:9], v37, v[2:3]
	v_mov_b32_e32 v4, v8
	v_mov_b32_e32 v5, v9
	s_and_saveexec_b64 s[52:53], s[40:41]
; %bb.4848:                             ;   in Loop: Header=BB4_3496 Depth=3
	v_bfe_u32 v0, v8, 20, 1
	v_add_co_u32_e64 v0, s[40:41], v8, v0
	v_add_co_u32_e64 v4, s[40:41], -1, v0
; %bb.4849:                             ;   in Loop: Header=BB4_3496 Depth=3
	s_or_b64 exec, exec, s[52:53]
	v_add_u32_e32 v0, 0xffffff81, v44
	v_mov_b32_e32 v2, 0xffffff82
	v_cndmask_b32_e32 v0, v0, v2, vcc
	v_lshrrev_b32_e32 v2, 23, v8
	v_add3_u32 v37, v37, v0, v2
	v_add_u32_e32 v5, 6, v37
	v_and_b32_e32 v0, 0xfffff, v4
	v_add_u32_e32 v2, v0, v8
	v_cmp_ne_u32_e32 vcc, 0, v5
                                        ; implicit-def: $vgpr8_vgpr9
                                        ; implicit-def: $vgpr0
	s_and_saveexec_b64 s[40:41], vcc
	s_xor_b64 s[40:41], exec, s[40:41]
; %bb.4850:                             ;   in Loop: Header=BB4_3496 Depth=3
	v_cmp_lt_u64_e32 vcc, s[88:89], v[2:3]
	v_add_u32_e32 v0, 7, v37
	v_cndmask_b32_e64 v4, 0, 1, vcc
	v_lshrrev_b64 v[8:9], v4, v[2:3]
	v_cndmask_b32_e32 v0, v5, v0, vcc
; %bb.4851:                             ;   in Loop: Header=BB4_3496 Depth=3
	s_andn2_saveexec_b64 s[40:41], s[40:41]
; %bb.4852:                             ;   in Loop: Header=BB4_3496 Depth=3
	v_mov_b32_e32 v9, v3
	v_bfe_u32 v0, v2, 23, 1
	v_mov_b32_e32 v8, v2
; %bb.4853:                             ;   in Loop: Header=BB4_3496 Depth=3
	s_or_b64 exec, exec, s[40:41]
	v_lshrrev_b64 v[4:5], 20, v[8:9]
	v_cmp_gt_i32_e32 vcc, 16, v0
	v_cndmask_b32_e32 v5, 0, v5, vcc
	v_cndmask_b32_e32 v4, 7, v4, vcc
	v_cmp_eq_u32_e32 vcc, 0, v0
	v_min_i32_e32 v0, 15, v0
	v_cmp_eq_u64_e64 s[40:41], 0, v[4:5]
	v_lshlrev_b32_e32 v0, 3, v0
	v_and_b32_e32 v0, 0xf8, v0
	v_and_or_b32 v0, v4, 7, v0
	s_and_b64 s[40:41], vcc, s[40:41]
	v_cndmask_b32_e64 v0, v0, 0, s[40:41]
	v_or_b32_e32 v44, v0, v7
.LBB4_4854:                             ;   in Loop: Header=BB4_3496 Depth=3
	s_or_b64 exec, exec, s[50:51]
                                        ; implicit-def: $vgpr7
.LBB4_4855:                             ;   in Loop: Header=BB4_3496 Depth=3
	s_andn2_saveexec_b64 s[40:41], s[48:49]
; %bb.4856:                             ;   in Loop: Header=BB4_3496 Depth=3
	v_or_b32_e32 v44, 0x7e, v7
; %bb.4857:                             ;   in Loop: Header=BB4_3496 Depth=3
	s_or_b64 exec, exec, s[40:41]
                                        ; implicit-def: $vgpr4
.LBB4_4858:                             ;   in Loop: Header=BB4_3496 Depth=3
	s_andn2_saveexec_b64 s[40:41], s[38:39]
; %bb.4859:                             ;   in Loop: Header=BB4_3496 Depth=3
	v_or_b32_sdwa v44, v4, s81 dst_sel:DWORD dst_unused:UNUSED_PAD src0_sel:BYTE_3 src1_sel:DWORD
; %bb.4860:                             ;   in Loop: Header=BB4_3496 Depth=3
	s_or_b64 exec, exec, s[40:41]
	v_cmp_lt_u64_e64 s[40:41], s[62:63], v[14:15]
	v_lshrrev_b32_e32 v8, 24, v15
	v_lshrrev_b32_e32 v2, 24, v11
	s_and_b64 vcc, exec, s[28:29]
	s_mov_b64 s[28:29], -1
                                        ; implicit-def: $vgpr4
	s_cbranch_vccnz .LBB4_4874
; %bb.4861:                             ;   in Loop: Header=BB4_3496 Depth=3
	v_mov_b32_e32 v5, 0
	v_mov_b32_e32 v4, 0
	s_and_saveexec_b64 s[28:29], s[40:41]
	s_cbranch_execz .LBB4_4867
; %bb.4862:                             ;   in Loop: Header=BB4_3496 Depth=3
	v_cmp_ne_u32_e32 vcc, s80, v8
	v_bfrev_b32_e32 v4, 1
	s_and_saveexec_b64 s[38:39], vcc
	s_cbranch_execz .LBB4_4866
; %bb.4863:                             ;   in Loop: Header=BB4_3496 Depth=3
	v_bfe_u32 v0, v15, 24, 7
	v_cmp_ne_u32_e32 vcc, s81, v0
	v_mov_b32_e32 v4, 0x7f800001
	s_and_saveexec_b64 s[48:49], vcc
	s_cbranch_execz .LBB4_4865
; %bb.4864:                             ;   in Loop: Header=BB4_3496 Depth=3
	v_and_b32_e32 v4, 7, v8
	v_lshrrev_b32_e32 v7, 3, v0
	v_cmp_gt_u32_e32 vcc, 8, v0
	v_ffbh_u32_e32 v0, v4
	v_min_u32_e32 v0, 32, v0
	v_subrev_u32_e32 v9, 28, v0
	v_lshlrev_b64 v[50:51], v9, v[8:9]
	v_sub_u32_e32 v0, 29, v0
	v_and_b32_e32 v9, 7, v50
	v_cndmask_b32_e32 v0, v7, v0, vcc
	v_cndmask_b32_e32 v4, v4, v9, vcc
	v_lshlrev_b32_e32 v7, 24, v8
	v_lshlrev_b32_e32 v4, 20, v4
	v_and_b32_e32 v7, 0x80000000, v7
	v_lshl_add_u32 v0, v0, 23, v54
	v_or3_b32 v4, v7, v0, v4
.LBB4_4865:                             ;   in Loop: Header=BB4_3496 Depth=3
	s_or_b64 exec, exec, s[48:49]
.LBB4_4866:                             ;   in Loop: Header=BB4_3496 Depth=3
	s_or_b64 exec, exec, s[38:39]
.LBB4_4867:                             ;   in Loop: Header=BB4_3496 Depth=3
	s_or_b64 exec, exec, s[28:29]
	v_cmp_lt_u64_e32 vcc, s[62:63], v[10:11]
	s_and_saveexec_b64 s[28:29], vcc
	s_cbranch_execz .LBB4_4873
; %bb.4868:                             ;   in Loop: Header=BB4_3496 Depth=3
	v_cmp_ne_u32_e32 vcc, s80, v2
	v_bfrev_b32_e32 v5, 1
	s_and_saveexec_b64 s[38:39], vcc
	s_cbranch_execz .LBB4_4872
; %bb.4869:                             ;   in Loop: Header=BB4_3496 Depth=3
	v_bfe_u32 v0, v11, 24, 7
	v_cmp_ne_u32_e32 vcc, s81, v0
	v_mov_b32_e32 v5, 0x7f800001
	s_and_saveexec_b64 s[48:49], vcc
	s_cbranch_execz .LBB4_4871
; %bb.4870:                             ;   in Loop: Header=BB4_3496 Depth=3
	v_and_b32_e32 v5, 7, v2
	v_lshrrev_b32_e32 v7, 3, v0
	v_cmp_gt_u32_e32 vcc, 8, v0
	v_ffbh_u32_e32 v0, v5
	v_min_u32_e32 v0, 32, v0
	v_subrev_u32_e32 v9, 28, v0
	v_lshlrev_b64 v[50:51], v9, v[2:3]
	v_sub_u32_e32 v0, 29, v0
	v_and_b32_e32 v9, 7, v50
	v_cndmask_b32_e32 v0, v7, v0, vcc
	v_cndmask_b32_e32 v5, v5, v9, vcc
	v_lshlrev_b32_e32 v7, 24, v2
	v_lshlrev_b32_e32 v5, 20, v5
	v_and_b32_e32 v7, 0x80000000, v7
	v_lshl_add_u32 v0, v0, 23, v54
	v_or3_b32 v5, v7, v0, v5
.LBB4_4871:                             ;   in Loop: Header=BB4_3496 Depth=3
	s_or_b64 exec, exec, s[48:49]
.LBB4_4872:                             ;   in Loop: Header=BB4_3496 Depth=3
	s_or_b64 exec, exec, s[38:39]
.LBB4_4873:                             ;   in Loop: Header=BB4_3496 Depth=3
	s_or_b64 exec, exec, s[28:29]
	v_max_f32_e32 v0, v5, v5
	v_max_f32_e32 v4, v4, v4
	;; [unrolled: 1-line block ×3, first 2 shown]
	s_mov_b64 s[28:29], 0
.LBB4_4874:                             ;   in Loop: Header=BB4_3496 Depth=3
	s_and_b64 vcc, exec, s[28:29]
	s_cbranch_vccz .LBB4_4888
; %bb.4875:                             ;   in Loop: Header=BB4_3496 Depth=3
	v_mov_b32_e32 v5, 0
	v_mov_b32_e32 v4, 0
	s_and_saveexec_b64 s[28:29], s[40:41]
	s_cbranch_execz .LBB4_4881
; %bb.4876:                             ;   in Loop: Header=BB4_3496 Depth=3
	v_cmp_ne_u32_e32 vcc, s80, v8
	v_bfrev_b32_e32 v4, 1
	s_and_saveexec_b64 s[40:41], vcc
	s_cbranch_execz .LBB4_4880
; %bb.4877:                             ;   in Loop: Header=BB4_3496 Depth=3
	v_bfe_u32 v0, v15, 24, 7
	v_cmp_ne_u32_e32 vcc, s81, v0
	v_mov_b32_e32 v4, 0x7f800001
	s_and_saveexec_b64 s[38:39], vcc
	s_cbranch_execz .LBB4_4879
; %bb.4878:                             ;   in Loop: Header=BB4_3496 Depth=3
	v_and_b32_e32 v4, 7, v8
	v_lshrrev_b32_e32 v7, 3, v0
	v_cmp_gt_u32_e32 vcc, 8, v0
	v_ffbh_u32_e32 v0, v4
	v_min_u32_e32 v0, 32, v0
	v_subrev_u32_e32 v9, 28, v0
	v_lshlrev_b64 v[14:15], v9, v[8:9]
	v_sub_u32_e32 v0, 29, v0
	v_and_b32_e32 v9, 7, v14
	v_cndmask_b32_e32 v0, v7, v0, vcc
	v_cndmask_b32_e32 v4, v4, v9, vcc
	v_lshlrev_b32_e32 v7, 24, v8
	v_lshlrev_b32_e32 v4, 20, v4
	v_and_b32_e32 v7, 0x80000000, v7
	v_lshl_add_u32 v0, v0, 23, v54
	v_or3_b32 v4, v7, v0, v4
.LBB4_4879:                             ;   in Loop: Header=BB4_3496 Depth=3
	s_or_b64 exec, exec, s[38:39]
.LBB4_4880:                             ;   in Loop: Header=BB4_3496 Depth=3
	s_or_b64 exec, exec, s[40:41]
.LBB4_4881:                             ;   in Loop: Header=BB4_3496 Depth=3
	s_or_b64 exec, exec, s[28:29]
	v_cmp_lt_u64_e32 vcc, s[62:63], v[10:11]
	s_and_saveexec_b64 s[28:29], vcc
	s_cbranch_execz .LBB4_4887
; %bb.4882:                             ;   in Loop: Header=BB4_3496 Depth=3
	v_cmp_ne_u32_e32 vcc, s80, v2
	v_bfrev_b32_e32 v5, 1
	s_and_saveexec_b64 s[40:41], vcc
	s_cbranch_execz .LBB4_4886
; %bb.4883:                             ;   in Loop: Header=BB4_3496 Depth=3
	v_bfe_u32 v0, v11, 24, 7
	v_cmp_ne_u32_e32 vcc, s81, v0
	v_mov_b32_e32 v5, 0x7f800001
	s_and_saveexec_b64 s[38:39], vcc
	s_cbranch_execz .LBB4_4885
; %bb.4884:                             ;   in Loop: Header=BB4_3496 Depth=3
	v_and_b32_e32 v5, 7, v2
	v_lshrrev_b32_e32 v9, 3, v0
	v_cmp_gt_u32_e32 vcc, 8, v0
	v_ffbh_u32_e32 v0, v5
	v_min_u32_e32 v0, 32, v0
	v_subrev_u32_e32 v7, 28, v0
	v_lshlrev_b64 v[7:8], v7, v[2:3]
	v_sub_u32_e32 v0, 29, v0
	v_and_b32_e32 v7, 7, v7
	v_cndmask_b32_e32 v0, v9, v0, vcc
	v_cndmask_b32_e32 v5, v5, v7, vcc
	v_lshlrev_b32_e32 v2, 24, v2
	v_lshlrev_b32_e32 v5, 20, v5
	v_and_b32_e32 v2, 0x80000000, v2
	v_lshl_add_u32 v0, v0, 23, v54
	v_or3_b32 v5, v2, v0, v5
.LBB4_4885:                             ;   in Loop: Header=BB4_3496 Depth=3
	s_or_b64 exec, exec, s[38:39]
.LBB4_4886:                             ;   in Loop: Header=BB4_3496 Depth=3
	s_or_b64 exec, exec, s[40:41]
.LBB4_4887:                             ;   in Loop: Header=BB4_3496 Depth=3
	s_or_b64 exec, exec, s[28:29]
	v_max_f32_e32 v0, v5, v5
	v_max_f32_e32 v2, v4, v4
	v_min_f32_e32 v4, v2, v0
.LBB4_4888:                             ;   in Loop: Header=BB4_3496 Depth=3
	v_and_b32_e32 v2, 0x7f800000, v4
	v_cmp_ne_u64_e32 vcc, s[76:77], v[2:3]
                                        ; implicit-def: $vgpr2
	s_and_saveexec_b64 s[28:29], vcc
	s_xor_b64 s[40:41], exec, s[28:29]
	s_cbranch_execz .LBB4_4902
; %bb.4889:                             ;   in Loop: Header=BB4_3496 Depth=3
	v_and_b32_e32 v2, 0x7fffffff, v4
	v_cmp_gt_u64_e32 vcc, s[78:79], v[2:3]
	v_and_b32_sdwa v7, v4, s80 dst_sel:DWORD dst_unused:UNUSED_PAD src0_sel:BYTE_3 src1_sel:DWORD
                                        ; implicit-def: $vgpr2
	s_and_saveexec_b64 s[28:29], vcc
	s_xor_b64 s[38:39], exec, s[28:29]
	s_cbranch_execz .LBB4_4899
; %bb.4890:                             ;   in Loop: Header=BB4_3496 Depth=3
	v_mov_b32_e32 v2, 0
	v_cmp_ne_u32_e32 vcc, 0, v4
	s_and_saveexec_b64 s[48:49], vcc
	s_cbranch_execz .LBB4_4898
; %bb.4891:                             ;   in Loop: Header=BB4_3496 Depth=3
	v_bfe_u32 v10, v4, 23, 8
	v_cmp_gt_u32_e64 s[28:29], s83, v10
	v_sub_u32_e32 v2, 0x79, v10
	v_and_b32_e32 v0, 0x7fffff, v4
	v_cmp_eq_u32_e32 vcc, 0, v10
	v_cndmask_b32_e64 v2, 0, v2, s[28:29]
	v_mov_b32_e32 v5, 0x78
	v_or_b32_e32 v4, 0x800000, v0
	v_cndmask_b32_e32 v11, v2, v5, vcc
	v_cndmask_b32_e32 v2, v4, v0, vcc
	v_add_u32_e32 v0, 20, v11
	v_lshlrev_b64 v[4:5], v0, -1
	v_add_u32_e32 v0, 19, v11
	v_lshlrev_b64 v[8:9], v0, 1
	v_bfi_b32 v5, v5, 0, 0
	v_bfi_b32 v4, v4, 0, v2
	v_cmp_eq_u64_e64 s[28:29], v[4:5], v[8:9]
	v_lshrrev_b64 v[8:9], v11, v[2:3]
	v_mov_b32_e32 v4, v8
	v_mov_b32_e32 v5, v9
	s_and_saveexec_b64 s[50:51], s[28:29]
; %bb.4892:                             ;   in Loop: Header=BB4_3496 Depth=3
	v_bfe_u32 v0, v8, 20, 1
	v_add_co_u32_e64 v0, s[28:29], v8, v0
	v_add_co_u32_e64 v4, s[28:29], -1, v0
; %bb.4893:                             ;   in Loop: Header=BB4_3496 Depth=3
	s_or_b64 exec, exec, s[50:51]
	v_add_u32_e32 v0, 0xffffff81, v10
	v_mov_b32_e32 v2, 0xffffff82
	v_cndmask_b32_e32 v0, v0, v2, vcc
	v_lshrrev_b32_e32 v2, 23, v8
	v_add3_u32 v10, v11, v0, v2
	v_add_u32_e32 v5, 6, v10
	v_and_b32_e32 v0, 0xfffff, v4
	v_add_u32_e32 v2, v0, v8
	v_cmp_ne_u32_e32 vcc, 0, v5
                                        ; implicit-def: $vgpr8_vgpr9
                                        ; implicit-def: $vgpr0
	s_and_saveexec_b64 s[28:29], vcc
	s_xor_b64 s[28:29], exec, s[28:29]
; %bb.4894:                             ;   in Loop: Header=BB4_3496 Depth=3
	v_cmp_lt_u64_e32 vcc, s[88:89], v[2:3]
	v_add_u32_e32 v0, 7, v10
	v_cndmask_b32_e64 v4, 0, 1, vcc
	v_lshrrev_b64 v[8:9], v4, v[2:3]
	v_cndmask_b32_e32 v0, v5, v0, vcc
; %bb.4895:                             ;   in Loop: Header=BB4_3496 Depth=3
	s_andn2_saveexec_b64 s[28:29], s[28:29]
; %bb.4896:                             ;   in Loop: Header=BB4_3496 Depth=3
	v_mov_b32_e32 v9, v3
	v_bfe_u32 v0, v2, 23, 1
	v_mov_b32_e32 v8, v2
; %bb.4897:                             ;   in Loop: Header=BB4_3496 Depth=3
	s_or_b64 exec, exec, s[28:29]
	v_lshrrev_b64 v[4:5], 20, v[8:9]
	v_cmp_gt_i32_e32 vcc, 16, v0
	v_cndmask_b32_e32 v5, 0, v5, vcc
	v_cndmask_b32_e32 v4, 7, v4, vcc
	v_cmp_eq_u32_e32 vcc, 0, v0
	v_min_i32_e32 v0, 15, v0
	v_cmp_eq_u64_e64 s[28:29], 0, v[4:5]
	v_lshlrev_b32_e32 v0, 3, v0
	v_and_b32_e32 v0, 0xf8, v0
	v_and_or_b32 v0, v4, 7, v0
	s_and_b64 s[28:29], vcc, s[28:29]
	v_cndmask_b32_e64 v0, v0, 0, s[28:29]
	v_or_b32_e32 v2, v0, v7
.LBB4_4898:                             ;   in Loop: Header=BB4_3496 Depth=3
	s_or_b64 exec, exec, s[48:49]
                                        ; implicit-def: $vgpr7
.LBB4_4899:                             ;   in Loop: Header=BB4_3496 Depth=3
	s_andn2_saveexec_b64 s[28:29], s[38:39]
; %bb.4900:                             ;   in Loop: Header=BB4_3496 Depth=3
	v_or_b32_e32 v2, 0x7e, v7
; %bb.4901:                             ;   in Loop: Header=BB4_3496 Depth=3
	s_or_b64 exec, exec, s[28:29]
                                        ; implicit-def: $vgpr4
.LBB4_4902:                             ;   in Loop: Header=BB4_3496 Depth=3
	s_andn2_saveexec_b64 s[28:29], s[40:41]
	s_cbranch_execz .LBB4_3495
; %bb.4903:                             ;   in Loop: Header=BB4_3496 Depth=3
	v_or_b32_sdwa v2, v4, s81 dst_sel:DWORD dst_unused:UNUSED_PAD src0_sel:BYTE_3 src1_sel:DWORD
	s_branch .LBB4_3495
.LBB4_4904:                             ;   in Loop: Header=BB4_3419 Depth=2
	s_mov_b64 s[28:29], 0
	s_and_saveexec_b64 s[40:41], s[10:11]
	s_cbranch_execnz .LBB4_9407
.LBB4_4905:                             ;   in Loop: Header=BB4_3419 Depth=2
	s_or_b64 exec, exec, s[40:41]
                                        ; implicit-def: $vgpr0
	s_and_saveexec_b64 s[40:41], s[24:25]
	s_xor_b64 s[40:41], exec, s[40:41]
	s_cbranch_execz .LBB4_9425
.LBB4_4906:                             ;   in Loop: Header=BB4_3419 Depth=2
	s_waitcnt vmcnt(0)
	v_and_b32_e32 v1, 16, v52
	v_cmp_ne_u32_e32 vcc, 0, v1
	v_and_b32_e32 v0, 16, v52
	s_and_b64 s[42:43], vcc, s[28:29]
	s_and_saveexec_b64 s[28:29], s[42:43]
	s_cbranch_execz .LBB4_4908
; %bb.4907:                             ;   in Loop: Header=BB4_3419 Depth=2
	v_mov_b32_e32 v0, 1
	s_waitcnt lgkmcnt(0)
	buffer_wbinvl1_vol
.LBB4_4908:                             ;   in Loop: Header=BB4_3419 Depth=2
	s_or_b64 exec, exec, s[28:29]
	s_andn2_saveexec_b64 s[28:29], s[40:41]
	s_cbranch_execz .LBB4_9444
	s_branch .LBB4_9426
.LBB4_4909:                             ;   in Loop: Header=BB4_3419 Depth=2
	s_cbranch_execnz .LBB4_6453
.LBB4_4910:                             ;   in Loop: Header=BB4_3419 Depth=2
	v_cmp_lt_i32_e64 s[28:29], 0, v21
	s_and_saveexec_b64 s[40:41], s[10:11]
	s_cbranch_execnz .LBB4_9407
	s_branch .LBB4_4905
.LBB4_4911:                             ;   in Loop: Header=BB4_3419 Depth=2
	s_or_b64 exec, exec, s[44:45]
	buffer_load_dword v30, off, s[0:3], s33 offset:64 ; 4-byte Folded Reload
	buffer_load_dword v21, off, s[0:3], s33 offset:244 ; 4-byte Folded Reload
	;; [unrolled: 1-line block ×6, first 2 shown]
.LBB4_4912:                             ;   in Loop: Header=BB4_3419 Depth=2
	s_or_b64 exec, exec, s[42:43]
	s_waitcnt vmcnt(1)
	v_lshlrev_b32_e32 v23, 11, v1
	v_cmp_ne_u32_e32 vcc, v21, v23
	s_mov_b64 s[28:29], 0
	v_mov_b32_e32 v4, 0
                                        ; implicit-def: $vgpr7
                                        ; implicit-def: $vgpr18
	s_and_saveexec_b64 s[38:39], vcc
	s_cbranch_execz .LBB4_5624
; %bb.4913:                             ;   in Loop: Header=BB4_3419 Depth=2
	buffer_load_dword v1, off, s[0:3], s33 offset:196 ; 4-byte Folded Reload
	v_lshlrev_b32_e32 v0, 6, v57
	v_sub_u32_e32 v2, v21, v23
	v_mov_b32_e32 v45, v21
	s_waitcnt vmcnt(0)
	v_sub_u32_e32 v0, v1, v0
	v_ashrrev_i32_e32 v1, 31, v0
	v_lshrrev_b32_e32 v1, 26, v1
	v_add_u32_e32 v1, v0, v1
	v_ashrrev_i32_e32 v4, 6, v1
	v_and_b32_e32 v1, 0xffffffc0, v1
	v_sub_u32_e32 v24, v0, v1
	v_ashrrev_i32_e32 v1, 31, v2
	v_lshrrev_b32_e32 v1, 22, v1
	v_add_u32_e32 v1, v2, v1
	v_ashrrev_i32_e32 v5, 10, v1
	v_and_b32_e32 v1, 0xfffffc00, v1
	v_lshlrev_b32_e32 v0, 4, v24
	v_sub_u32_e32 v7, v2, v1
	v_lshl_add_u32 v0, v4, 10, v0
	v_cmp_lt_i32_e64 s[28:29], 15, v7
	v_sub_u32_e32 v26, v2, v0
	v_addc_co_u32_e64 v2, vcc, 0, v5, s[28:29]
	v_sub_u32_e32 v25, v2, v4
	v_cmp_lt_i32_e32 vcc, 15, v26
	s_mov_b64 s[48:49], exec
	buffer_load_dword v41, off, s[0:3], s33 offset:68 ; 4-byte Folded Reload
	s_and_b64 s[40:41], s[48:49], vcc
	s_mov_b64 exec, s[40:41]
	s_cbranch_execz .LBB4_5623
; %bb.4914:                             ;   in Loop: Header=BB4_3419 Depth=2
	buffer_load_dword v4, off, s[0:3], s33 offset:208 ; 4-byte Folded Reload
	buffer_load_dword v5, off, s[0:3], s33 offset:212 ; 4-byte Folded Reload
	v_add_u32_e32 v0, v0, v23
	v_ashrrev_i32_e32 v2, 31, v0
	s_trap 2
	v_mov_b32_e32 v58, v11
	s_bitcmp1_b32 s84, 0
	v_mov_b32_e32 v57, v10
	s_mov_b64 s[50:51], 0
	s_cselect_b64 s[52:53], -1, 0
	s_waitcnt vmcnt(1)
	v_add_co_u32_e32 v27, vcc, v0, v4
	s_waitcnt vmcnt(0)
	v_addc_co_u32_e32 v28, vcc, v2, v5, vcc
	ds_read_b64 v[4:5], v0
	buffer_load_dword v8, off, s[0:3], s33 offset:188 ; 4-byte Folded Reload
	buffer_load_dword v9, off, s[0:3], s33 offset:192 ; 4-byte Folded Reload
	v_add_co_u32_e32 v29, vcc, v0, v10
	v_addc_co_u32_e32 v30, vcc, v2, v11, vcc
	s_waitcnt vmcnt(1)
	v_add_co_u32_e32 v16, vcc, v0, v8
	s_waitcnt vmcnt(0)
	v_addc_co_u32_e32 v17, vcc, v2, v9, vcc
	s_waitcnt lgkmcnt(0)
	v_add_co_u32_e32 v18, vcc, v4, v0
	v_addc_co_u32_e32 v19, vcc, v5, v2, vcc
.LBB4_4915:                             ;   Parent Loop BB4_47 Depth=1
                                        ;     Parent Loop BB4_3419 Depth=2
                                        ; =>    This Loop Header: Depth=3
                                        ;         Child Loop BB4_5572 Depth 4
	global_load_dwordx4 v[8:11], v[16:17], off glc slc
	global_load_dwordx4 v[12:15], v[18:19], off glc slc
	s_mov_b64 s[44:45], -1
	s_waitcnt vmcnt(1)
	v_cmp_ne_u16_sdwa s[42:43], v8, v3 src0_sel:BYTE_0 src1_sel:DWORD
	s_waitcnt vmcnt(0)
	v_and_b32_e32 v0, 7, v12
	v_ffbh_u32_e32 v0, v0
	v_and_b32_e32 v2, 0x7f, v12
	v_min_u32_e32 v0, 32, v0
	v_cmp_eq_u32_e64 s[40:41], s81, v2
	v_cmp_gt_u32_e32 vcc, 8, v2
	v_subrev_u32_e32 v2, 28, v0
	v_bfe_u32 v4, v12, 3, 4
	v_sub_u32_e32 v0, 29, v0
	v_cndmask_b32_e32 v2, 0, v2, vcc
	v_cndmask_b32_e32 v0, v4, v0, vcc
	v_lshlrev_b64 v[4:5], v2, v[12:13]
	v_lshl_add_u32 v0, v0, 23, v54
	v_lshlrev_b32_e32 v2, 20, v4
	v_lshlrev_b32_e32 v4, 24, v12
	v_and_b32_e32 v2, 0x700000, v2
	v_and_b32_e32 v4, 0x80000000, v4
	v_or3_b32 v2, v4, v0, v2
	s_and_b64 vcc, exec, s[52:53]
                                        ; implicit-def: $vgpr4
	s_cbranch_vccz .LBB4_4929
; %bb.4916:                             ;   in Loop: Header=BB4_4915 Depth=3
	v_mov_b32_e32 v4, 0
	s_and_saveexec_b64 s[44:45], s[42:43]
	s_cbranch_execz .LBB4_4922
; %bb.4917:                             ;   in Loop: Header=BB4_4915 Depth=3
	v_cmp_ne_u16_sdwa vcc, v8, s80 src0_sel:BYTE_0 src1_sel:DWORD
	v_bfrev_b32_e32 v4, 1
	s_and_saveexec_b64 s[46:47], vcc
	s_cbranch_execz .LBB4_4921
; %bb.4918:                             ;   in Loop: Header=BB4_4915 Depth=3
	v_and_b32_e32 v0, 0x7f, v8
	v_cmp_ne_u32_e32 vcc, s81, v0
	v_mov_b32_e32 v4, 0x7f800001
	s_and_saveexec_b64 s[54:55], vcc
	s_cbranch_execz .LBB4_4920
; %bb.4919:                             ;   in Loop: Header=BB4_4915 Depth=3
	v_and_b32_e32 v4, 7, v8
	v_lshrrev_b32_e32 v5, 3, v0
	v_cmp_gt_u32_e32 vcc, 8, v0
	v_ffbh_u32_e32 v0, v4
	v_min_u32_e32 v0, 32, v0
	v_subrev_u32_e32 v4, 28, v0
	v_sub_u32_e32 v0, 29, v0
	v_cndmask_b32_e32 v4, 0, v4, vcc
	v_cndmask_b32_e32 v0, v5, v0, vcc
	v_lshlrev_b64 v[4:5], v4, v[8:9]
	v_lshlrev_b32_e32 v5, 24, v8
	v_lshlrev_b32_e32 v4, 20, v4
	v_and_b32_e32 v4, 0x700000, v4
	v_and_b32_e32 v5, 0x80000000, v5
	v_lshl_add_u32 v0, v0, 23, v54
	v_or3_b32 v4, v5, v0, v4
.LBB4_4920:                             ;   in Loop: Header=BB4_4915 Depth=3
	s_or_b64 exec, exec, s[54:55]
.LBB4_4921:                             ;   in Loop: Header=BB4_4915 Depth=3
	s_or_b64 exec, exec, s[46:47]
.LBB4_4922:                             ;   in Loop: Header=BB4_4915 Depth=3
	s_or_b64 exec, exec, s[44:45]
	v_cmp_gt_i16_sdwa s[46:47], v12, s81 src0_sel:BYTE_0 src1_sel:DWORD
	s_mov_b64 s[44:45], 0
	s_and_saveexec_b64 vcc, s[46:47]
	s_xor_b64 s[46:47], exec, vcc
	s_cbranch_execz .LBB4_5574
; %bb.4923:                             ;   in Loop: Header=BB4_4915 Depth=3
	v_cmp_eq_u16_sdwa s[54:55], v12, s80 src0_sel:BYTE_0 src1_sel:DWORD
	s_mov_b64 s[44:45], -1
	s_and_saveexec_b64 vcc, s[54:55]
; %bb.4924:                             ;   in Loop: Header=BB4_4915 Depth=3
	s_xor_b64 s[44:45], exec, -1
; %bb.4925:                             ;   in Loop: Header=BB4_4915 Depth=3
	s_or_b64 exec, exec, vcc
	s_and_b64 s[44:45], s[44:45], exec
	s_or_saveexec_b64 s[46:47], s[46:47]
	v_bfrev_b32_e32 v0, 1
	s_xor_b64 exec, exec, s[46:47]
	s_cbranch_execnz .LBB4_5575
.LBB4_4926:                             ;   in Loop: Header=BB4_4915 Depth=3
	s_or_b64 exec, exec, s[46:47]
	s_and_saveexec_b64 s[46:47], s[44:45]
.LBB4_4927:                             ;   in Loop: Header=BB4_4915 Depth=3
	v_mov_b32_e32 v0, 0x7f800001
	v_cndmask_b32_e64 v0, v2, v0, s[40:41]
.LBB4_4928:                             ;   in Loop: Header=BB4_4915 Depth=3
	s_or_b64 exec, exec, s[46:47]
	v_max_f32_e32 v0, v0, v0
	v_max_f32_e32 v4, v4, v4
	;; [unrolled: 1-line block ×3, first 2 shown]
	s_mov_b64 s[44:45], 0
.LBB4_4929:                             ;   in Loop: Header=BB4_4915 Depth=3
	s_and_b64 vcc, exec, s[44:45]
	s_cbranch_vccz .LBB4_4943
; %bb.4930:                             ;   in Loop: Header=BB4_4915 Depth=3
	v_mov_b32_e32 v4, 0
	s_and_saveexec_b64 s[44:45], s[42:43]
	s_cbranch_execz .LBB4_4936
; %bb.4931:                             ;   in Loop: Header=BB4_4915 Depth=3
	v_cmp_ne_u16_sdwa s[46:47], v8, s80 src0_sel:BYTE_0 src1_sel:DWORD
	v_bfrev_b32_e32 v4, 1
	s_and_saveexec_b64 s[42:43], s[46:47]
	s_cbranch_execz .LBB4_4935
; %bb.4932:                             ;   in Loop: Header=BB4_4915 Depth=3
	v_and_b32_e32 v0, 0x7f, v8
	v_cmp_ne_u32_e32 vcc, s81, v0
	v_mov_b32_e32 v4, 0x7f800001
	s_and_saveexec_b64 s[46:47], vcc
	s_cbranch_execz .LBB4_4934
; %bb.4933:                             ;   in Loop: Header=BB4_4915 Depth=3
	v_and_b32_e32 v4, 7, v8
	v_lshrrev_b32_e32 v5, 3, v0
	v_cmp_gt_u32_e32 vcc, 8, v0
	v_ffbh_u32_e32 v0, v4
	v_min_u32_e32 v0, 32, v0
	v_subrev_u32_e32 v4, 28, v0
	v_sub_u32_e32 v0, 29, v0
	v_cndmask_b32_e32 v4, 0, v4, vcc
	v_cndmask_b32_e32 v0, v5, v0, vcc
	v_lshlrev_b64 v[4:5], v4, v[8:9]
	v_lshlrev_b32_e32 v5, 24, v8
	v_lshlrev_b32_e32 v4, 20, v4
	v_and_b32_e32 v4, 0x700000, v4
	v_and_b32_e32 v5, 0x80000000, v5
	v_lshl_add_u32 v0, v0, 23, v54
	v_or3_b32 v4, v5, v0, v4
.LBB4_4934:                             ;   in Loop: Header=BB4_4915 Depth=3
	s_or_b64 exec, exec, s[46:47]
.LBB4_4935:                             ;   in Loop: Header=BB4_4915 Depth=3
	s_or_b64 exec, exec, s[42:43]
.LBB4_4936:                             ;   in Loop: Header=BB4_4915 Depth=3
	s_or_b64 exec, exec, s[44:45]
	v_cmp_gt_i16_sdwa s[44:45], v12, s81 src0_sel:BYTE_0 src1_sel:DWORD
	s_mov_b64 s[42:43], 0
	s_and_saveexec_b64 s[46:47], s[44:45]
	s_xor_b64 s[44:45], exec, s[46:47]
	s_cbranch_execz .LBB4_5576
; %bb.4937:                             ;   in Loop: Header=BB4_4915 Depth=3
	v_cmp_eq_u16_sdwa vcc, v12, s80 src0_sel:BYTE_0 src1_sel:DWORD
	s_mov_b64 s[42:43], -1
	s_and_saveexec_b64 s[46:47], vcc
; %bb.4938:                             ;   in Loop: Header=BB4_4915 Depth=3
	s_xor_b64 s[42:43], exec, -1
; %bb.4939:                             ;   in Loop: Header=BB4_4915 Depth=3
	s_or_b64 exec, exec, s[46:47]
	s_and_b64 s[42:43], s[42:43], exec
	s_or_saveexec_b64 s[44:45], s[44:45]
	v_bfrev_b32_e32 v0, 1
	s_xor_b64 exec, exec, s[44:45]
	s_cbranch_execnz .LBB4_5577
.LBB4_4940:                             ;   in Loop: Header=BB4_4915 Depth=3
	s_or_b64 exec, exec, s[44:45]
	s_and_saveexec_b64 s[44:45], s[42:43]
.LBB4_4941:                             ;   in Loop: Header=BB4_4915 Depth=3
	v_mov_b32_e32 v0, 0x7f800001
	v_cndmask_b32_e64 v0, v2, v0, s[40:41]
.LBB4_4942:                             ;   in Loop: Header=BB4_4915 Depth=3
	s_or_b64 exec, exec, s[44:45]
	v_max_f32_e32 v0, v0, v0
	v_max_f32_e32 v2, v4, v4
	v_min_f32_e32 v4, v2, v0
.LBB4_4943:                             ;   in Loop: Header=BB4_4915 Depth=3
	v_and_b32_e32 v2, 0x7f800000, v4
	v_cmp_ne_u64_e32 vcc, s[76:77], v[2:3]
                                        ; implicit-def: $vgpr31
	s_and_saveexec_b64 s[40:41], vcc
	s_xor_b64 s[42:43], exec, s[40:41]
	s_cbranch_execz .LBB4_4957
; %bb.4944:                             ;   in Loop: Header=BB4_4915 Depth=3
	v_and_b32_e32 v2, 0x7fffffff, v4
	v_cmp_gt_u64_e32 vcc, s[78:79], v[2:3]
	v_and_b32_sdwa v6, v4, s80 dst_sel:DWORD dst_unused:UNUSED_PAD src0_sel:BYTE_3 src1_sel:DWORD
                                        ; implicit-def: $vgpr31
	s_and_saveexec_b64 s[40:41], vcc
	s_xor_b64 s[44:45], exec, s[40:41]
	s_cbranch_execz .LBB4_4954
; %bb.4945:                             ;   in Loop: Header=BB4_4915 Depth=3
	v_mov_b32_e32 v31, 0
	v_cmp_ne_u32_e32 vcc, 0, v4
	s_and_saveexec_b64 s[46:47], vcc
	s_cbranch_execz .LBB4_4953
; %bb.4946:                             ;   in Loop: Header=BB4_4915 Depth=3
	v_bfe_u32 v22, v4, 23, 8
	v_cmp_gt_u32_e64 s[40:41], s83, v22
	v_sub_u32_e32 v2, 0x79, v22
	v_and_b32_e32 v0, 0x7fffff, v4
	v_cmp_eq_u32_e32 vcc, 0, v22
	v_cndmask_b32_e64 v2, 0, v2, s[40:41]
	v_mov_b32_e32 v5, 0x78
	v_or_b32_e32 v4, 0x800000, v0
	v_cndmask_b32_e32 v31, v2, v5, vcc
	v_cndmask_b32_e32 v2, v4, v0, vcc
	v_add_u32_e32 v0, 20, v31
	v_lshlrev_b64 v[4:5], v0, -1
	v_add_u32_e32 v0, 19, v31
	v_lshlrev_b64 v[20:21], v0, 1
	v_bfi_b32 v5, v5, 0, 0
	v_bfi_b32 v4, v4, 0, v2
	v_cmp_eq_u64_e64 s[40:41], v[4:5], v[20:21]
	v_lshrrev_b64 v[20:21], v31, v[2:3]
	v_mov_b32_e32 v4, v20
	v_mov_b32_e32 v5, v21
	s_and_saveexec_b64 s[54:55], s[40:41]
; %bb.4947:                             ;   in Loop: Header=BB4_4915 Depth=3
	v_bfe_u32 v0, v20, 20, 1
	v_add_co_u32_e64 v0, s[40:41], v20, v0
	v_add_co_u32_e64 v4, s[40:41], -1, v0
; %bb.4948:                             ;   in Loop: Header=BB4_4915 Depth=3
	s_or_b64 exec, exec, s[54:55]
	v_add_u32_e32 v0, 0xffffff81, v22
	v_mov_b32_e32 v2, 0xffffff82
	v_cndmask_b32_e32 v0, v0, v2, vcc
	v_lshrrev_b32_e32 v2, 23, v20
	v_add3_u32 v5, v31, v0, v2
	v_add_u32_e32 v0, 6, v5
	v_and_b32_e32 v2, 0xfffff, v4
	v_add_u32_e32 v2, v2, v20
	v_cmp_ne_u32_e32 vcc, 0, v0
                                        ; implicit-def: $vgpr20_vgpr21
                                        ; implicit-def: $vgpr4
	s_and_saveexec_b64 s[40:41], vcc
	s_xor_b64 s[40:41], exec, s[40:41]
; %bb.4949:                             ;   in Loop: Header=BB4_4915 Depth=3
	v_cmp_lt_u64_e32 vcc, s[88:89], v[2:3]
	v_add_u32_e32 v4, 7, v5
	v_cndmask_b32_e32 v4, v0, v4, vcc
	v_cndmask_b32_e64 v0, 0, 1, vcc
	v_lshrrev_b64 v[20:21], v0, v[2:3]
; %bb.4950:                             ;   in Loop: Header=BB4_4915 Depth=3
	s_andn2_saveexec_b64 s[40:41], s[40:41]
; %bb.4951:                             ;   in Loop: Header=BB4_4915 Depth=3
	v_mov_b32_e32 v21, v3
	v_bfe_u32 v4, v2, 23, 1
	v_mov_b32_e32 v20, v2
; %bb.4952:                             ;   in Loop: Header=BB4_4915 Depth=3
	s_or_b64 exec, exec, s[40:41]
	v_lshrrev_b64 v[20:21], 20, v[20:21]
	v_cmp_gt_i32_e32 vcc, 16, v4
	v_cndmask_b32_e32 v21, 0, v21, vcc
	v_cndmask_b32_e32 v20, 7, v20, vcc
	v_min_i32_e32 v0, 15, v4
	v_cmp_eq_u64_e64 s[40:41], 0, v[20:21]
	v_lshlrev_b32_e32 v0, 3, v0
	v_cmp_eq_u32_e32 vcc, 0, v4
	v_and_b32_e32 v0, 0xf8, v0
	v_and_or_b32 v0, v20, 7, v0
	s_and_b64 s[40:41], vcc, s[40:41]
	v_cndmask_b32_e64 v0, v0, 0, s[40:41]
	v_or_b32_e32 v31, v0, v6
.LBB4_4953:                             ;   in Loop: Header=BB4_4915 Depth=3
	s_or_b64 exec, exec, s[46:47]
                                        ; implicit-def: $vgpr6
.LBB4_4954:                             ;   in Loop: Header=BB4_4915 Depth=3
	s_andn2_saveexec_b64 s[40:41], s[44:45]
; %bb.4955:                             ;   in Loop: Header=BB4_4915 Depth=3
	v_or_b32_e32 v31, 0x7e, v6
; %bb.4956:                             ;   in Loop: Header=BB4_4915 Depth=3
	s_or_b64 exec, exec, s[40:41]
                                        ; implicit-def: $vgpr4
.LBB4_4957:                             ;   in Loop: Header=BB4_4915 Depth=3
	s_andn2_saveexec_b64 s[40:41], s[42:43]
; %bb.4958:                             ;   in Loop: Header=BB4_4915 Depth=3
	v_or_b32_sdwa v31, v4, s81 dst_sel:DWORD dst_unused:UNUSED_PAD src0_sel:BYTE_3 src1_sel:DWORD
; %bb.4959:                             ;   in Loop: Header=BB4_4915 Depth=3
	s_or_b64 exec, exec, s[40:41]
	v_lshrrev_b16_e32 v2, 8, v12
	v_and_b32_e32 v0, 7, v2
	v_and_b32_e32 v4, 0x7f, v2
	v_cmp_eq_u32_e64 s[40:41], s81, v4
	v_cmp_gt_u32_e32 vcc, 8, v4
	v_ffbh_u32_e32 v4, v0
	v_min_u32_e32 v20, 32, v4
	v_subrev_u32_e32 v4, 28, v20
	v_lshlrev_b64 v[4:5], v4, v[2:3]
	v_bfe_u32 v6, v2, 3, 4
	v_sub_u32_e32 v5, 29, v20
	v_and_b32_e32 v4, 7, v4
	v_cndmask_b32_e32 v5, v6, v5, vcc
	v_cndmask_b32_e32 v0, v0, v4, vcc
	v_lshlrev_b32_e32 v4, 24, v2
	v_lshlrev_b32_e32 v0, 20, v0
	v_and_b32_e32 v4, 0x80000000, v4
	v_lshl_add_u32 v5, v5, 23, v54
	v_lshrrev_b16_e32 v20, 8, v8
	v_or3_b32 v4, v4, v5, v0
	v_cmp_ne_u16_e64 s[42:43], 0, v20
	s_mov_b64 s[44:45], -1
	s_and_b64 vcc, exec, s[52:53]
                                        ; implicit-def: $vgpr5
	s_cbranch_vccz .LBB4_4973
; %bb.4960:                             ;   in Loop: Header=BB4_4915 Depth=3
	v_mov_b32_e32 v5, 0
	s_and_saveexec_b64 s[44:45], s[42:43]
	s_cbranch_execz .LBB4_4966
; %bb.4961:                             ;   in Loop: Header=BB4_4915 Depth=3
	v_cmp_ne_u16_e32 vcc, s80, v20
	v_bfrev_b32_e32 v5, 1
	s_and_saveexec_b64 s[46:47], vcc
	s_cbranch_execz .LBB4_4965
; %bb.4962:                             ;   in Loop: Header=BB4_4915 Depth=3
	v_and_b32_e32 v0, 0x7f, v20
	v_cmp_ne_u32_e32 vcc, s81, v0
	v_mov_b32_e32 v5, 0x7f800001
	s_and_saveexec_b64 s[54:55], vcc
	s_cbranch_execz .LBB4_4964
; %bb.4963:                             ;   in Loop: Header=BB4_4915 Depth=3
	v_and_b32_e32 v21, 7, v20
	v_lshrrev_b32_e32 v22, 3, v0
	v_cmp_gt_u32_e32 vcc, 8, v0
	v_ffbh_u32_e32 v0, v21
	v_min_u32_e32 v0, 32, v0
	v_subrev_u32_e32 v5, 28, v0
	v_lshlrev_b64 v[5:6], v5, v[20:21]
	v_sub_u32_e32 v0, 29, v0
	v_and_b32_e32 v5, 7, v5
	v_cndmask_b32_e32 v0, v22, v0, vcc
	v_cndmask_b32_e32 v5, v21, v5, vcc
	v_lshlrev_b32_e32 v6, 16, v8
	v_lshlrev_b32_e32 v5, 20, v5
	v_and_b32_e32 v6, 0x80000000, v6
	v_lshl_add_u32 v0, v0, 23, v54
	v_or3_b32 v5, v6, v0, v5
.LBB4_4964:                             ;   in Loop: Header=BB4_4915 Depth=3
	s_or_b64 exec, exec, s[54:55]
.LBB4_4965:                             ;   in Loop: Header=BB4_4915 Depth=3
	s_or_b64 exec, exec, s[46:47]
.LBB4_4966:                             ;   in Loop: Header=BB4_4915 Depth=3
	s_or_b64 exec, exec, s[44:45]
	v_cmp_lt_i16_e32 vcc, s81, v2
	s_mov_b64 s[44:45], 0
	s_and_saveexec_b64 s[46:47], vcc
	s_xor_b64 s[46:47], exec, s[46:47]
	s_cbranch_execz .LBB4_5578
; %bb.4967:                             ;   in Loop: Header=BB4_4915 Depth=3
	v_cmp_eq_u16_e32 vcc, s80, v2
	s_mov_b64 s[44:45], -1
	s_and_saveexec_b64 s[54:55], vcc
; %bb.4968:                             ;   in Loop: Header=BB4_4915 Depth=3
	s_xor_b64 s[44:45], exec, -1
; %bb.4969:                             ;   in Loop: Header=BB4_4915 Depth=3
	s_or_b64 exec, exec, s[54:55]
	s_and_b64 s[44:45], s[44:45], exec
	s_or_saveexec_b64 s[46:47], s[46:47]
	v_bfrev_b32_e32 v0, 1
	s_xor_b64 exec, exec, s[46:47]
	s_cbranch_execnz .LBB4_5579
.LBB4_4970:                             ;   in Loop: Header=BB4_4915 Depth=3
	s_or_b64 exec, exec, s[46:47]
	s_and_saveexec_b64 s[46:47], s[44:45]
.LBB4_4971:                             ;   in Loop: Header=BB4_4915 Depth=3
	v_mov_b32_e32 v0, 0x7f800001
	v_cndmask_b32_e64 v0, v4, v0, s[40:41]
.LBB4_4972:                             ;   in Loop: Header=BB4_4915 Depth=3
	s_or_b64 exec, exec, s[46:47]
	v_max_f32_e32 v0, v0, v0
	v_max_f32_e32 v5, v5, v5
	;; [unrolled: 1-line block ×3, first 2 shown]
	s_mov_b64 s[44:45], 0
.LBB4_4973:                             ;   in Loop: Header=BB4_4915 Depth=3
	s_and_b64 vcc, exec, s[44:45]
	s_cbranch_vccz .LBB4_4987
; %bb.4974:                             ;   in Loop: Header=BB4_4915 Depth=3
	v_mov_b32_e32 v5, 0
	s_and_saveexec_b64 s[44:45], s[42:43]
	s_cbranch_execz .LBB4_4980
; %bb.4975:                             ;   in Loop: Header=BB4_4915 Depth=3
	v_cmp_ne_u16_e32 vcc, s80, v20
	v_bfrev_b32_e32 v5, 1
	s_and_saveexec_b64 s[42:43], vcc
	s_cbranch_execz .LBB4_4979
; %bb.4976:                             ;   in Loop: Header=BB4_4915 Depth=3
	v_and_b32_e32 v0, 0x7f, v20
	v_cmp_ne_u32_e32 vcc, s81, v0
	v_mov_b32_e32 v5, 0x7f800001
	s_and_saveexec_b64 s[46:47], vcc
	s_cbranch_execz .LBB4_4978
; %bb.4977:                             ;   in Loop: Header=BB4_4915 Depth=3
	v_and_b32_e32 v21, 7, v20
	v_lshrrev_b32_e32 v22, 3, v0
	v_cmp_gt_u32_e32 vcc, 8, v0
	v_ffbh_u32_e32 v0, v21
	v_min_u32_e32 v0, 32, v0
	v_subrev_u32_e32 v5, 28, v0
	v_lshlrev_b64 v[5:6], v5, v[20:21]
	v_sub_u32_e32 v0, 29, v0
	v_and_b32_e32 v5, 7, v5
	v_cndmask_b32_e32 v0, v22, v0, vcc
	v_cndmask_b32_e32 v5, v21, v5, vcc
	v_lshlrev_b32_e32 v6, 16, v8
	v_lshlrev_b32_e32 v5, 20, v5
	v_and_b32_e32 v6, 0x80000000, v6
	v_lshl_add_u32 v0, v0, 23, v54
	v_or3_b32 v5, v6, v0, v5
.LBB4_4978:                             ;   in Loop: Header=BB4_4915 Depth=3
	s_or_b64 exec, exec, s[46:47]
.LBB4_4979:                             ;   in Loop: Header=BB4_4915 Depth=3
	s_or_b64 exec, exec, s[42:43]
.LBB4_4980:                             ;   in Loop: Header=BB4_4915 Depth=3
	s_or_b64 exec, exec, s[44:45]
	v_cmp_lt_i16_e32 vcc, s81, v2
	s_mov_b64 s[42:43], 0
	s_and_saveexec_b64 s[44:45], vcc
	s_xor_b64 s[44:45], exec, s[44:45]
	s_cbranch_execz .LBB4_5580
; %bb.4981:                             ;   in Loop: Header=BB4_4915 Depth=3
	v_cmp_eq_u16_e32 vcc, s80, v2
	s_mov_b64 s[42:43], -1
	s_and_saveexec_b64 s[46:47], vcc
; %bb.4982:                             ;   in Loop: Header=BB4_4915 Depth=3
	s_xor_b64 s[42:43], exec, -1
; %bb.4983:                             ;   in Loop: Header=BB4_4915 Depth=3
	s_or_b64 exec, exec, s[46:47]
	s_and_b64 s[42:43], s[42:43], exec
	s_or_saveexec_b64 s[44:45], s[44:45]
	v_bfrev_b32_e32 v0, 1
	s_xor_b64 exec, exec, s[44:45]
	s_cbranch_execnz .LBB4_5581
.LBB4_4984:                             ;   in Loop: Header=BB4_4915 Depth=3
	s_or_b64 exec, exec, s[44:45]
	s_and_saveexec_b64 s[44:45], s[42:43]
.LBB4_4985:                             ;   in Loop: Header=BB4_4915 Depth=3
	v_mov_b32_e32 v0, 0x7f800001
	v_cndmask_b32_e64 v0, v4, v0, s[40:41]
.LBB4_4986:                             ;   in Loop: Header=BB4_4915 Depth=3
	s_or_b64 exec, exec, s[44:45]
	v_max_f32_e32 v0, v0, v0
	v_max_f32_e32 v2, v5, v5
	v_min_f32_e32 v5, v2, v0
.LBB4_4987:                             ;   in Loop: Header=BB4_4915 Depth=3
	v_and_b32_e32 v2, 0x7f800000, v5
	v_cmp_ne_u64_e32 vcc, s[76:77], v[2:3]
                                        ; implicit-def: $vgpr34
	s_and_saveexec_b64 s[40:41], vcc
	s_xor_b64 s[42:43], exec, s[40:41]
	s_cbranch_execz .LBB4_5001
; %bb.4988:                             ;   in Loop: Header=BB4_4915 Depth=3
	v_and_b32_e32 v2, 0x7fffffff, v5
	v_cmp_gt_u64_e32 vcc, s[78:79], v[2:3]
	v_and_b32_sdwa v6, v5, s80 dst_sel:DWORD dst_unused:UNUSED_PAD src0_sel:BYTE_3 src1_sel:DWORD
                                        ; implicit-def: $vgpr34
	s_and_saveexec_b64 s[40:41], vcc
	s_xor_b64 s[44:45], exec, s[40:41]
	s_cbranch_execz .LBB4_4998
; %bb.4989:                             ;   in Loop: Header=BB4_4915 Depth=3
	v_mov_b32_e32 v34, 0
	v_cmp_ne_u32_e32 vcc, 0, v5
	s_and_saveexec_b64 s[46:47], vcc
	s_cbranch_execz .LBB4_4997
; %bb.4990:                             ;   in Loop: Header=BB4_4915 Depth=3
	v_bfe_u32 v22, v5, 23, 8
	v_cmp_gt_u32_e64 s[40:41], s83, v22
	v_sub_u32_e32 v2, 0x79, v22
	v_and_b32_e32 v0, 0x7fffff, v5
	v_cmp_eq_u32_e32 vcc, 0, v22
	v_cndmask_b32_e64 v2, 0, v2, s[40:41]
	v_mov_b32_e32 v5, 0x78
	v_or_b32_e32 v4, 0x800000, v0
	v_cndmask_b32_e32 v34, v2, v5, vcc
	v_cndmask_b32_e32 v2, v4, v0, vcc
	v_add_u32_e32 v0, 20, v34
	v_lshlrev_b64 v[4:5], v0, -1
	v_add_u32_e32 v0, 19, v34
	v_lshlrev_b64 v[20:21], v0, 1
	v_bfi_b32 v5, v5, 0, 0
	v_bfi_b32 v4, v4, 0, v2
	v_cmp_eq_u64_e64 s[40:41], v[4:5], v[20:21]
	v_lshrrev_b64 v[20:21], v34, v[2:3]
	v_mov_b32_e32 v4, v20
	v_mov_b32_e32 v5, v21
	s_and_saveexec_b64 s[54:55], s[40:41]
; %bb.4991:                             ;   in Loop: Header=BB4_4915 Depth=3
	v_bfe_u32 v0, v20, 20, 1
	v_add_co_u32_e64 v0, s[40:41], v20, v0
	v_add_co_u32_e64 v4, s[40:41], -1, v0
; %bb.4992:                             ;   in Loop: Header=BB4_4915 Depth=3
	s_or_b64 exec, exec, s[54:55]
	v_add_u32_e32 v0, 0xffffff81, v22
	v_mov_b32_e32 v2, 0xffffff82
	v_cndmask_b32_e32 v0, v0, v2, vcc
	v_lshrrev_b32_e32 v2, 23, v20
	v_add3_u32 v5, v34, v0, v2
	v_add_u32_e32 v0, 6, v5
	v_and_b32_e32 v2, 0xfffff, v4
	v_add_u32_e32 v2, v2, v20
	v_cmp_ne_u32_e32 vcc, 0, v0
                                        ; implicit-def: $vgpr20_vgpr21
                                        ; implicit-def: $vgpr4
	s_and_saveexec_b64 s[40:41], vcc
	s_xor_b64 s[40:41], exec, s[40:41]
; %bb.4993:                             ;   in Loop: Header=BB4_4915 Depth=3
	v_cmp_lt_u64_e32 vcc, s[88:89], v[2:3]
	v_add_u32_e32 v4, 7, v5
	v_cndmask_b32_e32 v4, v0, v4, vcc
	v_cndmask_b32_e64 v0, 0, 1, vcc
	v_lshrrev_b64 v[20:21], v0, v[2:3]
; %bb.4994:                             ;   in Loop: Header=BB4_4915 Depth=3
	s_andn2_saveexec_b64 s[40:41], s[40:41]
; %bb.4995:                             ;   in Loop: Header=BB4_4915 Depth=3
	v_mov_b32_e32 v21, v3
	v_bfe_u32 v4, v2, 23, 1
	v_mov_b32_e32 v20, v2
; %bb.4996:                             ;   in Loop: Header=BB4_4915 Depth=3
	s_or_b64 exec, exec, s[40:41]
	v_lshrrev_b64 v[20:21], 20, v[20:21]
	v_cmp_gt_i32_e32 vcc, 16, v4
	v_cndmask_b32_e32 v21, 0, v21, vcc
	v_cndmask_b32_e32 v20, 7, v20, vcc
	v_min_i32_e32 v0, 15, v4
	v_cmp_eq_u64_e64 s[40:41], 0, v[20:21]
	v_lshlrev_b32_e32 v0, 3, v0
	v_cmp_eq_u32_e32 vcc, 0, v4
	v_and_b32_e32 v0, 0xf8, v0
	v_and_or_b32 v0, v20, 7, v0
	s_and_b64 s[40:41], vcc, s[40:41]
	v_cndmask_b32_e64 v0, v0, 0, s[40:41]
	v_or_b32_e32 v34, v0, v6
.LBB4_4997:                             ;   in Loop: Header=BB4_4915 Depth=3
	s_or_b64 exec, exec, s[46:47]
                                        ; implicit-def: $vgpr6
.LBB4_4998:                             ;   in Loop: Header=BB4_4915 Depth=3
	s_andn2_saveexec_b64 s[40:41], s[44:45]
; %bb.4999:                             ;   in Loop: Header=BB4_4915 Depth=3
	v_or_b32_e32 v34, 0x7e, v6
; %bb.5000:                             ;   in Loop: Header=BB4_4915 Depth=3
	s_or_b64 exec, exec, s[40:41]
                                        ; implicit-def: $vgpr5
.LBB4_5001:                             ;   in Loop: Header=BB4_4915 Depth=3
	s_andn2_saveexec_b64 s[40:41], s[42:43]
; %bb.5002:                             ;   in Loop: Header=BB4_4915 Depth=3
	v_or_b32_sdwa v34, v5, s81 dst_sel:DWORD dst_unused:UNUSED_PAD src0_sel:BYTE_3 src1_sel:DWORD
; %bb.5003:                             ;   in Loop: Header=BB4_4915 Depth=3
	s_or_b64 exec, exec, s[40:41]
	v_bfe_u32 v0, v12, 16, 3
	v_bfe_u32 v4, v12, 16, 7
	v_cmp_eq_u32_e64 s[40:41], s81, v4
	v_cmp_gt_u32_e32 vcc, 8, v4
	v_ffbh_u32_e32 v4, v0
	v_min_u32_e32 v20, 32, v4
	v_lshrrev_b32_e32 v2, 16, v12
	v_subrev_u32_e32 v4, 28, v20
	v_lshlrev_b64 v[4:5], v4, v[2:3]
	v_bfe_u32 v6, v2, 3, 4
	v_sub_u32_e32 v5, 29, v20
	v_and_b32_e32 v4, 7, v4
	v_cndmask_b32_e32 v5, v6, v5, vcc
	v_cndmask_b32_e32 v0, v0, v4, vcc
	v_lshlrev_b32_e32 v4, 8, v12
	v_lshlrev_b32_e32 v0, 20, v0
	v_and_b32_e32 v4, 0x80000000, v4
	v_lshl_add_u32 v5, v5, 23, v54
	v_lshrrev_b32_e32 v20, 16, v8
	v_or3_b32 v4, v4, v5, v0
	v_cmp_ne_u16_sdwa s[42:43], v20, v3 src0_sel:BYTE_0 src1_sel:DWORD
	s_mov_b64 s[44:45], -1
	s_and_b64 vcc, exec, s[52:53]
                                        ; implicit-def: $vgpr5
	s_cbranch_vccz .LBB4_5017
; %bb.5004:                             ;   in Loop: Header=BB4_4915 Depth=3
	v_mov_b32_e32 v5, 0
	s_and_saveexec_b64 s[44:45], s[42:43]
	s_cbranch_execz .LBB4_5010
; %bb.5005:                             ;   in Loop: Header=BB4_4915 Depth=3
	v_cmp_ne_u16_sdwa vcc, v20, s80 src0_sel:BYTE_0 src1_sel:DWORD
	v_bfrev_b32_e32 v5, 1
	s_and_saveexec_b64 s[46:47], vcc
	s_cbranch_execz .LBB4_5009
; %bb.5006:                             ;   in Loop: Header=BB4_4915 Depth=3
	v_bfe_u32 v0, v8, 16, 7
	v_cmp_ne_u32_e32 vcc, s81, v0
	v_mov_b32_e32 v5, 0x7f800001
	s_and_saveexec_b64 s[54:55], vcc
	s_cbranch_execz .LBB4_5008
; %bb.5007:                             ;   in Loop: Header=BB4_4915 Depth=3
	v_and_b32_e32 v21, 7, v20
	v_lshrrev_b32_e32 v22, 3, v0
	v_cmp_gt_u32_e32 vcc, 8, v0
	v_ffbh_u32_e32 v0, v21
	v_min_u32_e32 v0, 32, v0
	v_subrev_u32_e32 v5, 28, v0
	v_lshlrev_b64 v[5:6], v5, v[20:21]
	v_sub_u32_e32 v0, 29, v0
	v_and_b32_e32 v5, 7, v5
	v_cndmask_b32_e32 v0, v22, v0, vcc
	v_cndmask_b32_e32 v5, v21, v5, vcc
	v_lshlrev_b32_e32 v6, 24, v20
	v_lshlrev_b32_e32 v5, 20, v5
	v_and_b32_e32 v6, 0x80000000, v6
	v_lshl_add_u32 v0, v0, 23, v54
	v_or3_b32 v5, v6, v0, v5
.LBB4_5008:                             ;   in Loop: Header=BB4_4915 Depth=3
	s_or_b64 exec, exec, s[54:55]
.LBB4_5009:                             ;   in Loop: Header=BB4_4915 Depth=3
	s_or_b64 exec, exec, s[46:47]
.LBB4_5010:                             ;   in Loop: Header=BB4_4915 Depth=3
	s_or_b64 exec, exec, s[44:45]
	v_cmp_gt_i16_sdwa s[46:47], v2, s81 src0_sel:BYTE_0 src1_sel:DWORD
	s_mov_b64 s[44:45], 0
	s_and_saveexec_b64 vcc, s[46:47]
	s_xor_b64 s[46:47], exec, vcc
	s_cbranch_execz .LBB4_5582
; %bb.5011:                             ;   in Loop: Header=BB4_4915 Depth=3
	v_cmp_eq_u16_sdwa s[54:55], v2, s80 src0_sel:BYTE_0 src1_sel:DWORD
	s_mov_b64 s[44:45], -1
	s_and_saveexec_b64 vcc, s[54:55]
; %bb.5012:                             ;   in Loop: Header=BB4_4915 Depth=3
	s_xor_b64 s[44:45], exec, -1
; %bb.5013:                             ;   in Loop: Header=BB4_4915 Depth=3
	s_or_b64 exec, exec, vcc
	s_and_b64 s[44:45], s[44:45], exec
	s_or_saveexec_b64 s[46:47], s[46:47]
	v_bfrev_b32_e32 v0, 1
	s_xor_b64 exec, exec, s[46:47]
	s_cbranch_execnz .LBB4_5583
.LBB4_5014:                             ;   in Loop: Header=BB4_4915 Depth=3
	s_or_b64 exec, exec, s[46:47]
	s_and_saveexec_b64 s[46:47], s[44:45]
.LBB4_5015:                             ;   in Loop: Header=BB4_4915 Depth=3
	v_mov_b32_e32 v0, 0x7f800001
	v_cndmask_b32_e64 v0, v4, v0, s[40:41]
.LBB4_5016:                             ;   in Loop: Header=BB4_4915 Depth=3
	s_or_b64 exec, exec, s[46:47]
	v_max_f32_e32 v0, v0, v0
	v_max_f32_e32 v5, v5, v5
	v_max_f32_e32 v5, v5, v0
	s_mov_b64 s[44:45], 0
.LBB4_5017:                             ;   in Loop: Header=BB4_4915 Depth=3
	s_and_b64 vcc, exec, s[44:45]
	s_cbranch_vccz .LBB4_5031
; %bb.5018:                             ;   in Loop: Header=BB4_4915 Depth=3
	v_mov_b32_e32 v5, 0
	s_and_saveexec_b64 s[44:45], s[42:43]
	s_cbranch_execz .LBB4_5024
; %bb.5019:                             ;   in Loop: Header=BB4_4915 Depth=3
	v_cmp_ne_u16_sdwa s[46:47], v20, s80 src0_sel:BYTE_0 src1_sel:DWORD
	v_bfrev_b32_e32 v5, 1
	s_and_saveexec_b64 s[42:43], s[46:47]
	s_cbranch_execz .LBB4_5023
; %bb.5020:                             ;   in Loop: Header=BB4_4915 Depth=3
	v_bfe_u32 v0, v8, 16, 7
	v_cmp_ne_u32_e32 vcc, s81, v0
	v_mov_b32_e32 v5, 0x7f800001
	s_and_saveexec_b64 s[46:47], vcc
	s_cbranch_execz .LBB4_5022
; %bb.5021:                             ;   in Loop: Header=BB4_4915 Depth=3
	v_and_b32_e32 v21, 7, v20
	v_lshrrev_b32_e32 v22, 3, v0
	v_cmp_gt_u32_e32 vcc, 8, v0
	v_ffbh_u32_e32 v0, v21
	v_min_u32_e32 v0, 32, v0
	v_subrev_u32_e32 v5, 28, v0
	v_lshlrev_b64 v[5:6], v5, v[20:21]
	v_sub_u32_e32 v0, 29, v0
	v_and_b32_e32 v5, 7, v5
	v_cndmask_b32_e32 v0, v22, v0, vcc
	v_cndmask_b32_e32 v5, v21, v5, vcc
	v_lshlrev_b32_e32 v6, 24, v20
	v_lshlrev_b32_e32 v5, 20, v5
	v_and_b32_e32 v6, 0x80000000, v6
	v_lshl_add_u32 v0, v0, 23, v54
	v_or3_b32 v5, v6, v0, v5
.LBB4_5022:                             ;   in Loop: Header=BB4_4915 Depth=3
	s_or_b64 exec, exec, s[46:47]
.LBB4_5023:                             ;   in Loop: Header=BB4_4915 Depth=3
	s_or_b64 exec, exec, s[42:43]
.LBB4_5024:                             ;   in Loop: Header=BB4_4915 Depth=3
	s_or_b64 exec, exec, s[44:45]
	v_cmp_gt_i16_sdwa s[44:45], v2, s81 src0_sel:BYTE_0 src1_sel:DWORD
	s_mov_b64 s[42:43], 0
	s_and_saveexec_b64 s[46:47], s[44:45]
	s_xor_b64 s[44:45], exec, s[46:47]
	s_cbranch_execz .LBB4_5584
; %bb.5025:                             ;   in Loop: Header=BB4_4915 Depth=3
	v_cmp_eq_u16_sdwa vcc, v2, s80 src0_sel:BYTE_0 src1_sel:DWORD
	s_mov_b64 s[42:43], -1
	s_and_saveexec_b64 s[46:47], vcc
; %bb.5026:                             ;   in Loop: Header=BB4_4915 Depth=3
	s_xor_b64 s[42:43], exec, -1
; %bb.5027:                             ;   in Loop: Header=BB4_4915 Depth=3
	s_or_b64 exec, exec, s[46:47]
	s_and_b64 s[42:43], s[42:43], exec
                                        ; implicit-def: $vgpr2
	s_or_saveexec_b64 s[44:45], s[44:45]
	v_bfrev_b32_e32 v0, 1
	s_xor_b64 exec, exec, s[44:45]
	s_cbranch_execnz .LBB4_5585
.LBB4_5028:                             ;   in Loop: Header=BB4_4915 Depth=3
	s_or_b64 exec, exec, s[44:45]
	s_and_saveexec_b64 s[44:45], s[42:43]
.LBB4_5029:                             ;   in Loop: Header=BB4_4915 Depth=3
	v_mov_b32_e32 v0, 0x7f800001
	v_cndmask_b32_e64 v0, v4, v0, s[40:41]
.LBB4_5030:                             ;   in Loop: Header=BB4_4915 Depth=3
	s_or_b64 exec, exec, s[44:45]
	v_max_f32_e32 v0, v0, v0
	v_max_f32_e32 v2, v5, v5
	v_min_f32_e32 v5, v2, v0
.LBB4_5031:                             ;   in Loop: Header=BB4_4915 Depth=3
	v_and_b32_e32 v2, 0x7f800000, v5
	v_cmp_ne_u64_e32 vcc, s[76:77], v[2:3]
                                        ; implicit-def: $vgpr35
	s_and_saveexec_b64 s[40:41], vcc
	s_xor_b64 s[42:43], exec, s[40:41]
	s_cbranch_execz .LBB4_5045
; %bb.5032:                             ;   in Loop: Header=BB4_4915 Depth=3
	v_and_b32_e32 v2, 0x7fffffff, v5
	v_cmp_gt_u64_e32 vcc, s[78:79], v[2:3]
	v_and_b32_sdwa v6, v5, s80 dst_sel:DWORD dst_unused:UNUSED_PAD src0_sel:BYTE_3 src1_sel:DWORD
                                        ; implicit-def: $vgpr35
	s_and_saveexec_b64 s[40:41], vcc
	s_xor_b64 s[44:45], exec, s[40:41]
	s_cbranch_execz .LBB4_5042
; %bb.5033:                             ;   in Loop: Header=BB4_4915 Depth=3
	v_mov_b32_e32 v35, 0
	v_cmp_ne_u32_e32 vcc, 0, v5
	s_and_saveexec_b64 s[46:47], vcc
	s_cbranch_execz .LBB4_5041
; %bb.5034:                             ;   in Loop: Header=BB4_4915 Depth=3
	v_bfe_u32 v22, v5, 23, 8
	v_cmp_gt_u32_e64 s[40:41], s83, v22
	v_sub_u32_e32 v2, 0x79, v22
	v_and_b32_e32 v0, 0x7fffff, v5
	v_cmp_eq_u32_e32 vcc, 0, v22
	v_cndmask_b32_e64 v2, 0, v2, s[40:41]
	v_mov_b32_e32 v5, 0x78
	v_or_b32_e32 v4, 0x800000, v0
	v_cndmask_b32_e32 v35, v2, v5, vcc
	v_cndmask_b32_e32 v2, v4, v0, vcc
	v_add_u32_e32 v0, 20, v35
	v_lshlrev_b64 v[4:5], v0, -1
	v_add_u32_e32 v0, 19, v35
	v_lshlrev_b64 v[20:21], v0, 1
	v_bfi_b32 v5, v5, 0, 0
	v_bfi_b32 v4, v4, 0, v2
	v_cmp_eq_u64_e64 s[40:41], v[4:5], v[20:21]
	v_lshrrev_b64 v[20:21], v35, v[2:3]
	v_mov_b32_e32 v4, v20
	v_mov_b32_e32 v5, v21
	s_and_saveexec_b64 s[54:55], s[40:41]
; %bb.5035:                             ;   in Loop: Header=BB4_4915 Depth=3
	v_bfe_u32 v0, v20, 20, 1
	v_add_co_u32_e64 v0, s[40:41], v20, v0
	v_add_co_u32_e64 v4, s[40:41], -1, v0
; %bb.5036:                             ;   in Loop: Header=BB4_4915 Depth=3
	s_or_b64 exec, exec, s[54:55]
	v_add_u32_e32 v0, 0xffffff81, v22
	v_mov_b32_e32 v2, 0xffffff82
	v_cndmask_b32_e32 v0, v0, v2, vcc
	v_lshrrev_b32_e32 v2, 23, v20
	v_add3_u32 v5, v35, v0, v2
	v_add_u32_e32 v0, 6, v5
	v_and_b32_e32 v2, 0xfffff, v4
	v_add_u32_e32 v2, v2, v20
	v_cmp_ne_u32_e32 vcc, 0, v0
                                        ; implicit-def: $vgpr20_vgpr21
                                        ; implicit-def: $vgpr4
	s_and_saveexec_b64 s[40:41], vcc
	s_xor_b64 s[40:41], exec, s[40:41]
; %bb.5037:                             ;   in Loop: Header=BB4_4915 Depth=3
	v_cmp_lt_u64_e32 vcc, s[88:89], v[2:3]
	v_add_u32_e32 v4, 7, v5
	v_cndmask_b32_e32 v4, v0, v4, vcc
	v_cndmask_b32_e64 v0, 0, 1, vcc
	v_lshrrev_b64 v[20:21], v0, v[2:3]
; %bb.5038:                             ;   in Loop: Header=BB4_4915 Depth=3
	s_andn2_saveexec_b64 s[40:41], s[40:41]
; %bb.5039:                             ;   in Loop: Header=BB4_4915 Depth=3
	v_mov_b32_e32 v21, v3
	v_bfe_u32 v4, v2, 23, 1
	v_mov_b32_e32 v20, v2
; %bb.5040:                             ;   in Loop: Header=BB4_4915 Depth=3
	s_or_b64 exec, exec, s[40:41]
	v_lshrrev_b64 v[20:21], 20, v[20:21]
	v_cmp_gt_i32_e32 vcc, 16, v4
	v_cndmask_b32_e32 v21, 0, v21, vcc
	v_cndmask_b32_e32 v20, 7, v20, vcc
	v_min_i32_e32 v0, 15, v4
	v_cmp_eq_u64_e64 s[40:41], 0, v[20:21]
	v_lshlrev_b32_e32 v0, 3, v0
	v_cmp_eq_u32_e32 vcc, 0, v4
	v_and_b32_e32 v0, 0xf8, v0
	v_and_or_b32 v0, v20, 7, v0
	s_and_b64 s[40:41], vcc, s[40:41]
	v_cndmask_b32_e64 v0, v0, 0, s[40:41]
	v_or_b32_e32 v35, v0, v6
.LBB4_5041:                             ;   in Loop: Header=BB4_4915 Depth=3
	s_or_b64 exec, exec, s[46:47]
                                        ; implicit-def: $vgpr6
.LBB4_5042:                             ;   in Loop: Header=BB4_4915 Depth=3
	s_andn2_saveexec_b64 s[40:41], s[44:45]
; %bb.5043:                             ;   in Loop: Header=BB4_4915 Depth=3
	v_or_b32_e32 v35, 0x7e, v6
; %bb.5044:                             ;   in Loop: Header=BB4_4915 Depth=3
	s_or_b64 exec, exec, s[40:41]
                                        ; implicit-def: $vgpr5
.LBB4_5045:                             ;   in Loop: Header=BB4_4915 Depth=3
	s_andn2_saveexec_b64 s[40:41], s[42:43]
; %bb.5046:                             ;   in Loop: Header=BB4_4915 Depth=3
	v_or_b32_sdwa v35, v5, s81 dst_sel:DWORD dst_unused:UNUSED_PAD src0_sel:BYTE_3 src1_sel:DWORD
; %bb.5047:                             ;   in Loop: Header=BB4_4915 Depth=3
	s_or_b64 exec, exec, s[40:41]
	v_bfe_u32 v6, v12, 24, 3
	v_bfe_u32 v4, v12, 24, 7
	v_cmp_eq_u32_e64 s[44:45], s81, v4
	v_cmp_gt_u32_e32 vcc, 8, v4
	v_ffbh_u32_e32 v4, v6
	v_min_u32_e32 v21, 32, v4
	v_lshrrev_b32_e32 v0, 24, v12
	v_subrev_u32_e32 v4, 28, v21
	v_lshlrev_b64 v[4:5], v4, v[0:1]
	v_bfe_u32 v20, v0, 3, 4
	v_cmp_eq_u32_e64 s[42:43], s80, v0
	v_sub_u32_e32 v0, 29, v21
	v_and_b32_e32 v4, 7, v4
	v_cndmask_b32_e32 v0, v20, v0, vcc
	v_cndmask_b32_e32 v4, v6, v4, vcc
	v_lshlrev_b32_e32 v4, 20, v4
	v_and_b32_e32 v5, 0x80000000, v12
	v_lshl_add_u32 v0, v0, 23, v54
	v_lshrrev_b32_e32 v2, 24, v8
	v_cmp_gt_u32_e64 s[40:41], s61, v12
	v_or3_b32 v4, v5, v0, v4
	v_cmp_lt_u32_e64 s[46:47], s63, v8
	s_mov_b64 s[54:55], -1
	s_and_b64 vcc, exec, s[52:53]
                                        ; implicit-def: $vgpr5
	s_cbranch_vccz .LBB4_5055
; %bb.5048:                             ;   in Loop: Header=BB4_4915 Depth=3
	v_mov_b32_e32 v0, 0
	s_and_saveexec_b64 s[54:55], s[46:47]
	s_cbranch_execz .LBB4_5054
; %bb.5049:                             ;   in Loop: Header=BB4_4915 Depth=3
	v_cmp_ne_u32_e32 vcc, s80, v2
	v_bfrev_b32_e32 v0, 1
	s_and_saveexec_b64 s[64:65], vcc
	s_cbranch_execz .LBB4_5053
; %bb.5050:                             ;   in Loop: Header=BB4_4915 Depth=3
	v_bfe_u32 v5, v8, 24, 7
	v_cmp_ne_u32_e32 vcc, s81, v5
	v_mov_b32_e32 v0, 0x7f800001
	s_and_saveexec_b64 s[66:67], vcc
	s_cbranch_execz .LBB4_5052
; %bb.5051:                             ;   in Loop: Header=BB4_4915 Depth=3
	v_and_b32_e32 v0, 7, v2
	v_lshrrev_b32_e32 v20, 3, v5
	v_cmp_gt_u32_e32 vcc, 8, v5
	v_ffbh_u32_e32 v5, v0
	v_min_u32_e32 v21, 32, v5
	v_subrev_u32_e32 v5, 28, v21
	v_lshlrev_b64 v[5:6], v5, v[2:3]
	v_sub_u32_e32 v6, 29, v21
	v_and_b32_e32 v5, 7, v5
	v_cndmask_b32_e32 v6, v20, v6, vcc
	v_cndmask_b32_e32 v0, v0, v5, vcc
	v_lshlrev_b32_e32 v5, 24, v2
	v_lshlrev_b32_e32 v0, 20, v0
	v_and_b32_e32 v5, 0x80000000, v5
	v_lshl_add_u32 v6, v6, 23, v54
	v_or3_b32 v0, v5, v6, v0
.LBB4_5052:                             ;   in Loop: Header=BB4_4915 Depth=3
	s_or_b64 exec, exec, s[66:67]
.LBB4_5053:                             ;   in Loop: Header=BB4_4915 Depth=3
	s_or_b64 exec, exec, s[64:65]
.LBB4_5054:                             ;   in Loop: Header=BB4_4915 Depth=3
	s_or_b64 exec, exec, s[54:55]
	v_mov_b32_e32 v5, 0x7f800001
	v_cndmask_b32_e64 v5, v4, v5, s[44:45]
	v_bfrev_b32_e32 v6, 1
	v_cndmask_b32_e64 v5, v5, v6, s[42:43]
	v_cndmask_b32_e64 v5, v5, 0, s[40:41]
	v_max_f32_e32 v5, v5, v5
	v_max_f32_e32 v0, v0, v0
	;; [unrolled: 1-line block ×3, first 2 shown]
	s_mov_b64 s[54:55], 0
.LBB4_5055:                             ;   in Loop: Header=BB4_4915 Depth=3
	s_and_b64 vcc, exec, s[54:55]
	s_cbranch_vccz .LBB4_5063
; %bb.5056:                             ;   in Loop: Header=BB4_4915 Depth=3
	v_mov_b32_e32 v0, 0
	s_and_saveexec_b64 s[54:55], s[46:47]
	s_cbranch_execz .LBB4_5062
; %bb.5057:                             ;   in Loop: Header=BB4_4915 Depth=3
	v_cmp_ne_u32_e32 vcc, s80, v2
	v_bfrev_b32_e32 v0, 1
	s_and_saveexec_b64 s[46:47], vcc
	s_cbranch_execz .LBB4_5061
; %bb.5058:                             ;   in Loop: Header=BB4_4915 Depth=3
	v_bfe_u32 v5, v8, 24, 7
	v_cmp_ne_u32_e32 vcc, s81, v5
	v_mov_b32_e32 v0, 0x7f800001
	s_and_saveexec_b64 s[64:65], vcc
	s_cbranch_execz .LBB4_5060
; %bb.5059:                             ;   in Loop: Header=BB4_4915 Depth=3
	v_and_b32_e32 v0, 7, v2
	v_lshrrev_b32_e32 v20, 3, v5
	v_cmp_gt_u32_e32 vcc, 8, v5
	v_ffbh_u32_e32 v5, v0
	v_min_u32_e32 v21, 32, v5
	v_subrev_u32_e32 v5, 28, v21
	v_lshlrev_b64 v[5:6], v5, v[2:3]
	v_sub_u32_e32 v6, 29, v21
	v_and_b32_e32 v5, 7, v5
	v_cndmask_b32_e32 v6, v20, v6, vcc
	v_cndmask_b32_e32 v0, v0, v5, vcc
	v_lshlrev_b32_e32 v2, 24, v2
	v_lshlrev_b32_e32 v0, 20, v0
	v_and_b32_e32 v2, 0x80000000, v2
	v_lshl_add_u32 v5, v6, 23, v54
	v_or3_b32 v0, v2, v5, v0
.LBB4_5060:                             ;   in Loop: Header=BB4_4915 Depth=3
	s_or_b64 exec, exec, s[64:65]
.LBB4_5061:                             ;   in Loop: Header=BB4_4915 Depth=3
	s_or_b64 exec, exec, s[46:47]
.LBB4_5062:                             ;   in Loop: Header=BB4_4915 Depth=3
	s_or_b64 exec, exec, s[54:55]
	v_mov_b32_e32 v2, 0x7f800001
	v_cndmask_b32_e64 v2, v4, v2, s[44:45]
	v_bfrev_b32_e32 v4, 1
	v_cndmask_b32_e64 v2, v2, v4, s[42:43]
	v_cndmask_b32_e64 v2, v2, 0, s[40:41]
	v_max_f32_e32 v2, v2, v2
	v_max_f32_e32 v0, v0, v0
	v_min_f32_e32 v5, v0, v2
.LBB4_5063:                             ;   in Loop: Header=BB4_4915 Depth=3
	v_and_b32_e32 v2, 0x7f800000, v5
	v_cmp_ne_u64_e32 vcc, s[76:77], v[2:3]
                                        ; implicit-def: $vgpr6
	s_and_saveexec_b64 s[40:41], vcc
	s_xor_b64 s[42:43], exec, s[40:41]
	s_cbranch_execz .LBB4_5077
; %bb.5064:                             ;   in Loop: Header=BB4_4915 Depth=3
	v_and_b32_e32 v2, 0x7fffffff, v5
	v_cmp_gt_u64_e32 vcc, s[78:79], v[2:3]
	v_and_b32_sdwa v22, v5, s80 dst_sel:DWORD dst_unused:UNUSED_PAD src0_sel:BYTE_3 src1_sel:DWORD
                                        ; implicit-def: $vgpr6
	s_and_saveexec_b64 s[40:41], vcc
	s_xor_b64 s[44:45], exec, s[40:41]
	s_cbranch_execz .LBB4_5074
; %bb.5065:                             ;   in Loop: Header=BB4_4915 Depth=3
	v_mov_b32_e32 v6, 0
	v_cmp_ne_u32_e32 vcc, 0, v5
	s_and_saveexec_b64 s[46:47], vcc
	s_cbranch_execz .LBB4_5073
; %bb.5066:                             ;   in Loop: Header=BB4_4915 Depth=3
	v_bfe_u32 v6, v5, 23, 8
	v_cmp_gt_u32_e64 s[40:41], s83, v6
	v_sub_u32_e32 v2, 0x79, v6
	v_and_b32_e32 v0, 0x7fffff, v5
	v_cmp_eq_u32_e32 vcc, 0, v6
	v_cndmask_b32_e64 v2, 0, v2, s[40:41]
	v_mov_b32_e32 v5, 0x78
	v_or_b32_e32 v4, 0x800000, v0
	v_cndmask_b32_e32 v36, v2, v5, vcc
	v_cndmask_b32_e32 v2, v4, v0, vcc
	v_add_u32_e32 v0, 20, v36
	v_lshlrev_b64 v[4:5], v0, -1
	v_add_u32_e32 v0, 19, v36
	v_lshlrev_b64 v[20:21], v0, 1
	v_bfi_b32 v5, v5, 0, 0
	v_bfi_b32 v4, v4, 0, v2
	v_cmp_eq_u64_e64 s[40:41], v[4:5], v[20:21]
	v_lshrrev_b64 v[20:21], v36, v[2:3]
	v_mov_b32_e32 v4, v20
	v_mov_b32_e32 v5, v21
	s_and_saveexec_b64 s[54:55], s[40:41]
; %bb.5067:                             ;   in Loop: Header=BB4_4915 Depth=3
	v_bfe_u32 v0, v20, 20, 1
	v_add_co_u32_e64 v0, s[40:41], v20, v0
	v_add_co_u32_e64 v4, s[40:41], -1, v0
; %bb.5068:                             ;   in Loop: Header=BB4_4915 Depth=3
	s_or_b64 exec, exec, s[54:55]
	v_add_u32_e32 v0, 0xffffff81, v6
	v_mov_b32_e32 v2, 0xffffff82
	v_cndmask_b32_e32 v0, v0, v2, vcc
	v_lshrrev_b32_e32 v2, 23, v20
	v_add3_u32 v5, v36, v0, v2
	v_add_u32_e32 v0, 6, v5
	v_and_b32_e32 v2, 0xfffff, v4
	v_add_u32_e32 v2, v2, v20
	v_cmp_ne_u32_e32 vcc, 0, v0
                                        ; implicit-def: $vgpr20_vgpr21
                                        ; implicit-def: $vgpr4
	s_and_saveexec_b64 s[40:41], vcc
	s_xor_b64 s[40:41], exec, s[40:41]
; %bb.5069:                             ;   in Loop: Header=BB4_4915 Depth=3
	v_cmp_lt_u64_e32 vcc, s[88:89], v[2:3]
	v_add_u32_e32 v4, 7, v5
	v_cndmask_b32_e32 v4, v0, v4, vcc
	v_cndmask_b32_e64 v0, 0, 1, vcc
	v_lshrrev_b64 v[20:21], v0, v[2:3]
; %bb.5070:                             ;   in Loop: Header=BB4_4915 Depth=3
	s_andn2_saveexec_b64 s[40:41], s[40:41]
; %bb.5071:                             ;   in Loop: Header=BB4_4915 Depth=3
	v_mov_b32_e32 v21, v3
	v_bfe_u32 v4, v2, 23, 1
	v_mov_b32_e32 v20, v2
; %bb.5072:                             ;   in Loop: Header=BB4_4915 Depth=3
	s_or_b64 exec, exec, s[40:41]
	v_lshrrev_b64 v[5:6], 20, v[20:21]
	v_cmp_gt_i32_e32 vcc, 16, v4
	v_cndmask_b32_e32 v6, 0, v6, vcc
	v_cndmask_b32_e32 v5, 7, v5, vcc
	v_min_i32_e32 v0, 15, v4
	v_cmp_eq_u64_e64 s[40:41], 0, v[5:6]
	v_lshlrev_b32_e32 v0, 3, v0
	v_cmp_eq_u32_e32 vcc, 0, v4
	v_and_b32_e32 v0, 0xf8, v0
	v_and_or_b32 v0, v5, 7, v0
	s_and_b64 s[40:41], vcc, s[40:41]
	v_cndmask_b32_e64 v0, v0, 0, s[40:41]
	v_or_b32_e32 v6, v0, v22
.LBB4_5073:                             ;   in Loop: Header=BB4_4915 Depth=3
	s_or_b64 exec, exec, s[46:47]
                                        ; implicit-def: $vgpr22
.LBB4_5074:                             ;   in Loop: Header=BB4_4915 Depth=3
	s_andn2_saveexec_b64 s[40:41], s[44:45]
; %bb.5075:                             ;   in Loop: Header=BB4_4915 Depth=3
	v_or_b32_e32 v6, 0x7e, v22
; %bb.5076:                             ;   in Loop: Header=BB4_4915 Depth=3
	s_or_b64 exec, exec, s[40:41]
                                        ; implicit-def: $vgpr5
.LBB4_5077:                             ;   in Loop: Header=BB4_4915 Depth=3
	s_andn2_saveexec_b64 s[40:41], s[42:43]
; %bb.5078:                             ;   in Loop: Header=BB4_4915 Depth=3
	v_or_b32_sdwa v6, v5, s81 dst_sel:DWORD dst_unused:UNUSED_PAD src0_sel:BYTE_3 src1_sel:DWORD
; %bb.5079:                             ;   in Loop: Header=BB4_4915 Depth=3
	s_or_b64 exec, exec, s[40:41]
	v_and_b32_e32 v0, 7, v13
	v_ffbh_u32_e32 v0, v0
	v_and_b32_e32 v4, 0x7f, v13
	v_min_u32_e32 v0, 32, v0
	v_cmp_eq_u32_e64 s[40:41], s81, v4
	v_cmp_gt_u32_e32 vcc, 8, v4
	v_subrev_u32_e32 v4, 28, v0
	v_mov_b32_e32 v2, v13
	v_bfe_u32 v5, v13, 3, 4
	v_sub_u32_e32 v0, 29, v0
	v_cndmask_b32_e32 v4, 0, v4, vcc
	v_cndmask_b32_e32 v0, v5, v0, vcc
	v_lshlrev_b64 v[4:5], v4, v[2:3]
	v_lshlrev_b32_e32 v5, 24, v13
	v_lshlrev_b32_e32 v4, 20, v4
	v_and_b32_e32 v4, 0x700000, v4
	v_and_b32_e32 v5, 0x80000000, v5
	v_lshl_add_u32 v0, v0, 23, v54
	v_or3_b32 v4, v5, v0, v4
	v_mov_b32_e32 v20, v9
	v_mov_b32_e32 v21, v3
	v_cmp_ne_u16_sdwa s[42:43], v9, v3 src0_sel:BYTE_0 src1_sel:DWORD
	s_mov_b64 s[44:45], -1
	s_and_b64 vcc, exec, s[52:53]
                                        ; implicit-def: $vgpr5
	s_cbranch_vccz .LBB4_5093
; %bb.5080:                             ;   in Loop: Header=BB4_4915 Depth=3
	v_mov_b32_e32 v5, 0
	s_and_saveexec_b64 s[44:45], s[42:43]
	s_cbranch_execz .LBB4_5086
; %bb.5081:                             ;   in Loop: Header=BB4_4915 Depth=3
	v_cmp_ne_u16_sdwa vcc, v9, s80 src0_sel:BYTE_0 src1_sel:DWORD
	v_bfrev_b32_e32 v5, 1
	s_and_saveexec_b64 s[46:47], vcc
	s_cbranch_execz .LBB4_5085
; %bb.5082:                             ;   in Loop: Header=BB4_4915 Depth=3
	v_and_b32_e32 v0, 0x7f, v9
	v_cmp_ne_u32_e32 vcc, s81, v0
	v_mov_b32_e32 v5, 0x7f800001
	s_and_saveexec_b64 s[54:55], vcc
	s_cbranch_execz .LBB4_5084
; %bb.5083:                             ;   in Loop: Header=BB4_4915 Depth=3
	v_and_b32_e32 v5, 7, v9
	v_lshrrev_b32_e32 v22, 3, v0
	v_cmp_gt_u32_e32 vcc, 8, v0
	v_ffbh_u32_e32 v0, v5
	v_min_u32_e32 v0, 32, v0
	v_subrev_u32_e32 v5, 28, v0
	v_cndmask_b32_e32 v5, 0, v5, vcc
	v_lshlrev_b64 v[36:37], v5, v[20:21]
	v_sub_u32_e32 v0, 29, v0
	v_cndmask_b32_e32 v0, v22, v0, vcc
	v_lshlrev_b32_e32 v5, 20, v36
	v_lshlrev_b32_e32 v22, 24, v20
	v_and_b32_e32 v5, 0x700000, v5
	v_and_b32_e32 v22, 0x80000000, v22
	v_lshl_add_u32 v0, v0, 23, v54
	v_or3_b32 v5, v22, v0, v5
.LBB4_5084:                             ;   in Loop: Header=BB4_4915 Depth=3
	s_or_b64 exec, exec, s[54:55]
.LBB4_5085:                             ;   in Loop: Header=BB4_4915 Depth=3
	s_or_b64 exec, exec, s[46:47]
.LBB4_5086:                             ;   in Loop: Header=BB4_4915 Depth=3
	s_or_b64 exec, exec, s[44:45]
	v_cmp_gt_i16_sdwa s[46:47], v13, s81 src0_sel:BYTE_0 src1_sel:DWORD
	s_mov_b64 s[44:45], 0
	s_and_saveexec_b64 vcc, s[46:47]
	s_xor_b64 s[46:47], exec, vcc
	s_cbranch_execz .LBB4_5586
; %bb.5087:                             ;   in Loop: Header=BB4_4915 Depth=3
	v_cmp_eq_u16_sdwa s[54:55], v13, s80 src0_sel:BYTE_0 src1_sel:DWORD
	s_mov_b64 s[44:45], -1
	s_and_saveexec_b64 vcc, s[54:55]
; %bb.5088:                             ;   in Loop: Header=BB4_4915 Depth=3
	s_xor_b64 s[44:45], exec, -1
; %bb.5089:                             ;   in Loop: Header=BB4_4915 Depth=3
	s_or_b64 exec, exec, vcc
	s_and_b64 s[44:45], s[44:45], exec
	s_or_saveexec_b64 s[46:47], s[46:47]
	v_bfrev_b32_e32 v0, 1
	s_xor_b64 exec, exec, s[46:47]
	s_cbranch_execnz .LBB4_5587
.LBB4_5090:                             ;   in Loop: Header=BB4_4915 Depth=3
	s_or_b64 exec, exec, s[46:47]
	s_and_saveexec_b64 s[46:47], s[44:45]
.LBB4_5091:                             ;   in Loop: Header=BB4_4915 Depth=3
	v_mov_b32_e32 v0, 0x7f800001
	v_cndmask_b32_e64 v0, v4, v0, s[40:41]
.LBB4_5092:                             ;   in Loop: Header=BB4_4915 Depth=3
	s_or_b64 exec, exec, s[46:47]
	v_max_f32_e32 v0, v0, v0
	v_max_f32_e32 v5, v5, v5
	;; [unrolled: 1-line block ×3, first 2 shown]
	s_mov_b64 s[44:45], 0
.LBB4_5093:                             ;   in Loop: Header=BB4_4915 Depth=3
	s_and_b64 vcc, exec, s[44:45]
	s_cbranch_vccz .LBB4_5107
; %bb.5094:                             ;   in Loop: Header=BB4_4915 Depth=3
	v_mov_b32_e32 v5, 0
	s_and_saveexec_b64 s[44:45], s[42:43]
	s_cbranch_execz .LBB4_5100
; %bb.5095:                             ;   in Loop: Header=BB4_4915 Depth=3
	v_cmp_ne_u16_sdwa s[46:47], v9, s80 src0_sel:BYTE_0 src1_sel:DWORD
	v_bfrev_b32_e32 v5, 1
	s_and_saveexec_b64 s[42:43], s[46:47]
	s_cbranch_execz .LBB4_5099
; %bb.5096:                             ;   in Loop: Header=BB4_4915 Depth=3
	v_and_b32_e32 v0, 0x7f, v9
	v_cmp_ne_u32_e32 vcc, s81, v0
	v_mov_b32_e32 v5, 0x7f800001
	s_and_saveexec_b64 s[46:47], vcc
	s_cbranch_execz .LBB4_5098
; %bb.5097:                             ;   in Loop: Header=BB4_4915 Depth=3
	v_and_b32_e32 v5, 7, v9
	v_lshrrev_b32_e32 v22, 3, v0
	v_cmp_gt_u32_e32 vcc, 8, v0
	v_ffbh_u32_e32 v0, v5
	v_min_u32_e32 v0, 32, v0
	v_subrev_u32_e32 v5, 28, v0
	v_sub_u32_e32 v0, 29, v0
	v_cndmask_b32_e32 v5, 0, v5, vcc
	v_cndmask_b32_e32 v0, v22, v0, vcc
	v_lshlrev_b64 v[21:22], v5, v[20:21]
	v_lshl_add_u32 v0, v0, 23, v54
	v_lshlrev_b32_e32 v5, 20, v21
	v_lshlrev_b32_e32 v21, 24, v20
	v_and_b32_e32 v5, 0x700000, v5
	v_and_b32_e32 v21, 0x80000000, v21
	v_or3_b32 v5, v21, v0, v5
.LBB4_5098:                             ;   in Loop: Header=BB4_4915 Depth=3
	s_or_b64 exec, exec, s[46:47]
.LBB4_5099:                             ;   in Loop: Header=BB4_4915 Depth=3
	s_or_b64 exec, exec, s[42:43]
.LBB4_5100:                             ;   in Loop: Header=BB4_4915 Depth=3
	s_or_b64 exec, exec, s[44:45]
	v_cmp_gt_i16_sdwa s[44:45], v13, s81 src0_sel:BYTE_0 src1_sel:DWORD
	s_mov_b64 s[42:43], 0
	s_and_saveexec_b64 s[46:47], s[44:45]
	s_xor_b64 s[44:45], exec, s[46:47]
	s_cbranch_execz .LBB4_5588
; %bb.5101:                             ;   in Loop: Header=BB4_4915 Depth=3
	v_cmp_eq_u16_sdwa vcc, v13, s80 src0_sel:BYTE_0 src1_sel:DWORD
	s_mov_b64 s[42:43], -1
	s_and_saveexec_b64 s[46:47], vcc
; %bb.5102:                             ;   in Loop: Header=BB4_4915 Depth=3
	s_xor_b64 s[42:43], exec, -1
; %bb.5103:                             ;   in Loop: Header=BB4_4915 Depth=3
	s_or_b64 exec, exec, s[46:47]
	s_and_b64 s[42:43], s[42:43], exec
	s_or_saveexec_b64 s[44:45], s[44:45]
	v_bfrev_b32_e32 v0, 1
	s_xor_b64 exec, exec, s[44:45]
	s_cbranch_execnz .LBB4_5589
.LBB4_5104:                             ;   in Loop: Header=BB4_4915 Depth=3
	s_or_b64 exec, exec, s[44:45]
	s_and_saveexec_b64 s[44:45], s[42:43]
.LBB4_5105:                             ;   in Loop: Header=BB4_4915 Depth=3
	v_mov_b32_e32 v0, 0x7f800001
	v_cndmask_b32_e64 v0, v4, v0, s[40:41]
.LBB4_5106:                             ;   in Loop: Header=BB4_4915 Depth=3
	s_or_b64 exec, exec, s[44:45]
	v_max_f32_e32 v0, v0, v0
	v_max_f32_e32 v4, v5, v5
	v_min_f32_e32 v5, v4, v0
.LBB4_5107:                             ;   in Loop: Header=BB4_4915 Depth=3
	v_and_b32_e32 v21, 0x7f800000, v5
	v_mov_b32_e32 v22, v3
	v_cmp_ne_u64_e32 vcc, s[76:77], v[21:22]
                                        ; implicit-def: $vgpr22
	s_and_saveexec_b64 s[40:41], vcc
	s_xor_b64 s[42:43], exec, s[40:41]
	s_cbranch_execz .LBB4_5121
; %bb.5108:                             ;   in Loop: Header=BB4_4915 Depth=3
	v_and_b32_e32 v21, 0x7fffffff, v5
	v_mov_b32_e32 v22, v3
	v_cmp_gt_u64_e32 vcc, s[78:79], v[21:22]
	v_and_b32_sdwa v36, v5, s80 dst_sel:DWORD dst_unused:UNUSED_PAD src0_sel:BYTE_3 src1_sel:DWORD
                                        ; implicit-def: $vgpr22
	s_and_saveexec_b64 s[40:41], vcc
	s_xor_b64 s[44:45], exec, s[40:41]
	s_cbranch_execz .LBB4_5118
; %bb.5109:                             ;   in Loop: Header=BB4_4915 Depth=3
	v_mov_b32_e32 v22, 0
	v_cmp_ne_u32_e32 vcc, 0, v5
	s_and_saveexec_b64 s[46:47], vcc
	s_cbranch_execz .LBB4_5117
; %bb.5110:                             ;   in Loop: Header=BB4_4915 Depth=3
	v_bfe_u32 v37, v5, 23, 8
	v_cmp_gt_u32_e64 s[40:41], s83, v37
	v_sub_u32_e32 v4, 0x79, v37
	v_and_b32_e32 v0, 0x7fffff, v5
	v_cmp_eq_u32_e32 vcc, 0, v37
	v_cndmask_b32_e64 v4, 0, v4, s[40:41]
	v_mov_b32_e32 v21, 0x78
	v_or_b32_e32 v5, 0x800000, v0
	v_cndmask_b32_e32 v50, v4, v21, vcc
	v_cndmask_b32_e32 v4, v5, v0, vcc
	v_add_u32_e32 v0, 20, v50
	v_lshlrev_b64 v[21:22], v0, -1
	v_add_u32_e32 v0, 19, v50
	v_lshlrev_b64 v[42:43], v0, 1
	v_mov_b32_e32 v5, v3
	v_bfi_b32 v22, v22, 0, 0
	v_bfi_b32 v21, v21, 0, v4
	v_cmp_eq_u64_e64 s[40:41], v[21:22], v[42:43]
	v_lshrrev_b64 v[21:22], v50, v[4:5]
	v_mov_b32_e32 v4, v21
	v_mov_b32_e32 v5, v22
	s_and_saveexec_b64 s[54:55], s[40:41]
; %bb.5111:                             ;   in Loop: Header=BB4_4915 Depth=3
	v_bfe_u32 v0, v21, 20, 1
	v_add_co_u32_e64 v0, s[40:41], v21, v0
	v_add_co_u32_e64 v4, s[40:41], -1, v0
; %bb.5112:                             ;   in Loop: Header=BB4_4915 Depth=3
	s_or_b64 exec, exec, s[54:55]
	v_add_u32_e32 v0, 0xffffff81, v37
	v_mov_b32_e32 v5, 0xffffff82
	v_cndmask_b32_e32 v0, v0, v5, vcc
	v_lshrrev_b32_e32 v5, 23, v21
	v_add3_u32 v5, v50, v0, v5
	v_add_u32_e32 v0, 6, v5
	v_and_b32_e32 v4, 0xfffff, v4
	v_add_u32_e32 v21, v4, v21
	v_mov_b32_e32 v22, v3
	v_cmp_ne_u32_e32 vcc, 0, v0
                                        ; implicit-def: $vgpr4
	s_and_saveexec_b64 s[40:41], vcc
	s_xor_b64 s[40:41], exec, s[40:41]
; %bb.5113:                             ;   in Loop: Header=BB4_4915 Depth=3
	v_cmp_lt_u64_e32 vcc, s[88:89], v[21:22]
	v_add_u32_e32 v4, 7, v5
	v_cndmask_b32_e32 v4, v0, v4, vcc
	v_cndmask_b32_e64 v0, 0, 1, vcc
	v_lshrrev_b64 v[21:22], v0, v[21:22]
; %bb.5114:                             ;   in Loop: Header=BB4_4915 Depth=3
	s_andn2_saveexec_b64 s[40:41], s[40:41]
; %bb.5115:                             ;   in Loop: Header=BB4_4915 Depth=3
	v_bfe_u32 v4, v21, 23, 1
; %bb.5116:                             ;   in Loop: Header=BB4_4915 Depth=3
	s_or_b64 exec, exec, s[40:41]
	v_lshrrev_b64 v[21:22], 20, v[21:22]
	v_cmp_gt_i32_e32 vcc, 16, v4
	v_cndmask_b32_e32 v22, 0, v22, vcc
	v_cndmask_b32_e32 v21, 7, v21, vcc
	v_min_i32_e32 v0, 15, v4
	v_cmp_eq_u64_e64 s[40:41], 0, v[21:22]
	v_lshlrev_b32_e32 v0, 3, v0
	v_cmp_eq_u32_e32 vcc, 0, v4
	v_and_b32_e32 v0, 0xf8, v0
	v_and_or_b32 v0, v21, 7, v0
	s_and_b64 s[40:41], vcc, s[40:41]
	v_cndmask_b32_e64 v0, v0, 0, s[40:41]
	v_or_b32_e32 v22, v0, v36
.LBB4_5117:                             ;   in Loop: Header=BB4_4915 Depth=3
	s_or_b64 exec, exec, s[46:47]
                                        ; implicit-def: $vgpr36
.LBB4_5118:                             ;   in Loop: Header=BB4_4915 Depth=3
	s_andn2_saveexec_b64 s[40:41], s[44:45]
; %bb.5119:                             ;   in Loop: Header=BB4_4915 Depth=3
	v_or_b32_e32 v22, 0x7e, v36
; %bb.5120:                             ;   in Loop: Header=BB4_4915 Depth=3
	s_or_b64 exec, exec, s[40:41]
                                        ; implicit-def: $vgpr5
.LBB4_5121:                             ;   in Loop: Header=BB4_4915 Depth=3
	s_andn2_saveexec_b64 s[40:41], s[42:43]
; %bb.5122:                             ;   in Loop: Header=BB4_4915 Depth=3
	v_or_b32_sdwa v22, v5, s81 dst_sel:DWORD dst_unused:UNUSED_PAD src0_sel:BYTE_3 src1_sel:DWORD
; %bb.5123:                             ;   in Loop: Header=BB4_4915 Depth=3
	s_or_b64 exec, exec, s[40:41]
	v_lshrrev_b16_e32 v2, 8, v2
	v_and_b32_e32 v0, 7, v2
	v_and_b32_e32 v4, 0x7f, v2
	v_cmp_eq_u32_e64 s[40:41], s81, v4
	v_cmp_gt_u32_e32 vcc, 8, v4
	v_ffbh_u32_e32 v4, v0
	v_min_u32_e32 v37, 32, v4
	v_subrev_u32_e32 v4, 28, v37
	v_lshlrev_b64 v[4:5], v4, v[2:3]
	v_bfe_u32 v36, v2, 3, 4
	v_sub_u32_e32 v5, 29, v37
	v_and_b32_e32 v4, 7, v4
	v_cndmask_b32_e32 v5, v36, v5, vcc
	v_cndmask_b32_e32 v0, v0, v4, vcc
	v_lshlrev_b32_e32 v4, 24, v2
	v_lshrrev_b16_e32 v21, 8, v20
	v_lshlrev_b32_e32 v0, 20, v0
	v_and_b32_e32 v4, 0x80000000, v4
	v_lshl_add_u32 v5, v5, 23, v54
	v_or3_b32 v4, v4, v5, v0
	v_cmp_ne_u16_e64 s[42:43], 0, v21
	s_mov_b64 s[44:45], -1
	s_and_b64 vcc, exec, s[52:53]
                                        ; implicit-def: $vgpr5
	s_cbranch_vccz .LBB4_5137
; %bb.5124:                             ;   in Loop: Header=BB4_4915 Depth=3
	v_mov_b32_e32 v5, 0
	s_and_saveexec_b64 s[44:45], s[42:43]
	s_cbranch_execz .LBB4_5130
; %bb.5125:                             ;   in Loop: Header=BB4_4915 Depth=3
	v_cmp_ne_u16_e32 vcc, s80, v21
	v_bfrev_b32_e32 v5, 1
	s_and_saveexec_b64 s[46:47], vcc
	s_cbranch_execz .LBB4_5129
; %bb.5126:                             ;   in Loop: Header=BB4_4915 Depth=3
	v_and_b32_e32 v0, 0x7f, v21
	v_cmp_ne_u32_e32 vcc, s81, v0
	v_mov_b32_e32 v5, 0x7f800001
	s_and_saveexec_b64 s[54:55], vcc
	s_cbranch_execz .LBB4_5128
; %bb.5127:                             ;   in Loop: Header=BB4_4915 Depth=3
	v_and_b32_e32 v5, 7, v21
	v_lshrrev_b32_e32 v50, 3, v0
	v_cmp_gt_u32_e32 vcc, 8, v0
	v_ffbh_u32_e32 v0, v5
	v_min_u32_e32 v0, 32, v0
	v_subrev_u32_e32 v36, 28, v0
	v_lshlrev_b64 v[36:37], v36, v[21:22]
	v_sub_u32_e32 v0, 29, v0
	v_and_b32_e32 v36, 7, v36
	v_cndmask_b32_e32 v0, v50, v0, vcc
	v_cndmask_b32_e32 v5, v5, v36, vcc
	v_lshlrev_b32_e32 v36, 16, v20
	v_lshlrev_b32_e32 v5, 20, v5
	v_and_b32_e32 v36, 0x80000000, v36
	v_lshl_add_u32 v0, v0, 23, v54
	v_or3_b32 v5, v36, v0, v5
.LBB4_5128:                             ;   in Loop: Header=BB4_4915 Depth=3
	s_or_b64 exec, exec, s[54:55]
.LBB4_5129:                             ;   in Loop: Header=BB4_4915 Depth=3
	s_or_b64 exec, exec, s[46:47]
.LBB4_5130:                             ;   in Loop: Header=BB4_4915 Depth=3
	s_or_b64 exec, exec, s[44:45]
	v_cmp_lt_i16_e32 vcc, s81, v2
	s_mov_b64 s[44:45], 0
	s_and_saveexec_b64 s[46:47], vcc
	s_xor_b64 s[46:47], exec, s[46:47]
	s_cbranch_execz .LBB4_5590
; %bb.5131:                             ;   in Loop: Header=BB4_4915 Depth=3
	v_cmp_eq_u16_e32 vcc, s80, v2
	s_mov_b64 s[44:45], -1
	s_and_saveexec_b64 s[54:55], vcc
; %bb.5132:                             ;   in Loop: Header=BB4_4915 Depth=3
	s_xor_b64 s[44:45], exec, -1
; %bb.5133:                             ;   in Loop: Header=BB4_4915 Depth=3
	s_or_b64 exec, exec, s[54:55]
	s_and_b64 s[44:45], s[44:45], exec
	s_or_saveexec_b64 s[46:47], s[46:47]
	v_bfrev_b32_e32 v0, 1
	s_xor_b64 exec, exec, s[46:47]
	s_cbranch_execnz .LBB4_5591
.LBB4_5134:                             ;   in Loop: Header=BB4_4915 Depth=3
	s_or_b64 exec, exec, s[46:47]
	s_and_saveexec_b64 s[46:47], s[44:45]
.LBB4_5135:                             ;   in Loop: Header=BB4_4915 Depth=3
	v_mov_b32_e32 v0, 0x7f800001
	v_cndmask_b32_e64 v0, v4, v0, s[40:41]
.LBB4_5136:                             ;   in Loop: Header=BB4_4915 Depth=3
	s_or_b64 exec, exec, s[46:47]
	v_max_f32_e32 v0, v0, v0
	v_max_f32_e32 v5, v5, v5
	;; [unrolled: 1-line block ×3, first 2 shown]
	s_mov_b64 s[44:45], 0
.LBB4_5137:                             ;   in Loop: Header=BB4_4915 Depth=3
	s_and_b64 vcc, exec, s[44:45]
	s_cbranch_vccz .LBB4_5151
; %bb.5138:                             ;   in Loop: Header=BB4_4915 Depth=3
	v_mov_b32_e32 v5, 0
	s_and_saveexec_b64 s[44:45], s[42:43]
	s_cbranch_execz .LBB4_5144
; %bb.5139:                             ;   in Loop: Header=BB4_4915 Depth=3
	v_cmp_ne_u16_e32 vcc, s80, v21
	v_bfrev_b32_e32 v5, 1
	s_and_saveexec_b64 s[42:43], vcc
	s_cbranch_execz .LBB4_5143
; %bb.5140:                             ;   in Loop: Header=BB4_4915 Depth=3
	v_and_b32_e32 v0, 0x7f, v21
	v_cmp_ne_u32_e32 vcc, s81, v0
	v_mov_b32_e32 v5, 0x7f800001
	s_and_saveexec_b64 s[46:47], vcc
	s_cbranch_execz .LBB4_5142
; %bb.5141:                             ;   in Loop: Header=BB4_4915 Depth=3
	v_and_b32_e32 v5, 7, v21
	v_lshrrev_b32_e32 v50, 3, v0
	v_cmp_gt_u32_e32 vcc, 8, v0
	v_ffbh_u32_e32 v0, v5
	v_min_u32_e32 v0, 32, v0
	v_subrev_u32_e32 v36, 28, v0
	v_lshlrev_b64 v[36:37], v36, v[21:22]
	v_sub_u32_e32 v0, 29, v0
	v_and_b32_e32 v21, 7, v36
	v_cndmask_b32_e32 v0, v50, v0, vcc
	v_cndmask_b32_e32 v5, v5, v21, vcc
	v_lshlrev_b32_e32 v20, 16, v20
	v_lshlrev_b32_e32 v5, 20, v5
	v_and_b32_e32 v20, 0x80000000, v20
	v_lshl_add_u32 v0, v0, 23, v54
	v_or3_b32 v5, v20, v0, v5
.LBB4_5142:                             ;   in Loop: Header=BB4_4915 Depth=3
	s_or_b64 exec, exec, s[46:47]
.LBB4_5143:                             ;   in Loop: Header=BB4_4915 Depth=3
	s_or_b64 exec, exec, s[42:43]
.LBB4_5144:                             ;   in Loop: Header=BB4_4915 Depth=3
	s_or_b64 exec, exec, s[44:45]
	v_cmp_lt_i16_e32 vcc, s81, v2
	s_mov_b64 s[42:43], 0
	s_and_saveexec_b64 s[44:45], vcc
	s_xor_b64 s[44:45], exec, s[44:45]
	s_cbranch_execz .LBB4_5592
; %bb.5145:                             ;   in Loop: Header=BB4_4915 Depth=3
	v_cmp_eq_u16_e32 vcc, s80, v2
	s_mov_b64 s[42:43], -1
	s_and_saveexec_b64 s[46:47], vcc
; %bb.5146:                             ;   in Loop: Header=BB4_4915 Depth=3
	s_xor_b64 s[42:43], exec, -1
; %bb.5147:                             ;   in Loop: Header=BB4_4915 Depth=3
	s_or_b64 exec, exec, s[46:47]
	s_and_b64 s[42:43], s[42:43], exec
	s_or_saveexec_b64 s[44:45], s[44:45]
	v_bfrev_b32_e32 v0, 1
	s_xor_b64 exec, exec, s[44:45]
	s_cbranch_execnz .LBB4_5593
.LBB4_5148:                             ;   in Loop: Header=BB4_4915 Depth=3
	s_or_b64 exec, exec, s[44:45]
	s_and_saveexec_b64 s[44:45], s[42:43]
.LBB4_5149:                             ;   in Loop: Header=BB4_4915 Depth=3
	v_mov_b32_e32 v0, 0x7f800001
	v_cndmask_b32_e64 v0, v4, v0, s[40:41]
.LBB4_5150:                             ;   in Loop: Header=BB4_4915 Depth=3
	s_or_b64 exec, exec, s[44:45]
	v_max_f32_e32 v0, v0, v0
	v_max_f32_e32 v2, v5, v5
	v_min_f32_e32 v5, v2, v0
.LBB4_5151:                             ;   in Loop: Header=BB4_4915 Depth=3
	v_and_b32_e32 v2, 0x7f800000, v5
	v_cmp_ne_u64_e32 vcc, s[76:77], v[2:3]
                                        ; implicit-def: $vgpr36
	s_and_saveexec_b64 s[40:41], vcc
	s_xor_b64 s[42:43], exec, s[40:41]
	s_cbranch_execz .LBB4_5165
; %bb.5152:                             ;   in Loop: Header=BB4_4915 Depth=3
	v_and_b32_e32 v2, 0x7fffffff, v5
	v_cmp_gt_u64_e32 vcc, s[78:79], v[2:3]
	v_and_b32_sdwa v37, v5, s80 dst_sel:DWORD dst_unused:UNUSED_PAD src0_sel:BYTE_3 src1_sel:DWORD
                                        ; implicit-def: $vgpr36
	s_and_saveexec_b64 s[40:41], vcc
	s_xor_b64 s[44:45], exec, s[40:41]
	s_cbranch_execz .LBB4_5162
; %bb.5153:                             ;   in Loop: Header=BB4_4915 Depth=3
	v_mov_b32_e32 v36, 0
	v_cmp_ne_u32_e32 vcc, 0, v5
	s_and_saveexec_b64 s[46:47], vcc
	s_cbranch_execz .LBB4_5161
; %bb.5154:                             ;   in Loop: Header=BB4_4915 Depth=3
	v_bfe_u32 v36, v5, 23, 8
	v_cmp_gt_u32_e64 s[40:41], s83, v36
	v_sub_u32_e32 v2, 0x79, v36
	v_and_b32_e32 v0, 0x7fffff, v5
	v_cmp_eq_u32_e32 vcc, 0, v36
	v_cndmask_b32_e64 v2, 0, v2, s[40:41]
	v_mov_b32_e32 v5, 0x78
	v_or_b32_e32 v4, 0x800000, v0
	v_cndmask_b32_e32 v50, v2, v5, vcc
	v_cndmask_b32_e32 v2, v4, v0, vcc
	v_add_u32_e32 v0, 20, v50
	v_lshlrev_b64 v[4:5], v0, -1
	v_add_u32_e32 v0, 19, v50
	v_lshlrev_b64 v[20:21], v0, 1
	v_bfi_b32 v5, v5, 0, 0
	v_bfi_b32 v4, v4, 0, v2
	v_cmp_eq_u64_e64 s[40:41], v[4:5], v[20:21]
	v_lshrrev_b64 v[20:21], v50, v[2:3]
	v_mov_b32_e32 v4, v20
	v_mov_b32_e32 v5, v21
	s_and_saveexec_b64 s[54:55], s[40:41]
; %bb.5155:                             ;   in Loop: Header=BB4_4915 Depth=3
	v_bfe_u32 v0, v20, 20, 1
	v_add_co_u32_e64 v0, s[40:41], v20, v0
	v_add_co_u32_e64 v4, s[40:41], -1, v0
; %bb.5156:                             ;   in Loop: Header=BB4_4915 Depth=3
	s_or_b64 exec, exec, s[54:55]
	v_add_u32_e32 v0, 0xffffff81, v36
	v_mov_b32_e32 v2, 0xffffff82
	v_cndmask_b32_e32 v0, v0, v2, vcc
	v_lshrrev_b32_e32 v2, 23, v20
	v_add3_u32 v5, v50, v0, v2
	v_add_u32_e32 v0, 6, v5
	v_and_b32_e32 v2, 0xfffff, v4
	v_add_u32_e32 v2, v2, v20
	v_cmp_ne_u32_e32 vcc, 0, v0
                                        ; implicit-def: $vgpr20_vgpr21
                                        ; implicit-def: $vgpr4
	s_and_saveexec_b64 s[40:41], vcc
	s_xor_b64 s[40:41], exec, s[40:41]
; %bb.5157:                             ;   in Loop: Header=BB4_4915 Depth=3
	v_cmp_lt_u64_e32 vcc, s[88:89], v[2:3]
	v_add_u32_e32 v4, 7, v5
	v_cndmask_b32_e32 v4, v0, v4, vcc
	v_cndmask_b32_e64 v0, 0, 1, vcc
	v_lshrrev_b64 v[20:21], v0, v[2:3]
; %bb.5158:                             ;   in Loop: Header=BB4_4915 Depth=3
	s_andn2_saveexec_b64 s[40:41], s[40:41]
; %bb.5159:                             ;   in Loop: Header=BB4_4915 Depth=3
	v_mov_b32_e32 v21, v3
	v_bfe_u32 v4, v2, 23, 1
	v_mov_b32_e32 v20, v2
; %bb.5160:                             ;   in Loop: Header=BB4_4915 Depth=3
	s_or_b64 exec, exec, s[40:41]
	v_lshrrev_b64 v[20:21], 20, v[20:21]
	v_cmp_gt_i32_e32 vcc, 16, v4
	v_cndmask_b32_e32 v21, 0, v21, vcc
	v_cndmask_b32_e32 v20, 7, v20, vcc
	v_min_i32_e32 v0, 15, v4
	v_cmp_eq_u64_e64 s[40:41], 0, v[20:21]
	v_lshlrev_b32_e32 v0, 3, v0
	v_cmp_eq_u32_e32 vcc, 0, v4
	v_and_b32_e32 v0, 0xf8, v0
	v_and_or_b32 v0, v20, 7, v0
	s_and_b64 s[40:41], vcc, s[40:41]
	v_cndmask_b32_e64 v0, v0, 0, s[40:41]
	v_or_b32_e32 v36, v0, v37
.LBB4_5161:                             ;   in Loop: Header=BB4_4915 Depth=3
	s_or_b64 exec, exec, s[46:47]
                                        ; implicit-def: $vgpr37
.LBB4_5162:                             ;   in Loop: Header=BB4_4915 Depth=3
	s_andn2_saveexec_b64 s[40:41], s[44:45]
; %bb.5163:                             ;   in Loop: Header=BB4_4915 Depth=3
	v_or_b32_e32 v36, 0x7e, v37
; %bb.5164:                             ;   in Loop: Header=BB4_4915 Depth=3
	s_or_b64 exec, exec, s[40:41]
                                        ; implicit-def: $vgpr5
.LBB4_5165:                             ;   in Loop: Header=BB4_4915 Depth=3
	s_andn2_saveexec_b64 s[40:41], s[42:43]
; %bb.5166:                             ;   in Loop: Header=BB4_4915 Depth=3
	v_or_b32_sdwa v36, v5, s81 dst_sel:DWORD dst_unused:UNUSED_PAD src0_sel:BYTE_3 src1_sel:DWORD
; %bb.5167:                             ;   in Loop: Header=BB4_4915 Depth=3
	s_or_b64 exec, exec, s[40:41]
	v_bfe_u32 v0, v13, 16, 3
	v_bfe_u32 v4, v13, 16, 7
	v_cmp_eq_u32_e64 s[40:41], s81, v4
	v_cmp_gt_u32_e32 vcc, 8, v4
	v_ffbh_u32_e32 v4, v0
	v_min_u32_e32 v21, 32, v4
	v_lshrrev_b32_e32 v2, 16, v13
	v_subrev_u32_e32 v4, 28, v21
	v_lshlrev_b64 v[4:5], v4, v[2:3]
	v_bfe_u32 v20, v2, 3, 4
	v_sub_u32_e32 v5, 29, v21
	v_and_b32_e32 v4, 7, v4
	v_cndmask_b32_e32 v5, v20, v5, vcc
	v_cndmask_b32_e32 v0, v0, v4, vcc
	v_lshlrev_b32_e32 v4, 8, v13
	v_lshlrev_b32_e32 v0, 20, v0
	v_and_b32_e32 v4, 0x80000000, v4
	v_lshl_add_u32 v5, v5, 23, v54
	v_lshrrev_b32_e32 v20, 16, v9
	v_or3_b32 v4, v4, v5, v0
	v_cmp_ne_u16_sdwa s[42:43], v20, v3 src0_sel:BYTE_0 src1_sel:DWORD
	s_mov_b64 s[44:45], -1
	s_and_b64 vcc, exec, s[52:53]
                                        ; implicit-def: $vgpr5
	s_cbranch_vccz .LBB4_5181
; %bb.5168:                             ;   in Loop: Header=BB4_4915 Depth=3
	v_mov_b32_e32 v5, 0
	s_and_saveexec_b64 s[44:45], s[42:43]
	s_cbranch_execz .LBB4_5174
; %bb.5169:                             ;   in Loop: Header=BB4_4915 Depth=3
	v_cmp_ne_u16_sdwa vcc, v20, s80 src0_sel:BYTE_0 src1_sel:DWORD
	v_bfrev_b32_e32 v5, 1
	s_and_saveexec_b64 s[46:47], vcc
	s_cbranch_execz .LBB4_5173
; %bb.5170:                             ;   in Loop: Header=BB4_4915 Depth=3
	v_bfe_u32 v0, v9, 16, 7
	v_cmp_ne_u32_e32 vcc, s81, v0
	v_mov_b32_e32 v5, 0x7f800001
	s_and_saveexec_b64 s[54:55], vcc
	s_cbranch_execz .LBB4_5172
; %bb.5171:                             ;   in Loop: Header=BB4_4915 Depth=3
	v_and_b32_e32 v5, 7, v20
	v_lshrrev_b32_e32 v21, 3, v0
	v_cmp_gt_u32_e32 vcc, 8, v0
	v_ffbh_u32_e32 v0, v5
	v_min_u32_e32 v0, 32, v0
	v_subrev_u32_e32 v37, 28, v0
	v_lshlrev_b64 v[50:51], v37, v[20:21]
	v_sub_u32_e32 v0, 29, v0
	v_and_b32_e32 v37, 7, v50
	v_cndmask_b32_e32 v0, v21, v0, vcc
	v_cndmask_b32_e32 v5, v5, v37, vcc
	v_lshlrev_b32_e32 v21, 24, v20
	v_lshlrev_b32_e32 v5, 20, v5
	v_and_b32_e32 v21, 0x80000000, v21
	v_lshl_add_u32 v0, v0, 23, v54
	v_or3_b32 v5, v21, v0, v5
.LBB4_5172:                             ;   in Loop: Header=BB4_4915 Depth=3
	s_or_b64 exec, exec, s[54:55]
.LBB4_5173:                             ;   in Loop: Header=BB4_4915 Depth=3
	s_or_b64 exec, exec, s[46:47]
.LBB4_5174:                             ;   in Loop: Header=BB4_4915 Depth=3
	s_or_b64 exec, exec, s[44:45]
	v_cmp_gt_i16_sdwa s[46:47], v2, s81 src0_sel:BYTE_0 src1_sel:DWORD
	s_mov_b64 s[44:45], 0
	s_and_saveexec_b64 vcc, s[46:47]
	s_xor_b64 s[46:47], exec, vcc
	s_cbranch_execz .LBB4_5594
; %bb.5175:                             ;   in Loop: Header=BB4_4915 Depth=3
	v_cmp_eq_u16_sdwa s[54:55], v2, s80 src0_sel:BYTE_0 src1_sel:DWORD
	s_mov_b64 s[44:45], -1
	s_and_saveexec_b64 vcc, s[54:55]
; %bb.5176:                             ;   in Loop: Header=BB4_4915 Depth=3
	s_xor_b64 s[44:45], exec, -1
; %bb.5177:                             ;   in Loop: Header=BB4_4915 Depth=3
	s_or_b64 exec, exec, vcc
	s_and_b64 s[44:45], s[44:45], exec
	s_or_saveexec_b64 s[46:47], s[46:47]
	v_bfrev_b32_e32 v0, 1
	s_xor_b64 exec, exec, s[46:47]
	s_cbranch_execnz .LBB4_5595
.LBB4_5178:                             ;   in Loop: Header=BB4_4915 Depth=3
	s_or_b64 exec, exec, s[46:47]
	s_and_saveexec_b64 s[46:47], s[44:45]
.LBB4_5179:                             ;   in Loop: Header=BB4_4915 Depth=3
	v_mov_b32_e32 v0, 0x7f800001
	v_cndmask_b32_e64 v0, v4, v0, s[40:41]
.LBB4_5180:                             ;   in Loop: Header=BB4_4915 Depth=3
	s_or_b64 exec, exec, s[46:47]
	v_max_f32_e32 v0, v0, v0
	v_max_f32_e32 v5, v5, v5
	;; [unrolled: 1-line block ×3, first 2 shown]
	s_mov_b64 s[44:45], 0
.LBB4_5181:                             ;   in Loop: Header=BB4_4915 Depth=3
	s_and_b64 vcc, exec, s[44:45]
	s_cbranch_vccz .LBB4_5195
; %bb.5182:                             ;   in Loop: Header=BB4_4915 Depth=3
	v_mov_b32_e32 v5, 0
	s_and_saveexec_b64 s[44:45], s[42:43]
	s_cbranch_execz .LBB4_5188
; %bb.5183:                             ;   in Loop: Header=BB4_4915 Depth=3
	v_cmp_ne_u16_sdwa s[46:47], v20, s80 src0_sel:BYTE_0 src1_sel:DWORD
	v_bfrev_b32_e32 v5, 1
	s_and_saveexec_b64 s[42:43], s[46:47]
	s_cbranch_execz .LBB4_5187
; %bb.5184:                             ;   in Loop: Header=BB4_4915 Depth=3
	v_bfe_u32 v0, v9, 16, 7
	v_cmp_ne_u32_e32 vcc, s81, v0
	v_mov_b32_e32 v5, 0x7f800001
	s_and_saveexec_b64 s[46:47], vcc
	s_cbranch_execz .LBB4_5186
; %bb.5185:                             ;   in Loop: Header=BB4_4915 Depth=3
	v_and_b32_e32 v5, 7, v20
	v_lshrrev_b32_e32 v21, 3, v0
	v_cmp_gt_u32_e32 vcc, 8, v0
	v_ffbh_u32_e32 v0, v5
	v_min_u32_e32 v0, 32, v0
	v_subrev_u32_e32 v37, 28, v0
	v_lshlrev_b64 v[50:51], v37, v[20:21]
	v_sub_u32_e32 v0, 29, v0
	v_and_b32_e32 v37, 7, v50
	v_cndmask_b32_e32 v0, v21, v0, vcc
	v_cndmask_b32_e32 v5, v5, v37, vcc
	v_lshlrev_b32_e32 v20, 24, v20
	v_lshlrev_b32_e32 v5, 20, v5
	v_and_b32_e32 v20, 0x80000000, v20
	v_lshl_add_u32 v0, v0, 23, v54
	v_or3_b32 v5, v20, v0, v5
.LBB4_5186:                             ;   in Loop: Header=BB4_4915 Depth=3
	s_or_b64 exec, exec, s[46:47]
.LBB4_5187:                             ;   in Loop: Header=BB4_4915 Depth=3
	s_or_b64 exec, exec, s[42:43]
.LBB4_5188:                             ;   in Loop: Header=BB4_4915 Depth=3
	s_or_b64 exec, exec, s[44:45]
	v_cmp_gt_i16_sdwa s[44:45], v2, s81 src0_sel:BYTE_0 src1_sel:DWORD
	s_mov_b64 s[42:43], 0
	s_and_saveexec_b64 s[46:47], s[44:45]
	s_xor_b64 s[44:45], exec, s[46:47]
	s_cbranch_execz .LBB4_5596
; %bb.5189:                             ;   in Loop: Header=BB4_4915 Depth=3
	v_cmp_eq_u16_sdwa vcc, v2, s80 src0_sel:BYTE_0 src1_sel:DWORD
	s_mov_b64 s[42:43], -1
	s_and_saveexec_b64 s[46:47], vcc
; %bb.5190:                             ;   in Loop: Header=BB4_4915 Depth=3
	s_xor_b64 s[42:43], exec, -1
; %bb.5191:                             ;   in Loop: Header=BB4_4915 Depth=3
	s_or_b64 exec, exec, s[46:47]
	s_and_b64 s[42:43], s[42:43], exec
                                        ; implicit-def: $vgpr2
	s_or_saveexec_b64 s[44:45], s[44:45]
	v_bfrev_b32_e32 v0, 1
	s_xor_b64 exec, exec, s[44:45]
	s_cbranch_execnz .LBB4_5597
.LBB4_5192:                             ;   in Loop: Header=BB4_4915 Depth=3
	s_or_b64 exec, exec, s[44:45]
	s_and_saveexec_b64 s[44:45], s[42:43]
.LBB4_5193:                             ;   in Loop: Header=BB4_4915 Depth=3
	v_mov_b32_e32 v0, 0x7f800001
	v_cndmask_b32_e64 v0, v4, v0, s[40:41]
.LBB4_5194:                             ;   in Loop: Header=BB4_4915 Depth=3
	s_or_b64 exec, exec, s[44:45]
	v_max_f32_e32 v0, v0, v0
	v_max_f32_e32 v2, v5, v5
	v_min_f32_e32 v5, v2, v0
.LBB4_5195:                             ;   in Loop: Header=BB4_4915 Depth=3
	v_and_b32_e32 v2, 0x7f800000, v5
	v_cmp_ne_u64_e32 vcc, s[76:77], v[2:3]
                                        ; implicit-def: $vgpr20
	s_and_saveexec_b64 s[40:41], vcc
	s_xor_b64 s[42:43], exec, s[40:41]
	s_cbranch_execz .LBB4_5209
; %bb.5196:                             ;   in Loop: Header=BB4_4915 Depth=3
	v_and_b32_e32 v2, 0x7fffffff, v5
	v_cmp_gt_u64_e32 vcc, s[78:79], v[2:3]
	v_and_b32_sdwa v37, v5, s80 dst_sel:DWORD dst_unused:UNUSED_PAD src0_sel:BYTE_3 src1_sel:DWORD
                                        ; implicit-def: $vgpr20
	s_and_saveexec_b64 s[40:41], vcc
	s_xor_b64 s[44:45], exec, s[40:41]
	s_cbranch_execz .LBB4_5206
; %bb.5197:                             ;   in Loop: Header=BB4_4915 Depth=3
	v_mov_b32_e32 v20, 0
	v_cmp_ne_u32_e32 vcc, 0, v5
	s_and_saveexec_b64 s[46:47], vcc
	s_cbranch_execz .LBB4_5205
; %bb.5198:                             ;   in Loop: Header=BB4_4915 Depth=3
	v_bfe_u32 v50, v5, 23, 8
	v_cmp_gt_u32_e64 s[40:41], s83, v50
	v_sub_u32_e32 v2, 0x79, v50
	v_and_b32_e32 v0, 0x7fffff, v5
	v_cmp_eq_u32_e32 vcc, 0, v50
	v_cndmask_b32_e64 v2, 0, v2, s[40:41]
	v_mov_b32_e32 v5, 0x78
	v_or_b32_e32 v4, 0x800000, v0
	v_cndmask_b32_e32 v51, v2, v5, vcc
	v_cndmask_b32_e32 v2, v4, v0, vcc
	v_add_u32_e32 v0, 20, v51
	v_lshlrev_b64 v[4:5], v0, -1
	v_add_u32_e32 v0, 19, v51
	v_lshlrev_b64 v[20:21], v0, 1
	v_bfi_b32 v5, v5, 0, 0
	v_bfi_b32 v4, v4, 0, v2
	v_cmp_eq_u64_e64 s[40:41], v[4:5], v[20:21]
	v_lshrrev_b64 v[20:21], v51, v[2:3]
	v_mov_b32_e32 v4, v20
	v_mov_b32_e32 v5, v21
	s_and_saveexec_b64 s[54:55], s[40:41]
; %bb.5199:                             ;   in Loop: Header=BB4_4915 Depth=3
	v_bfe_u32 v0, v20, 20, 1
	v_add_co_u32_e64 v0, s[40:41], v20, v0
	v_add_co_u32_e64 v4, s[40:41], -1, v0
; %bb.5200:                             ;   in Loop: Header=BB4_4915 Depth=3
	s_or_b64 exec, exec, s[54:55]
	v_add_u32_e32 v0, 0xffffff81, v50
	v_mov_b32_e32 v2, 0xffffff82
	v_cndmask_b32_e32 v0, v0, v2, vcc
	v_lshrrev_b32_e32 v2, 23, v20
	v_add3_u32 v5, v51, v0, v2
	v_add_u32_e32 v0, 6, v5
	v_and_b32_e32 v2, 0xfffff, v4
	v_add_u32_e32 v2, v2, v20
	v_cmp_ne_u32_e32 vcc, 0, v0
                                        ; implicit-def: $vgpr20_vgpr21
                                        ; implicit-def: $vgpr4
	s_and_saveexec_b64 s[40:41], vcc
	s_xor_b64 s[40:41], exec, s[40:41]
; %bb.5201:                             ;   in Loop: Header=BB4_4915 Depth=3
	v_cmp_lt_u64_e32 vcc, s[88:89], v[2:3]
	v_add_u32_e32 v4, 7, v5
	v_cndmask_b32_e32 v4, v0, v4, vcc
	v_cndmask_b32_e64 v0, 0, 1, vcc
	v_lshrrev_b64 v[20:21], v0, v[2:3]
; %bb.5202:                             ;   in Loop: Header=BB4_4915 Depth=3
	s_andn2_saveexec_b64 s[40:41], s[40:41]
; %bb.5203:                             ;   in Loop: Header=BB4_4915 Depth=3
	v_mov_b32_e32 v21, v3
	v_bfe_u32 v4, v2, 23, 1
	v_mov_b32_e32 v20, v2
; %bb.5204:                             ;   in Loop: Header=BB4_4915 Depth=3
	s_or_b64 exec, exec, s[40:41]
	v_lshrrev_b64 v[20:21], 20, v[20:21]
	v_cmp_gt_i32_e32 vcc, 16, v4
	v_cndmask_b32_e32 v21, 0, v21, vcc
	v_cndmask_b32_e32 v20, 7, v20, vcc
	v_min_i32_e32 v0, 15, v4
	v_cmp_eq_u64_e64 s[40:41], 0, v[20:21]
	v_lshlrev_b32_e32 v0, 3, v0
	v_cmp_eq_u32_e32 vcc, 0, v4
	v_and_b32_e32 v0, 0xf8, v0
	v_and_or_b32 v0, v20, 7, v0
	s_and_b64 s[40:41], vcc, s[40:41]
	v_cndmask_b32_e64 v0, v0, 0, s[40:41]
	v_or_b32_e32 v20, v0, v37
.LBB4_5205:                             ;   in Loop: Header=BB4_4915 Depth=3
	s_or_b64 exec, exec, s[46:47]
                                        ; implicit-def: $vgpr37
.LBB4_5206:                             ;   in Loop: Header=BB4_4915 Depth=3
	s_andn2_saveexec_b64 s[40:41], s[44:45]
; %bb.5207:                             ;   in Loop: Header=BB4_4915 Depth=3
	v_or_b32_e32 v20, 0x7e, v37
; %bb.5208:                             ;   in Loop: Header=BB4_4915 Depth=3
	s_or_b64 exec, exec, s[40:41]
                                        ; implicit-def: $vgpr5
.LBB4_5209:                             ;   in Loop: Header=BB4_4915 Depth=3
	s_andn2_saveexec_b64 s[40:41], s[42:43]
; %bb.5210:                             ;   in Loop: Header=BB4_4915 Depth=3
	v_or_b32_sdwa v20, v5, s81 dst_sel:DWORD dst_unused:UNUSED_PAD src0_sel:BYTE_3 src1_sel:DWORD
; %bb.5211:                             ;   in Loop: Header=BB4_4915 Depth=3
	s_or_b64 exec, exec, s[40:41]
	v_cmp_gt_u64_e64 s[40:41], s[60:61], v[12:13]
	v_bfe_u32 v12, v13, 24, 3
	v_bfe_u32 v4, v13, 24, 7
	v_cmp_eq_u32_e64 s[44:45], s81, v4
	v_cmp_gt_u32_e32 vcc, 8, v4
	v_ffbh_u32_e32 v4, v12
	v_min_u32_e32 v37, 32, v4
	v_lshrrev_b32_e32 v0, 24, v13
	v_subrev_u32_e32 v4, 28, v37
	v_lshlrev_b64 v[4:5], v4, v[0:1]
	v_bfe_u32 v21, v0, 3, 4
	v_cmp_eq_u32_e64 s[42:43], s80, v0
	v_sub_u32_e32 v0, 29, v37
	v_and_b32_e32 v4, 7, v4
	v_cndmask_b32_e32 v0, v21, v0, vcc
	v_cndmask_b32_e32 v4, v12, v4, vcc
	v_lshlrev_b32_e32 v4, 20, v4
	v_and_b32_e32 v5, 0x80000000, v13
	v_lshl_add_u32 v0, v0, 23, v54
	v_cmp_lt_u64_e64 s[46:47], s[62:63], v[8:9]
	v_lshrrev_b32_e32 v2, 24, v9
	v_or3_b32 v4, v5, v0, v4
	s_mov_b64 s[54:55], -1
	s_and_b64 vcc, exec, s[52:53]
                                        ; implicit-def: $vgpr5
	s_cbranch_vccz .LBB4_5219
; %bb.5212:                             ;   in Loop: Header=BB4_4915 Depth=3
	v_mov_b32_e32 v0, 0
	s_and_saveexec_b64 s[54:55], s[46:47]
	s_cbranch_execz .LBB4_5218
; %bb.5213:                             ;   in Loop: Header=BB4_4915 Depth=3
	v_cmp_ne_u32_e32 vcc, s80, v2
	v_bfrev_b32_e32 v0, 1
	s_and_saveexec_b64 s[64:65], vcc
	s_cbranch_execz .LBB4_5217
; %bb.5214:                             ;   in Loop: Header=BB4_4915 Depth=3
	v_bfe_u32 v5, v9, 24, 7
	v_cmp_ne_u32_e32 vcc, s81, v5
	v_mov_b32_e32 v0, 0x7f800001
	s_and_saveexec_b64 s[66:67], vcc
	s_cbranch_execz .LBB4_5216
; %bb.5215:                             ;   in Loop: Header=BB4_4915 Depth=3
	v_and_b32_e32 v0, 7, v2
	v_lshrrev_b32_e32 v8, 3, v5
	v_cmp_gt_u32_e32 vcc, 8, v5
	v_ffbh_u32_e32 v5, v0
	v_min_u32_e32 v5, 32, v5
	v_subrev_u32_e32 v12, 28, v5
	v_lshlrev_b64 v[12:13], v12, v[2:3]
	v_sub_u32_e32 v5, 29, v5
	v_and_b32_e32 v12, 7, v12
	v_cndmask_b32_e32 v5, v8, v5, vcc
	v_cndmask_b32_e32 v0, v0, v12, vcc
	v_lshlrev_b32_e32 v8, 24, v2
	v_lshlrev_b32_e32 v0, 20, v0
	v_and_b32_e32 v8, 0x80000000, v8
	v_lshl_add_u32 v5, v5, 23, v54
	v_or3_b32 v0, v8, v5, v0
.LBB4_5216:                             ;   in Loop: Header=BB4_4915 Depth=3
	s_or_b64 exec, exec, s[66:67]
.LBB4_5217:                             ;   in Loop: Header=BB4_4915 Depth=3
	s_or_b64 exec, exec, s[64:65]
.LBB4_5218:                             ;   in Loop: Header=BB4_4915 Depth=3
	s_or_b64 exec, exec, s[54:55]
	v_mov_b32_e32 v5, 0x7f800001
	v_cndmask_b32_e64 v5, v4, v5, s[44:45]
	v_bfrev_b32_e32 v8, 1
	v_cndmask_b32_e64 v5, v5, v8, s[42:43]
	v_cndmask_b32_e64 v5, v5, 0, s[40:41]
	v_max_f32_e32 v5, v5, v5
	v_max_f32_e32 v0, v0, v0
	;; [unrolled: 1-line block ×3, first 2 shown]
	s_mov_b64 s[54:55], 0
.LBB4_5219:                             ;   in Loop: Header=BB4_4915 Depth=3
	s_and_b64 vcc, exec, s[54:55]
	s_cbranch_vccz .LBB4_5227
; %bb.5220:                             ;   in Loop: Header=BB4_4915 Depth=3
	v_mov_b32_e32 v0, 0
	s_and_saveexec_b64 s[54:55], s[46:47]
	s_cbranch_execz .LBB4_5226
; %bb.5221:                             ;   in Loop: Header=BB4_4915 Depth=3
	v_cmp_ne_u32_e32 vcc, s80, v2
	v_bfrev_b32_e32 v0, 1
	s_and_saveexec_b64 s[46:47], vcc
	s_cbranch_execz .LBB4_5225
; %bb.5222:                             ;   in Loop: Header=BB4_4915 Depth=3
	v_bfe_u32 v5, v9, 24, 7
	v_cmp_ne_u32_e32 vcc, s81, v5
	v_mov_b32_e32 v0, 0x7f800001
	s_and_saveexec_b64 s[64:65], vcc
	s_cbranch_execz .LBB4_5224
; %bb.5223:                             ;   in Loop: Header=BB4_4915 Depth=3
	v_and_b32_e32 v0, 7, v2
	v_lshrrev_b32_e32 v12, 3, v5
	v_cmp_gt_u32_e32 vcc, 8, v5
	v_ffbh_u32_e32 v5, v0
	v_min_u32_e32 v5, 32, v5
	v_subrev_u32_e32 v8, 28, v5
	v_lshlrev_b64 v[8:9], v8, v[2:3]
	v_sub_u32_e32 v5, 29, v5
	v_and_b32_e32 v8, 7, v8
	v_cndmask_b32_e32 v5, v12, v5, vcc
	v_cndmask_b32_e32 v0, v0, v8, vcc
	v_lshlrev_b32_e32 v2, 24, v2
	v_lshlrev_b32_e32 v0, 20, v0
	v_and_b32_e32 v2, 0x80000000, v2
	v_lshl_add_u32 v5, v5, 23, v54
	v_or3_b32 v0, v2, v5, v0
.LBB4_5224:                             ;   in Loop: Header=BB4_4915 Depth=3
	s_or_b64 exec, exec, s[64:65]
.LBB4_5225:                             ;   in Loop: Header=BB4_4915 Depth=3
	s_or_b64 exec, exec, s[46:47]
.LBB4_5226:                             ;   in Loop: Header=BB4_4915 Depth=3
	s_or_b64 exec, exec, s[54:55]
	v_mov_b32_e32 v2, 0x7f800001
	v_cndmask_b32_e64 v2, v4, v2, s[44:45]
	v_bfrev_b32_e32 v4, 1
	v_cndmask_b32_e64 v2, v2, v4, s[42:43]
	v_cndmask_b32_e64 v2, v2, 0, s[40:41]
	v_max_f32_e32 v2, v2, v2
	v_max_f32_e32 v0, v0, v0
	v_min_f32_e32 v5, v0, v2
.LBB4_5227:                             ;   in Loop: Header=BB4_4915 Depth=3
	v_and_b32_e32 v2, 0x7f800000, v5
	v_cmp_ne_u64_e32 vcc, s[76:77], v[2:3]
                                        ; implicit-def: $vgpr21
	s_and_saveexec_b64 s[40:41], vcc
	s_xor_b64 s[42:43], exec, s[40:41]
	s_cbranch_execz .LBB4_5241
; %bb.5228:                             ;   in Loop: Header=BB4_4915 Depth=3
	v_and_b32_e32 v2, 0x7fffffff, v5
	v_cmp_gt_u64_e32 vcc, s[78:79], v[2:3]
	v_and_b32_sdwa v12, v5, s80 dst_sel:DWORD dst_unused:UNUSED_PAD src0_sel:BYTE_3 src1_sel:DWORD
                                        ; implicit-def: $vgpr21
	s_and_saveexec_b64 s[40:41], vcc
	s_xor_b64 s[44:45], exec, s[40:41]
	s_cbranch_execz .LBB4_5238
; %bb.5229:                             ;   in Loop: Header=BB4_4915 Depth=3
	v_mov_b32_e32 v21, 0
	v_cmp_ne_u32_e32 vcc, 0, v5
	s_and_saveexec_b64 s[46:47], vcc
	s_cbranch_execz .LBB4_5237
; %bb.5230:                             ;   in Loop: Header=BB4_4915 Depth=3
	v_bfe_u32 v13, v5, 23, 8
	v_cmp_gt_u32_e64 s[40:41], s83, v13
	v_sub_u32_e32 v2, 0x79, v13
	v_and_b32_e32 v0, 0x7fffff, v5
	v_cmp_eq_u32_e32 vcc, 0, v13
	v_cndmask_b32_e64 v2, 0, v2, s[40:41]
	v_mov_b32_e32 v5, 0x78
	v_or_b32_e32 v4, 0x800000, v0
	v_cndmask_b32_e32 v21, v2, v5, vcc
	v_cndmask_b32_e32 v2, v4, v0, vcc
	v_add_u32_e32 v0, 20, v21
	v_lshlrev_b64 v[4:5], v0, -1
	v_add_u32_e32 v0, 19, v21
	v_lshlrev_b64 v[8:9], v0, 1
	v_bfi_b32 v5, v5, 0, 0
	v_bfi_b32 v4, v4, 0, v2
	v_cmp_eq_u64_e64 s[40:41], v[4:5], v[8:9]
	v_lshrrev_b64 v[8:9], v21, v[2:3]
	v_mov_b32_e32 v4, v8
	v_mov_b32_e32 v5, v9
	s_and_saveexec_b64 s[54:55], s[40:41]
; %bb.5231:                             ;   in Loop: Header=BB4_4915 Depth=3
	v_bfe_u32 v0, v8, 20, 1
	v_add_co_u32_e64 v0, s[40:41], v8, v0
	v_add_co_u32_e64 v4, s[40:41], -1, v0
; %bb.5232:                             ;   in Loop: Header=BB4_4915 Depth=3
	s_or_b64 exec, exec, s[54:55]
	v_add_u32_e32 v0, 0xffffff81, v13
	v_mov_b32_e32 v2, 0xffffff82
	v_cndmask_b32_e32 v0, v0, v2, vcc
	v_lshrrev_b32_e32 v2, 23, v8
	v_add3_u32 v5, v21, v0, v2
	v_add_u32_e32 v0, 6, v5
	v_and_b32_e32 v2, 0xfffff, v4
	v_add_u32_e32 v2, v2, v8
	v_cmp_ne_u32_e32 vcc, 0, v0
                                        ; implicit-def: $vgpr8_vgpr9
                                        ; implicit-def: $vgpr4
	s_and_saveexec_b64 s[40:41], vcc
	s_xor_b64 s[40:41], exec, s[40:41]
; %bb.5233:                             ;   in Loop: Header=BB4_4915 Depth=3
	v_cmp_lt_u64_e32 vcc, s[88:89], v[2:3]
	v_add_u32_e32 v4, 7, v5
	v_cndmask_b32_e32 v4, v0, v4, vcc
	v_cndmask_b32_e64 v0, 0, 1, vcc
	v_lshrrev_b64 v[8:9], v0, v[2:3]
; %bb.5234:                             ;   in Loop: Header=BB4_4915 Depth=3
	s_andn2_saveexec_b64 s[40:41], s[40:41]
; %bb.5235:                             ;   in Loop: Header=BB4_4915 Depth=3
	v_mov_b32_e32 v9, v3
	v_bfe_u32 v4, v2, 23, 1
	v_mov_b32_e32 v8, v2
; %bb.5236:                             ;   in Loop: Header=BB4_4915 Depth=3
	s_or_b64 exec, exec, s[40:41]
	v_lshrrev_b64 v[8:9], 20, v[8:9]
	v_cmp_gt_i32_e32 vcc, 16, v4
	v_cndmask_b32_e32 v9, 0, v9, vcc
	v_cndmask_b32_e32 v8, 7, v8, vcc
	v_min_i32_e32 v0, 15, v4
	v_cmp_eq_u64_e64 s[40:41], 0, v[8:9]
	v_lshlrev_b32_e32 v0, 3, v0
	v_cmp_eq_u32_e32 vcc, 0, v4
	v_and_b32_e32 v0, 0xf8, v0
	v_and_or_b32 v0, v8, 7, v0
	s_and_b64 s[40:41], vcc, s[40:41]
	v_cndmask_b32_e64 v0, v0, 0, s[40:41]
	v_or_b32_e32 v21, v0, v12
.LBB4_5237:                             ;   in Loop: Header=BB4_4915 Depth=3
	s_or_b64 exec, exec, s[46:47]
                                        ; implicit-def: $vgpr12
.LBB4_5238:                             ;   in Loop: Header=BB4_4915 Depth=3
	s_andn2_saveexec_b64 s[40:41], s[44:45]
; %bb.5239:                             ;   in Loop: Header=BB4_4915 Depth=3
	v_or_b32_e32 v21, 0x7e, v12
; %bb.5240:                             ;   in Loop: Header=BB4_4915 Depth=3
	s_or_b64 exec, exec, s[40:41]
                                        ; implicit-def: $vgpr5
.LBB4_5241:                             ;   in Loop: Header=BB4_4915 Depth=3
	s_andn2_saveexec_b64 s[40:41], s[42:43]
; %bb.5242:                             ;   in Loop: Header=BB4_4915 Depth=3
	v_or_b32_sdwa v21, v5, s81 dst_sel:DWORD dst_unused:UNUSED_PAD src0_sel:BYTE_3 src1_sel:DWORD
; %bb.5243:                             ;   in Loop: Header=BB4_4915 Depth=3
	s_or_b64 exec, exec, s[40:41]
	v_and_b32_e32 v0, 7, v14
	v_ffbh_u32_e32 v0, v0
	v_and_b32_e32 v2, 0x7f, v14
	v_min_u32_e32 v0, 32, v0
	v_cmp_eq_u32_e64 s[40:41], s81, v2
	v_cmp_gt_u32_e32 vcc, 8, v2
	v_subrev_u32_e32 v2, 28, v0
	v_bfe_u32 v4, v14, 3, 4
	v_sub_u32_e32 v0, 29, v0
	v_cndmask_b32_e32 v2, 0, v2, vcc
	v_cndmask_b32_e32 v0, v4, v0, vcc
	v_lshlrev_b64 v[4:5], v2, v[14:15]
	v_lshl_add_u32 v0, v0, 23, v54
	v_lshlrev_b32_e32 v2, 20, v4
	v_lshlrev_b32_e32 v4, 24, v14
	v_and_b32_e32 v2, 0x700000, v2
	v_and_b32_e32 v4, 0x80000000, v4
	v_or3_b32 v2, v4, v0, v2
	v_cmp_ne_u16_sdwa s[42:43], v10, v3 src0_sel:BYTE_0 src1_sel:DWORD
	s_mov_b64 s[44:45], -1
	s_and_b64 vcc, exec, s[52:53]
                                        ; implicit-def: $vgpr4
	s_cbranch_vccz .LBB4_5257
; %bb.5244:                             ;   in Loop: Header=BB4_4915 Depth=3
	v_mov_b32_e32 v4, 0
	s_and_saveexec_b64 s[44:45], s[42:43]
	s_cbranch_execz .LBB4_5250
; %bb.5245:                             ;   in Loop: Header=BB4_4915 Depth=3
	v_cmp_ne_u16_sdwa vcc, v10, s80 src0_sel:BYTE_0 src1_sel:DWORD
	v_bfrev_b32_e32 v4, 1
	s_and_saveexec_b64 s[46:47], vcc
	s_cbranch_execz .LBB4_5249
; %bb.5246:                             ;   in Loop: Header=BB4_4915 Depth=3
	v_and_b32_e32 v0, 0x7f, v10
	v_cmp_ne_u32_e32 vcc, s81, v0
	v_mov_b32_e32 v4, 0x7f800001
	s_and_saveexec_b64 s[54:55], vcc
	s_cbranch_execz .LBB4_5248
; %bb.5247:                             ;   in Loop: Header=BB4_4915 Depth=3
	v_and_b32_e32 v4, 7, v10
	v_lshrrev_b32_e32 v5, 3, v0
	v_cmp_gt_u32_e32 vcc, 8, v0
	v_ffbh_u32_e32 v0, v4
	v_min_u32_e32 v0, 32, v0
	v_subrev_u32_e32 v4, 28, v0
	v_sub_u32_e32 v0, 29, v0
	v_cndmask_b32_e32 v4, 0, v4, vcc
	v_cndmask_b32_e32 v0, v5, v0, vcc
	v_lshlrev_b64 v[4:5], v4, v[10:11]
	v_lshlrev_b32_e32 v5, 24, v10
	v_lshlrev_b32_e32 v4, 20, v4
	v_and_b32_e32 v4, 0x700000, v4
	v_and_b32_e32 v5, 0x80000000, v5
	v_lshl_add_u32 v0, v0, 23, v54
	v_or3_b32 v4, v5, v0, v4
.LBB4_5248:                             ;   in Loop: Header=BB4_4915 Depth=3
	s_or_b64 exec, exec, s[54:55]
.LBB4_5249:                             ;   in Loop: Header=BB4_4915 Depth=3
	s_or_b64 exec, exec, s[46:47]
.LBB4_5250:                             ;   in Loop: Header=BB4_4915 Depth=3
	s_or_b64 exec, exec, s[44:45]
	v_cmp_gt_i16_sdwa s[46:47], v14, s81 src0_sel:BYTE_0 src1_sel:DWORD
	s_mov_b64 s[44:45], 0
	s_and_saveexec_b64 vcc, s[46:47]
	s_xor_b64 s[46:47], exec, vcc
	s_cbranch_execz .LBB4_5598
; %bb.5251:                             ;   in Loop: Header=BB4_4915 Depth=3
	v_cmp_eq_u16_sdwa s[54:55], v14, s80 src0_sel:BYTE_0 src1_sel:DWORD
	s_mov_b64 s[44:45], -1
	s_and_saveexec_b64 vcc, s[54:55]
; %bb.5252:                             ;   in Loop: Header=BB4_4915 Depth=3
	s_xor_b64 s[44:45], exec, -1
; %bb.5253:                             ;   in Loop: Header=BB4_4915 Depth=3
	s_or_b64 exec, exec, vcc
	s_and_b64 s[44:45], s[44:45], exec
	s_or_saveexec_b64 s[46:47], s[46:47]
	v_bfrev_b32_e32 v0, 1
	s_xor_b64 exec, exec, s[46:47]
	s_cbranch_execnz .LBB4_5599
.LBB4_5254:                             ;   in Loop: Header=BB4_4915 Depth=3
	s_or_b64 exec, exec, s[46:47]
	s_and_saveexec_b64 s[46:47], s[44:45]
.LBB4_5255:                             ;   in Loop: Header=BB4_4915 Depth=3
	v_mov_b32_e32 v0, 0x7f800001
	v_cndmask_b32_e64 v0, v2, v0, s[40:41]
.LBB4_5256:                             ;   in Loop: Header=BB4_4915 Depth=3
	s_or_b64 exec, exec, s[46:47]
	v_max_f32_e32 v0, v0, v0
	v_max_f32_e32 v4, v4, v4
	v_max_f32_e32 v4, v4, v0
	s_mov_b64 s[44:45], 0
.LBB4_5257:                             ;   in Loop: Header=BB4_4915 Depth=3
	s_and_b64 vcc, exec, s[44:45]
	s_cbranch_vccz .LBB4_5271
; %bb.5258:                             ;   in Loop: Header=BB4_4915 Depth=3
	v_mov_b32_e32 v4, 0
	s_and_saveexec_b64 s[44:45], s[42:43]
	s_cbranch_execz .LBB4_5264
; %bb.5259:                             ;   in Loop: Header=BB4_4915 Depth=3
	v_cmp_ne_u16_sdwa s[46:47], v10, s80 src0_sel:BYTE_0 src1_sel:DWORD
	v_bfrev_b32_e32 v4, 1
	s_and_saveexec_b64 s[42:43], s[46:47]
	s_cbranch_execz .LBB4_5263
; %bb.5260:                             ;   in Loop: Header=BB4_4915 Depth=3
	v_and_b32_e32 v0, 0x7f, v10
	v_cmp_ne_u32_e32 vcc, s81, v0
	v_mov_b32_e32 v4, 0x7f800001
	s_and_saveexec_b64 s[46:47], vcc
	s_cbranch_execz .LBB4_5262
; %bb.5261:                             ;   in Loop: Header=BB4_4915 Depth=3
	v_and_b32_e32 v4, 7, v10
	v_lshrrev_b32_e32 v5, 3, v0
	v_cmp_gt_u32_e32 vcc, 8, v0
	v_ffbh_u32_e32 v0, v4
	v_min_u32_e32 v0, 32, v0
	v_subrev_u32_e32 v4, 28, v0
	v_sub_u32_e32 v0, 29, v0
	v_cndmask_b32_e32 v4, 0, v4, vcc
	v_cndmask_b32_e32 v0, v5, v0, vcc
	v_lshlrev_b64 v[4:5], v4, v[10:11]
	v_lshlrev_b32_e32 v5, 24, v10
	v_lshlrev_b32_e32 v4, 20, v4
	v_and_b32_e32 v4, 0x700000, v4
	v_and_b32_e32 v5, 0x80000000, v5
	v_lshl_add_u32 v0, v0, 23, v54
	v_or3_b32 v4, v5, v0, v4
.LBB4_5262:                             ;   in Loop: Header=BB4_4915 Depth=3
	s_or_b64 exec, exec, s[46:47]
.LBB4_5263:                             ;   in Loop: Header=BB4_4915 Depth=3
	s_or_b64 exec, exec, s[42:43]
.LBB4_5264:                             ;   in Loop: Header=BB4_4915 Depth=3
	s_or_b64 exec, exec, s[44:45]
	v_cmp_gt_i16_sdwa s[44:45], v14, s81 src0_sel:BYTE_0 src1_sel:DWORD
	s_mov_b64 s[42:43], 0
	s_and_saveexec_b64 s[46:47], s[44:45]
	s_xor_b64 s[44:45], exec, s[46:47]
	s_cbranch_execz .LBB4_5600
; %bb.5265:                             ;   in Loop: Header=BB4_4915 Depth=3
	v_cmp_eq_u16_sdwa vcc, v14, s80 src0_sel:BYTE_0 src1_sel:DWORD
	s_mov_b64 s[42:43], -1
	s_and_saveexec_b64 s[46:47], vcc
; %bb.5266:                             ;   in Loop: Header=BB4_4915 Depth=3
	s_xor_b64 s[42:43], exec, -1
; %bb.5267:                             ;   in Loop: Header=BB4_4915 Depth=3
	s_or_b64 exec, exec, s[46:47]
	s_and_b64 s[42:43], s[42:43], exec
	s_or_saveexec_b64 s[44:45], s[44:45]
	v_bfrev_b32_e32 v0, 1
	s_xor_b64 exec, exec, s[44:45]
	s_cbranch_execnz .LBB4_5601
.LBB4_5268:                             ;   in Loop: Header=BB4_4915 Depth=3
	s_or_b64 exec, exec, s[44:45]
	s_and_saveexec_b64 s[44:45], s[42:43]
.LBB4_5269:                             ;   in Loop: Header=BB4_4915 Depth=3
	v_mov_b32_e32 v0, 0x7f800001
	v_cndmask_b32_e64 v0, v2, v0, s[40:41]
.LBB4_5270:                             ;   in Loop: Header=BB4_4915 Depth=3
	s_or_b64 exec, exec, s[44:45]
	v_max_f32_e32 v0, v0, v0
	v_max_f32_e32 v2, v4, v4
	v_min_f32_e32 v4, v2, v0
.LBB4_5271:                             ;   in Loop: Header=BB4_4915 Depth=3
	v_and_b32_e32 v2, 0x7f800000, v4
	v_cmp_ne_u64_e32 vcc, s[76:77], v[2:3]
                                        ; implicit-def: $vgpr37
	s_and_saveexec_b64 s[40:41], vcc
	s_xor_b64 s[42:43], exec, s[40:41]
	s_cbranch_execz .LBB4_5285
; %bb.5272:                             ;   in Loop: Header=BB4_4915 Depth=3
	v_and_b32_e32 v2, 0x7fffffff, v4
	v_cmp_gt_u64_e32 vcc, s[78:79], v[2:3]
	v_and_b32_sdwa v12, v4, s80 dst_sel:DWORD dst_unused:UNUSED_PAD src0_sel:BYTE_3 src1_sel:DWORD
                                        ; implicit-def: $vgpr37
	s_and_saveexec_b64 s[40:41], vcc
	s_xor_b64 s[44:45], exec, s[40:41]
	s_cbranch_execz .LBB4_5282
; %bb.5273:                             ;   in Loop: Header=BB4_4915 Depth=3
	v_mov_b32_e32 v37, 0
	v_cmp_ne_u32_e32 vcc, 0, v4
	s_and_saveexec_b64 s[46:47], vcc
	s_cbranch_execz .LBB4_5281
; %bb.5274:                             ;   in Loop: Header=BB4_4915 Depth=3
	v_bfe_u32 v13, v4, 23, 8
	v_cmp_gt_u32_e64 s[40:41], s83, v13
	v_sub_u32_e32 v2, 0x79, v13
	v_and_b32_e32 v0, 0x7fffff, v4
	v_cmp_eq_u32_e32 vcc, 0, v13
	v_cndmask_b32_e64 v2, 0, v2, s[40:41]
	v_mov_b32_e32 v5, 0x78
	v_or_b32_e32 v4, 0x800000, v0
	v_cndmask_b32_e32 v37, v2, v5, vcc
	v_cndmask_b32_e32 v2, v4, v0, vcc
	v_add_u32_e32 v0, 20, v37
	v_lshlrev_b64 v[4:5], v0, -1
	v_add_u32_e32 v0, 19, v37
	v_lshlrev_b64 v[8:9], v0, 1
	v_bfi_b32 v5, v5, 0, 0
	v_bfi_b32 v4, v4, 0, v2
	v_cmp_eq_u64_e64 s[40:41], v[4:5], v[8:9]
	v_lshrrev_b64 v[8:9], v37, v[2:3]
	v_mov_b32_e32 v4, v8
	v_mov_b32_e32 v5, v9
	s_and_saveexec_b64 s[54:55], s[40:41]
; %bb.5275:                             ;   in Loop: Header=BB4_4915 Depth=3
	v_bfe_u32 v0, v8, 20, 1
	v_add_co_u32_e64 v0, s[40:41], v8, v0
	v_add_co_u32_e64 v4, s[40:41], -1, v0
; %bb.5276:                             ;   in Loop: Header=BB4_4915 Depth=3
	s_or_b64 exec, exec, s[54:55]
	v_add_u32_e32 v0, 0xffffff81, v13
	v_mov_b32_e32 v2, 0xffffff82
	v_cndmask_b32_e32 v0, v0, v2, vcc
	v_lshrrev_b32_e32 v2, 23, v8
	v_add3_u32 v5, v37, v0, v2
	v_add_u32_e32 v0, 6, v5
	v_and_b32_e32 v2, 0xfffff, v4
	v_add_u32_e32 v2, v2, v8
	v_cmp_ne_u32_e32 vcc, 0, v0
                                        ; implicit-def: $vgpr8_vgpr9
                                        ; implicit-def: $vgpr4
	s_and_saveexec_b64 s[40:41], vcc
	s_xor_b64 s[40:41], exec, s[40:41]
; %bb.5277:                             ;   in Loop: Header=BB4_4915 Depth=3
	v_cmp_lt_u64_e32 vcc, s[88:89], v[2:3]
	v_add_u32_e32 v4, 7, v5
	v_cndmask_b32_e32 v4, v0, v4, vcc
	v_cndmask_b32_e64 v0, 0, 1, vcc
	v_lshrrev_b64 v[8:9], v0, v[2:3]
; %bb.5278:                             ;   in Loop: Header=BB4_4915 Depth=3
	s_andn2_saveexec_b64 s[40:41], s[40:41]
; %bb.5279:                             ;   in Loop: Header=BB4_4915 Depth=3
	v_mov_b32_e32 v9, v3
	v_bfe_u32 v4, v2, 23, 1
	v_mov_b32_e32 v8, v2
; %bb.5280:                             ;   in Loop: Header=BB4_4915 Depth=3
	s_or_b64 exec, exec, s[40:41]
	v_lshrrev_b64 v[8:9], 20, v[8:9]
	v_cmp_gt_i32_e32 vcc, 16, v4
	v_cndmask_b32_e32 v9, 0, v9, vcc
	v_cndmask_b32_e32 v8, 7, v8, vcc
	v_min_i32_e32 v0, 15, v4
	v_cmp_eq_u64_e64 s[40:41], 0, v[8:9]
	v_lshlrev_b32_e32 v0, 3, v0
	v_cmp_eq_u32_e32 vcc, 0, v4
	v_and_b32_e32 v0, 0xf8, v0
	v_and_or_b32 v0, v8, 7, v0
	s_and_b64 s[40:41], vcc, s[40:41]
	v_cndmask_b32_e64 v0, v0, 0, s[40:41]
	v_or_b32_e32 v37, v0, v12
.LBB4_5281:                             ;   in Loop: Header=BB4_4915 Depth=3
	s_or_b64 exec, exec, s[46:47]
                                        ; implicit-def: $vgpr12
.LBB4_5282:                             ;   in Loop: Header=BB4_4915 Depth=3
	s_andn2_saveexec_b64 s[40:41], s[44:45]
; %bb.5283:                             ;   in Loop: Header=BB4_4915 Depth=3
	v_or_b32_e32 v37, 0x7e, v12
; %bb.5284:                             ;   in Loop: Header=BB4_4915 Depth=3
	s_or_b64 exec, exec, s[40:41]
                                        ; implicit-def: $vgpr4
.LBB4_5285:                             ;   in Loop: Header=BB4_4915 Depth=3
	s_andn2_saveexec_b64 s[40:41], s[42:43]
; %bb.5286:                             ;   in Loop: Header=BB4_4915 Depth=3
	v_or_b32_sdwa v37, v4, s81 dst_sel:DWORD dst_unused:UNUSED_PAD src0_sel:BYTE_3 src1_sel:DWORD
; %bb.5287:                             ;   in Loop: Header=BB4_4915 Depth=3
	s_or_b64 exec, exec, s[40:41]
	v_lshrrev_b16_e32 v2, 8, v14
	v_and_b32_e32 v0, 7, v2
	v_and_b32_e32 v4, 0x7f, v2
	v_cmp_eq_u32_e64 s[40:41], s81, v4
	v_cmp_gt_u32_e32 vcc, 8, v4
	v_ffbh_u32_e32 v4, v0
	v_min_u32_e32 v12, 32, v4
	v_subrev_u32_e32 v4, 28, v12
	v_lshlrev_b64 v[4:5], v4, v[2:3]
	v_bfe_u32 v9, v2, 3, 4
	v_sub_u32_e32 v5, 29, v12
	v_and_b32_e32 v4, 7, v4
	v_cndmask_b32_e32 v5, v9, v5, vcc
	v_cndmask_b32_e32 v0, v0, v4, vcc
	v_lshlrev_b32_e32 v4, 24, v2
	v_lshrrev_b16_e32 v8, 8, v10
	v_lshlrev_b32_e32 v0, 20, v0
	v_and_b32_e32 v4, 0x80000000, v4
	v_lshl_add_u32 v5, v5, 23, v54
	v_or3_b32 v4, v4, v5, v0
	v_cmp_ne_u16_e64 s[42:43], 0, v8
	s_mov_b64 s[44:45], -1
	s_and_b64 vcc, exec, s[52:53]
                                        ; implicit-def: $vgpr5
	s_cbranch_vccz .LBB4_5301
; %bb.5288:                             ;   in Loop: Header=BB4_4915 Depth=3
	v_mov_b32_e32 v5, 0
	s_and_saveexec_b64 s[44:45], s[42:43]
	s_cbranch_execz .LBB4_5294
; %bb.5289:                             ;   in Loop: Header=BB4_4915 Depth=3
	v_cmp_ne_u16_e32 vcc, s80, v8
	v_bfrev_b32_e32 v5, 1
	s_and_saveexec_b64 s[46:47], vcc
	s_cbranch_execz .LBB4_5293
; %bb.5290:                             ;   in Loop: Header=BB4_4915 Depth=3
	v_and_b32_e32 v0, 0x7f, v8
	v_cmp_ne_u32_e32 vcc, s81, v0
	v_mov_b32_e32 v5, 0x7f800001
	s_and_saveexec_b64 s[54:55], vcc
	s_cbranch_execz .LBB4_5292
; %bb.5291:                             ;   in Loop: Header=BB4_4915 Depth=3
	v_and_b32_e32 v5, 7, v8
	v_lshrrev_b32_e32 v9, 3, v0
	v_cmp_gt_u32_e32 vcc, 8, v0
	v_ffbh_u32_e32 v0, v5
	v_min_u32_e32 v0, 32, v0
	v_subrev_u32_e32 v12, 28, v0
	v_lshlrev_b64 v[12:13], v12, v[8:9]
	v_sub_u32_e32 v0, 29, v0
	v_and_b32_e32 v12, 7, v12
	v_cndmask_b32_e32 v0, v9, v0, vcc
	v_cndmask_b32_e32 v5, v5, v12, vcc
	v_lshlrev_b32_e32 v9, 16, v10
	v_lshlrev_b32_e32 v5, 20, v5
	v_and_b32_e32 v9, 0x80000000, v9
	v_lshl_add_u32 v0, v0, 23, v54
	v_or3_b32 v5, v9, v0, v5
.LBB4_5292:                             ;   in Loop: Header=BB4_4915 Depth=3
	s_or_b64 exec, exec, s[54:55]
.LBB4_5293:                             ;   in Loop: Header=BB4_4915 Depth=3
	s_or_b64 exec, exec, s[46:47]
.LBB4_5294:                             ;   in Loop: Header=BB4_4915 Depth=3
	s_or_b64 exec, exec, s[44:45]
	v_cmp_lt_i16_e32 vcc, s81, v2
	s_mov_b64 s[44:45], 0
	s_and_saveexec_b64 s[46:47], vcc
	s_xor_b64 s[46:47], exec, s[46:47]
	s_cbranch_execz .LBB4_5602
; %bb.5295:                             ;   in Loop: Header=BB4_4915 Depth=3
	v_cmp_eq_u16_e32 vcc, s80, v2
	s_mov_b64 s[44:45], -1
	s_and_saveexec_b64 s[54:55], vcc
; %bb.5296:                             ;   in Loop: Header=BB4_4915 Depth=3
	s_xor_b64 s[44:45], exec, -1
; %bb.5297:                             ;   in Loop: Header=BB4_4915 Depth=3
	s_or_b64 exec, exec, s[54:55]
	s_and_b64 s[44:45], s[44:45], exec
	s_or_saveexec_b64 s[46:47], s[46:47]
	v_bfrev_b32_e32 v0, 1
	s_xor_b64 exec, exec, s[46:47]
	s_cbranch_execnz .LBB4_5603
.LBB4_5298:                             ;   in Loop: Header=BB4_4915 Depth=3
	s_or_b64 exec, exec, s[46:47]
	s_and_saveexec_b64 s[46:47], s[44:45]
.LBB4_5299:                             ;   in Loop: Header=BB4_4915 Depth=3
	v_mov_b32_e32 v0, 0x7f800001
	v_cndmask_b32_e64 v0, v4, v0, s[40:41]
.LBB4_5300:                             ;   in Loop: Header=BB4_4915 Depth=3
	s_or_b64 exec, exec, s[46:47]
	v_max_f32_e32 v0, v0, v0
	v_max_f32_e32 v5, v5, v5
	;; [unrolled: 1-line block ×3, first 2 shown]
	s_mov_b64 s[44:45], 0
.LBB4_5301:                             ;   in Loop: Header=BB4_4915 Depth=3
	s_and_b64 vcc, exec, s[44:45]
	s_cbranch_vccz .LBB4_5315
; %bb.5302:                             ;   in Loop: Header=BB4_4915 Depth=3
	v_mov_b32_e32 v5, 0
	s_and_saveexec_b64 s[44:45], s[42:43]
	s_cbranch_execz .LBB4_5308
; %bb.5303:                             ;   in Loop: Header=BB4_4915 Depth=3
	v_cmp_ne_u16_e32 vcc, s80, v8
	v_bfrev_b32_e32 v5, 1
	s_and_saveexec_b64 s[42:43], vcc
	s_cbranch_execz .LBB4_5307
; %bb.5304:                             ;   in Loop: Header=BB4_4915 Depth=3
	v_and_b32_e32 v0, 0x7f, v8
	v_cmp_ne_u32_e32 vcc, s81, v0
	v_mov_b32_e32 v5, 0x7f800001
	s_and_saveexec_b64 s[46:47], vcc
	s_cbranch_execz .LBB4_5306
; %bb.5305:                             ;   in Loop: Header=BB4_4915 Depth=3
	v_and_b32_e32 v5, 7, v8
	v_lshrrev_b32_e32 v12, 3, v0
	v_cmp_gt_u32_e32 vcc, 8, v0
	v_ffbh_u32_e32 v0, v5
	v_min_u32_e32 v0, 32, v0
	v_subrev_u32_e32 v9, 28, v0
	v_lshlrev_b64 v[8:9], v9, v[8:9]
	v_sub_u32_e32 v0, 29, v0
	v_and_b32_e32 v8, 7, v8
	v_cndmask_b32_e32 v0, v12, v0, vcc
	v_cndmask_b32_e32 v5, v5, v8, vcc
	v_lshlrev_b32_e32 v8, 16, v10
	v_lshlrev_b32_e32 v5, 20, v5
	v_and_b32_e32 v8, 0x80000000, v8
	v_lshl_add_u32 v0, v0, 23, v54
	v_or3_b32 v5, v8, v0, v5
.LBB4_5306:                             ;   in Loop: Header=BB4_4915 Depth=3
	s_or_b64 exec, exec, s[46:47]
.LBB4_5307:                             ;   in Loop: Header=BB4_4915 Depth=3
	s_or_b64 exec, exec, s[42:43]
.LBB4_5308:                             ;   in Loop: Header=BB4_4915 Depth=3
	s_or_b64 exec, exec, s[44:45]
	v_cmp_lt_i16_e32 vcc, s81, v2
	s_mov_b64 s[42:43], 0
	s_and_saveexec_b64 s[44:45], vcc
	s_xor_b64 s[44:45], exec, s[44:45]
	s_cbranch_execz .LBB4_5604
; %bb.5309:                             ;   in Loop: Header=BB4_4915 Depth=3
	v_cmp_eq_u16_e32 vcc, s80, v2
	s_mov_b64 s[42:43], -1
	s_and_saveexec_b64 s[46:47], vcc
; %bb.5310:                             ;   in Loop: Header=BB4_4915 Depth=3
	s_xor_b64 s[42:43], exec, -1
; %bb.5311:                             ;   in Loop: Header=BB4_4915 Depth=3
	s_or_b64 exec, exec, s[46:47]
	s_and_b64 s[42:43], s[42:43], exec
	s_or_saveexec_b64 s[44:45], s[44:45]
	v_bfrev_b32_e32 v0, 1
	s_xor_b64 exec, exec, s[44:45]
	s_cbranch_execnz .LBB4_5605
.LBB4_5312:                             ;   in Loop: Header=BB4_4915 Depth=3
	s_or_b64 exec, exec, s[44:45]
	s_and_saveexec_b64 s[44:45], s[42:43]
.LBB4_5313:                             ;   in Loop: Header=BB4_4915 Depth=3
	v_mov_b32_e32 v0, 0x7f800001
	v_cndmask_b32_e64 v0, v4, v0, s[40:41]
.LBB4_5314:                             ;   in Loop: Header=BB4_4915 Depth=3
	s_or_b64 exec, exec, s[44:45]
	v_max_f32_e32 v0, v0, v0
	v_max_f32_e32 v2, v5, v5
	v_min_f32_e32 v5, v2, v0
.LBB4_5315:                             ;   in Loop: Header=BB4_4915 Depth=3
	v_and_b32_e32 v2, 0x7f800000, v5
	v_cmp_ne_u64_e32 vcc, s[76:77], v[2:3]
                                        ; implicit-def: $vgpr50
	s_and_saveexec_b64 s[40:41], vcc
	s_xor_b64 s[42:43], exec, s[40:41]
	s_cbranch_execz .LBB4_5329
; %bb.5316:                             ;   in Loop: Header=BB4_4915 Depth=3
	v_and_b32_e32 v2, 0x7fffffff, v5
	v_cmp_gt_u64_e32 vcc, s[78:79], v[2:3]
	v_and_b32_sdwa v12, v5, s80 dst_sel:DWORD dst_unused:UNUSED_PAD src0_sel:BYTE_3 src1_sel:DWORD
                                        ; implicit-def: $vgpr50
	s_and_saveexec_b64 s[40:41], vcc
	s_xor_b64 s[44:45], exec, s[40:41]
	s_cbranch_execz .LBB4_5326
; %bb.5317:                             ;   in Loop: Header=BB4_4915 Depth=3
	v_mov_b32_e32 v50, 0
	v_cmp_ne_u32_e32 vcc, 0, v5
	s_and_saveexec_b64 s[46:47], vcc
	s_cbranch_execz .LBB4_5325
; %bb.5318:                             ;   in Loop: Header=BB4_4915 Depth=3
	v_bfe_u32 v13, v5, 23, 8
	v_cmp_gt_u32_e64 s[40:41], s83, v13
	v_sub_u32_e32 v2, 0x79, v13
	v_and_b32_e32 v0, 0x7fffff, v5
	v_cmp_eq_u32_e32 vcc, 0, v13
	v_cndmask_b32_e64 v2, 0, v2, s[40:41]
	v_mov_b32_e32 v5, 0x78
	v_or_b32_e32 v4, 0x800000, v0
	v_cndmask_b32_e32 v50, v2, v5, vcc
	v_cndmask_b32_e32 v2, v4, v0, vcc
	v_add_u32_e32 v0, 20, v50
	v_lshlrev_b64 v[4:5], v0, -1
	v_add_u32_e32 v0, 19, v50
	v_lshlrev_b64 v[8:9], v0, 1
	v_bfi_b32 v5, v5, 0, 0
	v_bfi_b32 v4, v4, 0, v2
	v_cmp_eq_u64_e64 s[40:41], v[4:5], v[8:9]
	v_lshrrev_b64 v[8:9], v50, v[2:3]
	v_mov_b32_e32 v4, v8
	v_mov_b32_e32 v5, v9
	s_and_saveexec_b64 s[54:55], s[40:41]
; %bb.5319:                             ;   in Loop: Header=BB4_4915 Depth=3
	v_bfe_u32 v0, v8, 20, 1
	v_add_co_u32_e64 v0, s[40:41], v8, v0
	v_add_co_u32_e64 v4, s[40:41], -1, v0
; %bb.5320:                             ;   in Loop: Header=BB4_4915 Depth=3
	s_or_b64 exec, exec, s[54:55]
	v_add_u32_e32 v0, 0xffffff81, v13
	v_mov_b32_e32 v2, 0xffffff82
	v_cndmask_b32_e32 v0, v0, v2, vcc
	v_lshrrev_b32_e32 v2, 23, v8
	v_add3_u32 v5, v50, v0, v2
	v_add_u32_e32 v0, 6, v5
	v_and_b32_e32 v2, 0xfffff, v4
	v_add_u32_e32 v2, v2, v8
	v_cmp_ne_u32_e32 vcc, 0, v0
                                        ; implicit-def: $vgpr8_vgpr9
                                        ; implicit-def: $vgpr4
	s_and_saveexec_b64 s[40:41], vcc
	s_xor_b64 s[40:41], exec, s[40:41]
; %bb.5321:                             ;   in Loop: Header=BB4_4915 Depth=3
	v_cmp_lt_u64_e32 vcc, s[88:89], v[2:3]
	v_add_u32_e32 v4, 7, v5
	v_cndmask_b32_e32 v4, v0, v4, vcc
	v_cndmask_b32_e64 v0, 0, 1, vcc
	v_lshrrev_b64 v[8:9], v0, v[2:3]
; %bb.5322:                             ;   in Loop: Header=BB4_4915 Depth=3
	s_andn2_saveexec_b64 s[40:41], s[40:41]
; %bb.5323:                             ;   in Loop: Header=BB4_4915 Depth=3
	v_mov_b32_e32 v9, v3
	v_bfe_u32 v4, v2, 23, 1
	v_mov_b32_e32 v8, v2
; %bb.5324:                             ;   in Loop: Header=BB4_4915 Depth=3
	s_or_b64 exec, exec, s[40:41]
	v_lshrrev_b64 v[8:9], 20, v[8:9]
	v_cmp_gt_i32_e32 vcc, 16, v4
	v_cndmask_b32_e32 v9, 0, v9, vcc
	v_cndmask_b32_e32 v8, 7, v8, vcc
	v_min_i32_e32 v0, 15, v4
	v_cmp_eq_u64_e64 s[40:41], 0, v[8:9]
	v_lshlrev_b32_e32 v0, 3, v0
	v_cmp_eq_u32_e32 vcc, 0, v4
	v_and_b32_e32 v0, 0xf8, v0
	v_and_or_b32 v0, v8, 7, v0
	s_and_b64 s[40:41], vcc, s[40:41]
	v_cndmask_b32_e64 v0, v0, 0, s[40:41]
	v_or_b32_e32 v50, v0, v12
.LBB4_5325:                             ;   in Loop: Header=BB4_4915 Depth=3
	s_or_b64 exec, exec, s[46:47]
                                        ; implicit-def: $vgpr12
.LBB4_5326:                             ;   in Loop: Header=BB4_4915 Depth=3
	s_andn2_saveexec_b64 s[40:41], s[44:45]
; %bb.5327:                             ;   in Loop: Header=BB4_4915 Depth=3
	v_or_b32_e32 v50, 0x7e, v12
; %bb.5328:                             ;   in Loop: Header=BB4_4915 Depth=3
	s_or_b64 exec, exec, s[40:41]
                                        ; implicit-def: $vgpr5
.LBB4_5329:                             ;   in Loop: Header=BB4_4915 Depth=3
	s_andn2_saveexec_b64 s[40:41], s[42:43]
; %bb.5330:                             ;   in Loop: Header=BB4_4915 Depth=3
	v_or_b32_sdwa v50, v5, s81 dst_sel:DWORD dst_unused:UNUSED_PAD src0_sel:BYTE_3 src1_sel:DWORD
; %bb.5331:                             ;   in Loop: Header=BB4_4915 Depth=3
	s_or_b64 exec, exec, s[40:41]
	v_bfe_u32 v0, v14, 16, 3
	v_bfe_u32 v4, v14, 16, 7
	v_cmp_eq_u32_e64 s[40:41], s81, v4
	v_cmp_gt_u32_e32 vcc, 8, v4
	v_ffbh_u32_e32 v4, v0
	v_min_u32_e32 v9, 32, v4
	v_lshrrev_b32_e32 v2, 16, v14
	v_subrev_u32_e32 v4, 28, v9
	v_lshlrev_b64 v[4:5], v4, v[2:3]
	v_bfe_u32 v8, v2, 3, 4
	v_sub_u32_e32 v5, 29, v9
	v_and_b32_e32 v4, 7, v4
	v_cndmask_b32_e32 v5, v8, v5, vcc
	v_cndmask_b32_e32 v0, v0, v4, vcc
	v_lshlrev_b32_e32 v4, 8, v14
	v_lshlrev_b32_e32 v0, 20, v0
	v_and_b32_e32 v4, 0x80000000, v4
	v_lshl_add_u32 v5, v5, 23, v54
	v_lshrrev_b32_e32 v8, 16, v10
	v_or3_b32 v4, v4, v5, v0
	v_cmp_ne_u16_sdwa s[42:43], v8, v3 src0_sel:BYTE_0 src1_sel:DWORD
	s_mov_b64 s[44:45], -1
	s_and_b64 vcc, exec, s[52:53]
                                        ; implicit-def: $vgpr5
	s_cbranch_vccz .LBB4_5345
; %bb.5332:                             ;   in Loop: Header=BB4_4915 Depth=3
	v_mov_b32_e32 v5, 0
	s_and_saveexec_b64 s[44:45], s[42:43]
	s_cbranch_execz .LBB4_5338
; %bb.5333:                             ;   in Loop: Header=BB4_4915 Depth=3
	v_cmp_ne_u16_sdwa vcc, v8, s80 src0_sel:BYTE_0 src1_sel:DWORD
	v_bfrev_b32_e32 v5, 1
	s_and_saveexec_b64 s[46:47], vcc
	s_cbranch_execz .LBB4_5337
; %bb.5334:                             ;   in Loop: Header=BB4_4915 Depth=3
	v_bfe_u32 v0, v10, 16, 7
	v_cmp_ne_u32_e32 vcc, s81, v0
	v_mov_b32_e32 v5, 0x7f800001
	s_and_saveexec_b64 s[54:55], vcc
	s_cbranch_execz .LBB4_5336
; %bb.5335:                             ;   in Loop: Header=BB4_4915 Depth=3
	v_and_b32_e32 v5, 7, v8
	v_lshrrev_b32_e32 v9, 3, v0
	v_cmp_gt_u32_e32 vcc, 8, v0
	v_ffbh_u32_e32 v0, v5
	v_min_u32_e32 v0, 32, v0
	v_subrev_u32_e32 v12, 28, v0
	v_lshlrev_b64 v[12:13], v12, v[8:9]
	v_sub_u32_e32 v0, 29, v0
	v_and_b32_e32 v12, 7, v12
	v_cndmask_b32_e32 v0, v9, v0, vcc
	v_cndmask_b32_e32 v5, v5, v12, vcc
	v_lshlrev_b32_e32 v9, 24, v8
	v_lshlrev_b32_e32 v5, 20, v5
	v_and_b32_e32 v9, 0x80000000, v9
	v_lshl_add_u32 v0, v0, 23, v54
	v_or3_b32 v5, v9, v0, v5
.LBB4_5336:                             ;   in Loop: Header=BB4_4915 Depth=3
	s_or_b64 exec, exec, s[54:55]
.LBB4_5337:                             ;   in Loop: Header=BB4_4915 Depth=3
	s_or_b64 exec, exec, s[46:47]
.LBB4_5338:                             ;   in Loop: Header=BB4_4915 Depth=3
	s_or_b64 exec, exec, s[44:45]
	v_cmp_gt_i16_sdwa s[46:47], v2, s81 src0_sel:BYTE_0 src1_sel:DWORD
	s_mov_b64 s[44:45], 0
	s_and_saveexec_b64 vcc, s[46:47]
	s_xor_b64 s[46:47], exec, vcc
	s_cbranch_execz .LBB4_5606
; %bb.5339:                             ;   in Loop: Header=BB4_4915 Depth=3
	v_cmp_eq_u16_sdwa s[54:55], v2, s80 src0_sel:BYTE_0 src1_sel:DWORD
	s_mov_b64 s[44:45], -1
	s_and_saveexec_b64 vcc, s[54:55]
; %bb.5340:                             ;   in Loop: Header=BB4_4915 Depth=3
	s_xor_b64 s[44:45], exec, -1
; %bb.5341:                             ;   in Loop: Header=BB4_4915 Depth=3
	s_or_b64 exec, exec, vcc
	s_and_b64 s[44:45], s[44:45], exec
	s_or_saveexec_b64 s[46:47], s[46:47]
	v_bfrev_b32_e32 v0, 1
	s_xor_b64 exec, exec, s[46:47]
	s_cbranch_execnz .LBB4_5607
.LBB4_5342:                             ;   in Loop: Header=BB4_4915 Depth=3
	s_or_b64 exec, exec, s[46:47]
	s_and_saveexec_b64 s[46:47], s[44:45]
.LBB4_5343:                             ;   in Loop: Header=BB4_4915 Depth=3
	v_mov_b32_e32 v0, 0x7f800001
	v_cndmask_b32_e64 v0, v4, v0, s[40:41]
.LBB4_5344:                             ;   in Loop: Header=BB4_4915 Depth=3
	s_or_b64 exec, exec, s[46:47]
	v_max_f32_e32 v0, v0, v0
	v_max_f32_e32 v5, v5, v5
	;; [unrolled: 1-line block ×3, first 2 shown]
	s_mov_b64 s[44:45], 0
.LBB4_5345:                             ;   in Loop: Header=BB4_4915 Depth=3
	s_and_b64 vcc, exec, s[44:45]
	s_cbranch_vccz .LBB4_5359
; %bb.5346:                             ;   in Loop: Header=BB4_4915 Depth=3
	v_mov_b32_e32 v5, 0
	s_and_saveexec_b64 s[44:45], s[42:43]
	s_cbranch_execz .LBB4_5352
; %bb.5347:                             ;   in Loop: Header=BB4_4915 Depth=3
	v_cmp_ne_u16_sdwa s[46:47], v8, s80 src0_sel:BYTE_0 src1_sel:DWORD
	v_bfrev_b32_e32 v5, 1
	s_and_saveexec_b64 s[42:43], s[46:47]
	s_cbranch_execz .LBB4_5351
; %bb.5348:                             ;   in Loop: Header=BB4_4915 Depth=3
	v_bfe_u32 v0, v10, 16, 7
	v_cmp_ne_u32_e32 vcc, s81, v0
	v_mov_b32_e32 v5, 0x7f800001
	s_and_saveexec_b64 s[46:47], vcc
	s_cbranch_execz .LBB4_5350
; %bb.5349:                             ;   in Loop: Header=BB4_4915 Depth=3
	v_and_b32_e32 v5, 7, v8
	v_lshrrev_b32_e32 v9, 3, v0
	v_cmp_gt_u32_e32 vcc, 8, v0
	v_ffbh_u32_e32 v0, v5
	v_min_u32_e32 v0, 32, v0
	v_subrev_u32_e32 v12, 28, v0
	v_lshlrev_b64 v[12:13], v12, v[8:9]
	v_sub_u32_e32 v0, 29, v0
	v_and_b32_e32 v12, 7, v12
	v_cndmask_b32_e32 v0, v9, v0, vcc
	v_cndmask_b32_e32 v5, v5, v12, vcc
	v_lshlrev_b32_e32 v8, 24, v8
	v_lshlrev_b32_e32 v5, 20, v5
	v_and_b32_e32 v8, 0x80000000, v8
	v_lshl_add_u32 v0, v0, 23, v54
	v_or3_b32 v5, v8, v0, v5
.LBB4_5350:                             ;   in Loop: Header=BB4_4915 Depth=3
	s_or_b64 exec, exec, s[46:47]
.LBB4_5351:                             ;   in Loop: Header=BB4_4915 Depth=3
	s_or_b64 exec, exec, s[42:43]
.LBB4_5352:                             ;   in Loop: Header=BB4_4915 Depth=3
	s_or_b64 exec, exec, s[44:45]
	v_cmp_gt_i16_sdwa s[44:45], v2, s81 src0_sel:BYTE_0 src1_sel:DWORD
	s_mov_b64 s[42:43], 0
	s_and_saveexec_b64 s[46:47], s[44:45]
	s_xor_b64 s[44:45], exec, s[46:47]
	s_cbranch_execz .LBB4_5608
; %bb.5353:                             ;   in Loop: Header=BB4_4915 Depth=3
	v_cmp_eq_u16_sdwa vcc, v2, s80 src0_sel:BYTE_0 src1_sel:DWORD
	s_mov_b64 s[42:43], -1
	s_and_saveexec_b64 s[46:47], vcc
; %bb.5354:                             ;   in Loop: Header=BB4_4915 Depth=3
	s_xor_b64 s[42:43], exec, -1
; %bb.5355:                             ;   in Loop: Header=BB4_4915 Depth=3
	s_or_b64 exec, exec, s[46:47]
	s_and_b64 s[42:43], s[42:43], exec
                                        ; implicit-def: $vgpr2
	s_or_saveexec_b64 s[44:45], s[44:45]
	v_bfrev_b32_e32 v0, 1
	s_xor_b64 exec, exec, s[44:45]
	s_cbranch_execnz .LBB4_5609
.LBB4_5356:                             ;   in Loop: Header=BB4_4915 Depth=3
	s_or_b64 exec, exec, s[44:45]
	s_and_saveexec_b64 s[44:45], s[42:43]
.LBB4_5357:                             ;   in Loop: Header=BB4_4915 Depth=3
	v_mov_b32_e32 v0, 0x7f800001
	v_cndmask_b32_e64 v0, v4, v0, s[40:41]
.LBB4_5358:                             ;   in Loop: Header=BB4_4915 Depth=3
	s_or_b64 exec, exec, s[44:45]
	v_max_f32_e32 v0, v0, v0
	v_max_f32_e32 v2, v5, v5
	v_min_f32_e32 v5, v2, v0
.LBB4_5359:                             ;   in Loop: Header=BB4_4915 Depth=3
	v_and_b32_e32 v2, 0x7f800000, v5
	v_cmp_ne_u64_e32 vcc, s[76:77], v[2:3]
                                        ; implicit-def: $vgpr51
	s_and_saveexec_b64 s[40:41], vcc
	s_xor_b64 s[42:43], exec, s[40:41]
	s_cbranch_execz .LBB4_5373
; %bb.5360:                             ;   in Loop: Header=BB4_4915 Depth=3
	v_and_b32_e32 v2, 0x7fffffff, v5
	v_cmp_gt_u64_e32 vcc, s[78:79], v[2:3]
	v_and_b32_sdwa v12, v5, s80 dst_sel:DWORD dst_unused:UNUSED_PAD src0_sel:BYTE_3 src1_sel:DWORD
                                        ; implicit-def: $vgpr51
	s_and_saveexec_b64 s[40:41], vcc
	s_xor_b64 s[44:45], exec, s[40:41]
	s_cbranch_execz .LBB4_5370
; %bb.5361:                             ;   in Loop: Header=BB4_4915 Depth=3
	v_mov_b32_e32 v51, 0
	v_cmp_ne_u32_e32 vcc, 0, v5
	s_and_saveexec_b64 s[46:47], vcc
	s_cbranch_execz .LBB4_5369
; %bb.5362:                             ;   in Loop: Header=BB4_4915 Depth=3
	v_bfe_u32 v13, v5, 23, 8
	v_cmp_gt_u32_e64 s[40:41], s83, v13
	v_sub_u32_e32 v2, 0x79, v13
	v_and_b32_e32 v0, 0x7fffff, v5
	v_cmp_eq_u32_e32 vcc, 0, v13
	v_cndmask_b32_e64 v2, 0, v2, s[40:41]
	v_mov_b32_e32 v5, 0x78
	v_or_b32_e32 v4, 0x800000, v0
	v_cndmask_b32_e32 v51, v2, v5, vcc
	v_cndmask_b32_e32 v2, v4, v0, vcc
	v_add_u32_e32 v0, 20, v51
	v_lshlrev_b64 v[4:5], v0, -1
	v_add_u32_e32 v0, 19, v51
	v_lshlrev_b64 v[8:9], v0, 1
	v_bfi_b32 v5, v5, 0, 0
	v_bfi_b32 v4, v4, 0, v2
	v_cmp_eq_u64_e64 s[40:41], v[4:5], v[8:9]
	v_lshrrev_b64 v[8:9], v51, v[2:3]
	v_mov_b32_e32 v4, v8
	v_mov_b32_e32 v5, v9
	s_and_saveexec_b64 s[54:55], s[40:41]
; %bb.5363:                             ;   in Loop: Header=BB4_4915 Depth=3
	v_bfe_u32 v0, v8, 20, 1
	v_add_co_u32_e64 v0, s[40:41], v8, v0
	v_add_co_u32_e64 v4, s[40:41], -1, v0
; %bb.5364:                             ;   in Loop: Header=BB4_4915 Depth=3
	s_or_b64 exec, exec, s[54:55]
	v_add_u32_e32 v0, 0xffffff81, v13
	v_mov_b32_e32 v2, 0xffffff82
	v_cndmask_b32_e32 v0, v0, v2, vcc
	v_lshrrev_b32_e32 v2, 23, v8
	v_add3_u32 v5, v51, v0, v2
	v_add_u32_e32 v0, 6, v5
	v_and_b32_e32 v2, 0xfffff, v4
	v_add_u32_e32 v2, v2, v8
	v_cmp_ne_u32_e32 vcc, 0, v0
                                        ; implicit-def: $vgpr8_vgpr9
                                        ; implicit-def: $vgpr4
	s_and_saveexec_b64 s[40:41], vcc
	s_xor_b64 s[40:41], exec, s[40:41]
; %bb.5365:                             ;   in Loop: Header=BB4_4915 Depth=3
	v_cmp_lt_u64_e32 vcc, s[88:89], v[2:3]
	v_add_u32_e32 v4, 7, v5
	v_cndmask_b32_e32 v4, v0, v4, vcc
	v_cndmask_b32_e64 v0, 0, 1, vcc
	v_lshrrev_b64 v[8:9], v0, v[2:3]
; %bb.5366:                             ;   in Loop: Header=BB4_4915 Depth=3
	s_andn2_saveexec_b64 s[40:41], s[40:41]
; %bb.5367:                             ;   in Loop: Header=BB4_4915 Depth=3
	v_mov_b32_e32 v9, v3
	v_bfe_u32 v4, v2, 23, 1
	v_mov_b32_e32 v8, v2
; %bb.5368:                             ;   in Loop: Header=BB4_4915 Depth=3
	s_or_b64 exec, exec, s[40:41]
	v_lshrrev_b64 v[8:9], 20, v[8:9]
	v_cmp_gt_i32_e32 vcc, 16, v4
	v_cndmask_b32_e32 v9, 0, v9, vcc
	v_cndmask_b32_e32 v8, 7, v8, vcc
	v_min_i32_e32 v0, 15, v4
	v_cmp_eq_u64_e64 s[40:41], 0, v[8:9]
	v_lshlrev_b32_e32 v0, 3, v0
	v_cmp_eq_u32_e32 vcc, 0, v4
	v_and_b32_e32 v0, 0xf8, v0
	v_and_or_b32 v0, v8, 7, v0
	s_and_b64 s[40:41], vcc, s[40:41]
	v_cndmask_b32_e64 v0, v0, 0, s[40:41]
	v_or_b32_e32 v51, v0, v12
.LBB4_5369:                             ;   in Loop: Header=BB4_4915 Depth=3
	s_or_b64 exec, exec, s[46:47]
                                        ; implicit-def: $vgpr12
.LBB4_5370:                             ;   in Loop: Header=BB4_4915 Depth=3
	s_andn2_saveexec_b64 s[40:41], s[44:45]
; %bb.5371:                             ;   in Loop: Header=BB4_4915 Depth=3
	v_or_b32_e32 v51, 0x7e, v12
; %bb.5372:                             ;   in Loop: Header=BB4_4915 Depth=3
	s_or_b64 exec, exec, s[40:41]
                                        ; implicit-def: $vgpr5
.LBB4_5373:                             ;   in Loop: Header=BB4_4915 Depth=3
	s_andn2_saveexec_b64 s[40:41], s[42:43]
; %bb.5374:                             ;   in Loop: Header=BB4_4915 Depth=3
	v_or_b32_sdwa v51, v5, s81 dst_sel:DWORD dst_unused:UNUSED_PAD src0_sel:BYTE_3 src1_sel:DWORD
; %bb.5375:                             ;   in Loop: Header=BB4_4915 Depth=3
	s_or_b64 exec, exec, s[40:41]
	v_bfe_u32 v8, v14, 24, 3
	v_bfe_u32 v4, v14, 24, 7
	v_cmp_eq_u32_e64 s[44:45], s81, v4
	v_cmp_gt_u32_e32 vcc, 8, v4
	v_ffbh_u32_e32 v4, v8
	v_min_u32_e32 v12, 32, v4
	v_lshrrev_b32_e32 v0, 24, v14
	v_subrev_u32_e32 v4, 28, v12
	v_lshlrev_b64 v[4:5], v4, v[0:1]
	v_bfe_u32 v9, v0, 3, 4
	v_cmp_eq_u32_e64 s[42:43], s80, v0
	v_sub_u32_e32 v0, 29, v12
	v_and_b32_e32 v4, 7, v4
	v_cndmask_b32_e32 v0, v9, v0, vcc
	v_cndmask_b32_e32 v4, v8, v4, vcc
	v_lshlrev_b32_e32 v4, 20, v4
	v_and_b32_e32 v5, 0x80000000, v14
	v_lshl_add_u32 v0, v0, 23, v54
	v_lshrrev_b32_e32 v2, 24, v10
	v_cmp_gt_u32_e64 s[40:41], s61, v14
	v_or3_b32 v4, v5, v0, v4
	v_cmp_lt_u32_e64 s[46:47], s63, v10
	s_mov_b64 s[54:55], -1
	s_and_b64 vcc, exec, s[52:53]
                                        ; implicit-def: $vgpr5
	s_cbranch_vccz .LBB4_5383
; %bb.5376:                             ;   in Loop: Header=BB4_4915 Depth=3
	v_mov_b32_e32 v0, 0
	s_and_saveexec_b64 s[54:55], s[46:47]
	s_cbranch_execz .LBB4_5382
; %bb.5377:                             ;   in Loop: Header=BB4_4915 Depth=3
	v_cmp_ne_u32_e32 vcc, s80, v2
	v_bfrev_b32_e32 v0, 1
	s_and_saveexec_b64 s[64:65], vcc
	s_cbranch_execz .LBB4_5381
; %bb.5378:                             ;   in Loop: Header=BB4_4915 Depth=3
	v_bfe_u32 v5, v10, 24, 7
	v_cmp_ne_u32_e32 vcc, s81, v5
	v_mov_b32_e32 v0, 0x7f800001
	s_and_saveexec_b64 s[66:67], vcc
	s_cbranch_execz .LBB4_5380
; %bb.5379:                             ;   in Loop: Header=BB4_4915 Depth=3
	v_and_b32_e32 v0, 7, v2
	v_lshrrev_b32_e32 v12, 3, v5
	v_cmp_gt_u32_e32 vcc, 8, v5
	v_ffbh_u32_e32 v5, v0
	v_min_u32_e32 v5, 32, v5
	v_subrev_u32_e32 v8, 28, v5
	v_lshlrev_b64 v[8:9], v8, v[2:3]
	v_sub_u32_e32 v5, 29, v5
	v_and_b32_e32 v8, 7, v8
	v_cndmask_b32_e32 v5, v12, v5, vcc
	v_cndmask_b32_e32 v0, v0, v8, vcc
	v_lshlrev_b32_e32 v8, 24, v2
	v_lshlrev_b32_e32 v0, 20, v0
	v_and_b32_e32 v8, 0x80000000, v8
	v_lshl_add_u32 v5, v5, 23, v54
	v_or3_b32 v0, v8, v5, v0
.LBB4_5380:                             ;   in Loop: Header=BB4_4915 Depth=3
	s_or_b64 exec, exec, s[66:67]
.LBB4_5381:                             ;   in Loop: Header=BB4_4915 Depth=3
	s_or_b64 exec, exec, s[64:65]
.LBB4_5382:                             ;   in Loop: Header=BB4_4915 Depth=3
	s_or_b64 exec, exec, s[54:55]
	v_mov_b32_e32 v5, 0x7f800001
	v_cndmask_b32_e64 v5, v4, v5, s[44:45]
	v_bfrev_b32_e32 v8, 1
	v_cndmask_b32_e64 v5, v5, v8, s[42:43]
	v_cndmask_b32_e64 v5, v5, 0, s[40:41]
	v_max_f32_e32 v5, v5, v5
	v_max_f32_e32 v0, v0, v0
	;; [unrolled: 1-line block ×3, first 2 shown]
	s_mov_b64 s[54:55], 0
.LBB4_5383:                             ;   in Loop: Header=BB4_4915 Depth=3
	s_and_b64 vcc, exec, s[54:55]
	s_cbranch_vccz .LBB4_5391
; %bb.5384:                             ;   in Loop: Header=BB4_4915 Depth=3
	v_mov_b32_e32 v0, 0
	s_and_saveexec_b64 s[54:55], s[46:47]
	s_cbranch_execz .LBB4_5390
; %bb.5385:                             ;   in Loop: Header=BB4_4915 Depth=3
	v_cmp_ne_u32_e32 vcc, s80, v2
	v_bfrev_b32_e32 v0, 1
	s_and_saveexec_b64 s[46:47], vcc
	s_cbranch_execz .LBB4_5389
; %bb.5386:                             ;   in Loop: Header=BB4_4915 Depth=3
	v_bfe_u32 v5, v10, 24, 7
	v_cmp_ne_u32_e32 vcc, s81, v5
	v_mov_b32_e32 v0, 0x7f800001
	s_and_saveexec_b64 s[64:65], vcc
	s_cbranch_execz .LBB4_5388
; %bb.5387:                             ;   in Loop: Header=BB4_4915 Depth=3
	v_and_b32_e32 v0, 7, v2
	v_lshrrev_b32_e32 v12, 3, v5
	v_cmp_gt_u32_e32 vcc, 8, v5
	v_ffbh_u32_e32 v5, v0
	v_min_u32_e32 v5, 32, v5
	v_subrev_u32_e32 v8, 28, v5
	v_lshlrev_b64 v[8:9], v8, v[2:3]
	v_sub_u32_e32 v5, 29, v5
	v_and_b32_e32 v8, 7, v8
	v_cndmask_b32_e32 v5, v12, v5, vcc
	v_cndmask_b32_e32 v0, v0, v8, vcc
	v_lshlrev_b32_e32 v2, 24, v2
	v_lshlrev_b32_e32 v0, 20, v0
	v_and_b32_e32 v2, 0x80000000, v2
	v_lshl_add_u32 v5, v5, 23, v54
	v_or3_b32 v0, v2, v5, v0
.LBB4_5388:                             ;   in Loop: Header=BB4_4915 Depth=3
	s_or_b64 exec, exec, s[64:65]
.LBB4_5389:                             ;   in Loop: Header=BB4_4915 Depth=3
	s_or_b64 exec, exec, s[46:47]
.LBB4_5390:                             ;   in Loop: Header=BB4_4915 Depth=3
	s_or_b64 exec, exec, s[54:55]
	v_mov_b32_e32 v2, 0x7f800001
	v_cndmask_b32_e64 v2, v4, v2, s[44:45]
	v_bfrev_b32_e32 v4, 1
	v_cndmask_b32_e64 v2, v2, v4, s[42:43]
	v_cndmask_b32_e64 v2, v2, 0, s[40:41]
	v_max_f32_e32 v2, v2, v2
	v_max_f32_e32 v0, v0, v0
	v_min_f32_e32 v5, v0, v2
.LBB4_5391:                             ;   in Loop: Header=BB4_4915 Depth=3
	v_and_b32_e32 v2, 0x7f800000, v5
	v_cmp_ne_u64_e32 vcc, s[76:77], v[2:3]
                                        ; implicit-def: $vgpr53
	s_and_saveexec_b64 s[40:41], vcc
	s_xor_b64 s[42:43], exec, s[40:41]
	s_cbranch_execz .LBB4_5405
; %bb.5392:                             ;   in Loop: Header=BB4_4915 Depth=3
	v_and_b32_e32 v2, 0x7fffffff, v5
	v_cmp_gt_u64_e32 vcc, s[78:79], v[2:3]
	v_and_b32_sdwa v12, v5, s80 dst_sel:DWORD dst_unused:UNUSED_PAD src0_sel:BYTE_3 src1_sel:DWORD
                                        ; implicit-def: $vgpr53
	s_and_saveexec_b64 s[40:41], vcc
	s_xor_b64 s[44:45], exec, s[40:41]
	s_cbranch_execz .LBB4_5402
; %bb.5393:                             ;   in Loop: Header=BB4_4915 Depth=3
	v_mov_b32_e32 v53, 0
	v_cmp_ne_u32_e32 vcc, 0, v5
	s_and_saveexec_b64 s[46:47], vcc
	s_cbranch_execz .LBB4_5401
; %bb.5394:                             ;   in Loop: Header=BB4_4915 Depth=3
	v_bfe_u32 v13, v5, 23, 8
	v_cmp_gt_u32_e64 s[40:41], s83, v13
	v_sub_u32_e32 v2, 0x79, v13
	v_and_b32_e32 v0, 0x7fffff, v5
	v_cmp_eq_u32_e32 vcc, 0, v13
	v_cndmask_b32_e64 v2, 0, v2, s[40:41]
	v_mov_b32_e32 v5, 0x78
	v_or_b32_e32 v4, 0x800000, v0
	v_cndmask_b32_e32 v53, v2, v5, vcc
	v_cndmask_b32_e32 v2, v4, v0, vcc
	v_add_u32_e32 v0, 20, v53
	v_lshlrev_b64 v[4:5], v0, -1
	v_add_u32_e32 v0, 19, v53
	v_lshlrev_b64 v[8:9], v0, 1
	v_bfi_b32 v5, v5, 0, 0
	v_bfi_b32 v4, v4, 0, v2
	v_cmp_eq_u64_e64 s[40:41], v[4:5], v[8:9]
	v_lshrrev_b64 v[8:9], v53, v[2:3]
	v_mov_b32_e32 v4, v8
	v_mov_b32_e32 v5, v9
	s_and_saveexec_b64 s[54:55], s[40:41]
; %bb.5395:                             ;   in Loop: Header=BB4_4915 Depth=3
	v_bfe_u32 v0, v8, 20, 1
	v_add_co_u32_e64 v0, s[40:41], v8, v0
	v_add_co_u32_e64 v4, s[40:41], -1, v0
; %bb.5396:                             ;   in Loop: Header=BB4_4915 Depth=3
	s_or_b64 exec, exec, s[54:55]
	v_add_u32_e32 v0, 0xffffff81, v13
	v_mov_b32_e32 v2, 0xffffff82
	v_cndmask_b32_e32 v0, v0, v2, vcc
	v_lshrrev_b32_e32 v2, 23, v8
	v_add3_u32 v5, v53, v0, v2
	v_add_u32_e32 v0, 6, v5
	v_and_b32_e32 v2, 0xfffff, v4
	v_add_u32_e32 v2, v2, v8
	v_cmp_ne_u32_e32 vcc, 0, v0
                                        ; implicit-def: $vgpr8_vgpr9
                                        ; implicit-def: $vgpr4
	s_and_saveexec_b64 s[40:41], vcc
	s_xor_b64 s[40:41], exec, s[40:41]
; %bb.5397:                             ;   in Loop: Header=BB4_4915 Depth=3
	v_cmp_lt_u64_e32 vcc, s[88:89], v[2:3]
	v_add_u32_e32 v4, 7, v5
	v_cndmask_b32_e32 v4, v0, v4, vcc
	v_cndmask_b32_e64 v0, 0, 1, vcc
	v_lshrrev_b64 v[8:9], v0, v[2:3]
; %bb.5398:                             ;   in Loop: Header=BB4_4915 Depth=3
	s_andn2_saveexec_b64 s[40:41], s[40:41]
; %bb.5399:                             ;   in Loop: Header=BB4_4915 Depth=3
	v_mov_b32_e32 v9, v3
	v_bfe_u32 v4, v2, 23, 1
	v_mov_b32_e32 v8, v2
; %bb.5400:                             ;   in Loop: Header=BB4_4915 Depth=3
	s_or_b64 exec, exec, s[40:41]
	v_lshrrev_b64 v[8:9], 20, v[8:9]
	v_cmp_gt_i32_e32 vcc, 16, v4
	v_cndmask_b32_e32 v9, 0, v9, vcc
	v_cndmask_b32_e32 v8, 7, v8, vcc
	v_min_i32_e32 v0, 15, v4
	v_cmp_eq_u64_e64 s[40:41], 0, v[8:9]
	v_lshlrev_b32_e32 v0, 3, v0
	v_cmp_eq_u32_e32 vcc, 0, v4
	v_and_b32_e32 v0, 0xf8, v0
	v_and_or_b32 v0, v8, 7, v0
	s_and_b64 s[40:41], vcc, s[40:41]
	v_cndmask_b32_e64 v0, v0, 0, s[40:41]
	v_or_b32_e32 v53, v0, v12
.LBB4_5401:                             ;   in Loop: Header=BB4_4915 Depth=3
	s_or_b64 exec, exec, s[46:47]
                                        ; implicit-def: $vgpr12
.LBB4_5402:                             ;   in Loop: Header=BB4_4915 Depth=3
	s_andn2_saveexec_b64 s[40:41], s[44:45]
; %bb.5403:                             ;   in Loop: Header=BB4_4915 Depth=3
	v_or_b32_e32 v53, 0x7e, v12
; %bb.5404:                             ;   in Loop: Header=BB4_4915 Depth=3
	s_or_b64 exec, exec, s[40:41]
                                        ; implicit-def: $vgpr5
.LBB4_5405:                             ;   in Loop: Header=BB4_4915 Depth=3
	s_andn2_saveexec_b64 s[40:41], s[42:43]
; %bb.5406:                             ;   in Loop: Header=BB4_4915 Depth=3
	v_or_b32_sdwa v53, v5, s81 dst_sel:DWORD dst_unused:UNUSED_PAD src0_sel:BYTE_3 src1_sel:DWORD
; %bb.5407:                             ;   in Loop: Header=BB4_4915 Depth=3
	s_or_b64 exec, exec, s[40:41]
	v_and_b32_e32 v0, 7, v15
	v_ffbh_u32_e32 v0, v0
	v_and_b32_e32 v4, 0x7f, v15
	v_min_u32_e32 v0, 32, v0
	v_cmp_eq_u32_e64 s[40:41], s81, v4
	v_cmp_gt_u32_e32 vcc, 8, v4
	v_subrev_u32_e32 v4, 28, v0
	v_mov_b32_e32 v8, v15
	v_mov_b32_e32 v9, v3
	v_bfe_u32 v5, v15, 3, 4
	v_sub_u32_e32 v0, 29, v0
	v_cndmask_b32_e32 v4, 0, v4, vcc
	v_cndmask_b32_e32 v0, v5, v0, vcc
	v_lshlrev_b64 v[4:5], v4, v[8:9]
	v_lshlrev_b32_e32 v5, 24, v15
	v_lshlrev_b32_e32 v4, 20, v4
	v_and_b32_e32 v4, 0x700000, v4
	v_and_b32_e32 v5, 0x80000000, v5
	v_lshl_add_u32 v0, v0, 23, v54
	v_mov_b32_e32 v2, v11
	v_or3_b32 v4, v5, v0, v4
	v_cmp_ne_u16_sdwa s[42:43], v11, v3 src0_sel:BYTE_0 src1_sel:DWORD
	s_mov_b64 s[44:45], -1
	s_and_b64 vcc, exec, s[52:53]
                                        ; implicit-def: $vgpr5
	s_cbranch_vccz .LBB4_5421
; %bb.5408:                             ;   in Loop: Header=BB4_4915 Depth=3
	v_mov_b32_e32 v5, 0
	s_and_saveexec_b64 s[44:45], s[42:43]
	s_cbranch_execz .LBB4_5414
; %bb.5409:                             ;   in Loop: Header=BB4_4915 Depth=3
	v_cmp_ne_u16_sdwa vcc, v11, s80 src0_sel:BYTE_0 src1_sel:DWORD
	v_bfrev_b32_e32 v5, 1
	s_and_saveexec_b64 s[46:47], vcc
	s_cbranch_execz .LBB4_5413
; %bb.5410:                             ;   in Loop: Header=BB4_4915 Depth=3
	v_and_b32_e32 v0, 0x7f, v11
	v_cmp_ne_u32_e32 vcc, s81, v0
	v_mov_b32_e32 v5, 0x7f800001
	s_and_saveexec_b64 s[54:55], vcc
	s_cbranch_execz .LBB4_5412
; %bb.5411:                             ;   in Loop: Header=BB4_4915 Depth=3
	v_and_b32_e32 v5, 7, v11
	v_lshrrev_b32_e32 v9, 3, v0
	v_cmp_gt_u32_e32 vcc, 8, v0
	v_ffbh_u32_e32 v0, v5
	v_min_u32_e32 v0, 32, v0
	v_subrev_u32_e32 v5, 28, v0
	v_cndmask_b32_e32 v5, 0, v5, vcc
	v_lshlrev_b64 v[12:13], v5, v[2:3]
	v_sub_u32_e32 v0, 29, v0
	v_cndmask_b32_e32 v0, v9, v0, vcc
	v_lshlrev_b32_e32 v5, 20, v12
	v_lshlrev_b32_e32 v9, 24, v2
	v_and_b32_e32 v5, 0x700000, v5
	v_and_b32_e32 v9, 0x80000000, v9
	v_lshl_add_u32 v0, v0, 23, v54
	v_or3_b32 v5, v9, v0, v5
.LBB4_5412:                             ;   in Loop: Header=BB4_4915 Depth=3
	s_or_b64 exec, exec, s[54:55]
.LBB4_5413:                             ;   in Loop: Header=BB4_4915 Depth=3
	s_or_b64 exec, exec, s[46:47]
.LBB4_5414:                             ;   in Loop: Header=BB4_4915 Depth=3
	s_or_b64 exec, exec, s[44:45]
	v_cmp_gt_i16_sdwa s[46:47], v15, s81 src0_sel:BYTE_0 src1_sel:DWORD
	s_mov_b64 s[44:45], 0
	s_and_saveexec_b64 vcc, s[46:47]
	s_xor_b64 s[46:47], exec, vcc
	s_cbranch_execz .LBB4_5610
; %bb.5415:                             ;   in Loop: Header=BB4_4915 Depth=3
	v_cmp_eq_u16_sdwa s[54:55], v15, s80 src0_sel:BYTE_0 src1_sel:DWORD
	s_mov_b64 s[44:45], -1
	s_and_saveexec_b64 vcc, s[54:55]
; %bb.5416:                             ;   in Loop: Header=BB4_4915 Depth=3
	s_xor_b64 s[44:45], exec, -1
; %bb.5417:                             ;   in Loop: Header=BB4_4915 Depth=3
	s_or_b64 exec, exec, vcc
	s_and_b64 s[44:45], s[44:45], exec
	s_or_saveexec_b64 s[46:47], s[46:47]
	v_bfrev_b32_e32 v0, 1
	s_xor_b64 exec, exec, s[46:47]
	s_cbranch_execnz .LBB4_5611
.LBB4_5418:                             ;   in Loop: Header=BB4_4915 Depth=3
	s_or_b64 exec, exec, s[46:47]
	s_and_saveexec_b64 s[46:47], s[44:45]
.LBB4_5419:                             ;   in Loop: Header=BB4_4915 Depth=3
	v_mov_b32_e32 v0, 0x7f800001
	v_cndmask_b32_e64 v0, v4, v0, s[40:41]
.LBB4_5420:                             ;   in Loop: Header=BB4_4915 Depth=3
	s_or_b64 exec, exec, s[46:47]
	v_max_f32_e32 v0, v0, v0
	v_max_f32_e32 v5, v5, v5
	v_max_f32_e32 v5, v5, v0
	s_mov_b64 s[44:45], 0
.LBB4_5421:                             ;   in Loop: Header=BB4_4915 Depth=3
	s_and_b64 vcc, exec, s[44:45]
	s_cbranch_vccz .LBB4_5435
; %bb.5422:                             ;   in Loop: Header=BB4_4915 Depth=3
	v_mov_b32_e32 v5, 0
	s_and_saveexec_b64 s[44:45], s[42:43]
	s_cbranch_execz .LBB4_5428
; %bb.5423:                             ;   in Loop: Header=BB4_4915 Depth=3
	v_cmp_ne_u16_sdwa s[46:47], v11, s80 src0_sel:BYTE_0 src1_sel:DWORD
	v_bfrev_b32_e32 v5, 1
	s_and_saveexec_b64 s[42:43], s[46:47]
	s_cbranch_execz .LBB4_5427
; %bb.5424:                             ;   in Loop: Header=BB4_4915 Depth=3
	v_and_b32_e32 v0, 0x7f, v11
	v_cmp_ne_u32_e32 vcc, s81, v0
	v_mov_b32_e32 v5, 0x7f800001
	s_and_saveexec_b64 s[46:47], vcc
	s_cbranch_execz .LBB4_5426
; %bb.5425:                             ;   in Loop: Header=BB4_4915 Depth=3
	v_and_b32_e32 v5, 7, v11
	v_lshrrev_b32_e32 v9, 3, v0
	v_cmp_gt_u32_e32 vcc, 8, v0
	v_ffbh_u32_e32 v0, v5
	v_min_u32_e32 v0, 32, v0
	v_subrev_u32_e32 v5, 28, v0
	v_cndmask_b32_e32 v5, 0, v5, vcc
	v_lshlrev_b64 v[12:13], v5, v[2:3]
	v_sub_u32_e32 v0, 29, v0
	v_cndmask_b32_e32 v0, v9, v0, vcc
	v_lshlrev_b32_e32 v5, 20, v12
	v_lshlrev_b32_e32 v9, 24, v2
	v_and_b32_e32 v5, 0x700000, v5
	v_and_b32_e32 v9, 0x80000000, v9
	v_lshl_add_u32 v0, v0, 23, v54
	v_or3_b32 v5, v9, v0, v5
.LBB4_5426:                             ;   in Loop: Header=BB4_4915 Depth=3
	s_or_b64 exec, exec, s[46:47]
.LBB4_5427:                             ;   in Loop: Header=BB4_4915 Depth=3
	s_or_b64 exec, exec, s[42:43]
.LBB4_5428:                             ;   in Loop: Header=BB4_4915 Depth=3
	s_or_b64 exec, exec, s[44:45]
	v_cmp_gt_i16_sdwa s[44:45], v15, s81 src0_sel:BYTE_0 src1_sel:DWORD
	s_mov_b64 s[42:43], 0
	s_and_saveexec_b64 s[46:47], s[44:45]
	s_xor_b64 s[44:45], exec, s[46:47]
	s_cbranch_execz .LBB4_5612
; %bb.5429:                             ;   in Loop: Header=BB4_4915 Depth=3
	v_cmp_eq_u16_sdwa vcc, v15, s80 src0_sel:BYTE_0 src1_sel:DWORD
	s_mov_b64 s[42:43], -1
	s_and_saveexec_b64 s[46:47], vcc
; %bb.5430:                             ;   in Loop: Header=BB4_4915 Depth=3
	s_xor_b64 s[42:43], exec, -1
; %bb.5431:                             ;   in Loop: Header=BB4_4915 Depth=3
	s_or_b64 exec, exec, s[46:47]
	s_and_b64 s[42:43], s[42:43], exec
	s_or_saveexec_b64 s[44:45], s[44:45]
	v_bfrev_b32_e32 v0, 1
	s_xor_b64 exec, exec, s[44:45]
	s_cbranch_execnz .LBB4_5613
.LBB4_5432:                             ;   in Loop: Header=BB4_4915 Depth=3
	s_or_b64 exec, exec, s[44:45]
	s_and_saveexec_b64 s[44:45], s[42:43]
.LBB4_5433:                             ;   in Loop: Header=BB4_4915 Depth=3
	v_mov_b32_e32 v0, 0x7f800001
	v_cndmask_b32_e64 v0, v4, v0, s[40:41]
.LBB4_5434:                             ;   in Loop: Header=BB4_4915 Depth=3
	s_or_b64 exec, exec, s[44:45]
	v_max_f32_e32 v0, v0, v0
	v_max_f32_e32 v4, v5, v5
	v_min_f32_e32 v5, v4, v0
.LBB4_5435:                             ;   in Loop: Header=BB4_4915 Depth=3
	v_and_b32_e32 v12, 0x7f800000, v5
	v_mov_b32_e32 v13, v3
	v_cmp_ne_u64_e32 vcc, s[76:77], v[12:13]
                                        ; implicit-def: $vgpr13
	s_and_saveexec_b64 s[40:41], vcc
	s_xor_b64 s[42:43], exec, s[40:41]
	s_cbranch_execz .LBB4_5449
; %bb.5436:                             ;   in Loop: Header=BB4_4915 Depth=3
	v_and_b32_e32 v12, 0x7fffffff, v5
	v_mov_b32_e32 v13, v3
	v_cmp_gt_u64_e32 vcc, s[78:79], v[12:13]
	v_and_b32_sdwa v9, v5, s80 dst_sel:DWORD dst_unused:UNUSED_PAD src0_sel:BYTE_3 src1_sel:DWORD
                                        ; implicit-def: $vgpr13
	s_and_saveexec_b64 s[40:41], vcc
	s_xor_b64 s[44:45], exec, s[40:41]
	s_cbranch_execz .LBB4_5446
; %bb.5437:                             ;   in Loop: Header=BB4_4915 Depth=3
	v_mov_b32_e32 v13, 0
	v_cmp_ne_u32_e32 vcc, 0, v5
	s_and_saveexec_b64 s[46:47], vcc
	s_cbranch_execz .LBB4_5445
; %bb.5438:                             ;   in Loop: Header=BB4_4915 Depth=3
	v_bfe_u32 v55, v5, 23, 8
	v_cmp_gt_u32_e64 s[40:41], s83, v55
	v_sub_u32_e32 v4, 0x79, v55
	v_and_b32_e32 v0, 0x7fffff, v5
	v_cmp_eq_u32_e32 vcc, 0, v55
	v_cndmask_b32_e64 v4, 0, v4, s[40:41]
	v_mov_b32_e32 v12, 0x78
	v_or_b32_e32 v5, 0x800000, v0
	v_cndmask_b32_e32 v42, v4, v12, vcc
	v_cndmask_b32_e32 v4, v5, v0, vcc
	v_add_u32_e32 v0, 20, v42
	v_lshlrev_b64 v[12:13], v0, -1
	v_add_u32_e32 v0, 19, v42
	v_lshlrev_b64 v[43:44], v0, 1
	v_mov_b32_e32 v5, v3
	v_bfi_b32 v13, v13, 0, 0
	v_bfi_b32 v12, v12, 0, v4
	v_cmp_eq_u64_e64 s[40:41], v[12:13], v[43:44]
	v_lshrrev_b64 v[12:13], v42, v[4:5]
	v_mov_b32_e32 v4, v12
	v_mov_b32_e32 v5, v13
	s_and_saveexec_b64 s[54:55], s[40:41]
; %bb.5439:                             ;   in Loop: Header=BB4_4915 Depth=3
	v_bfe_u32 v0, v12, 20, 1
	v_add_co_u32_e64 v0, s[40:41], v12, v0
	v_add_co_u32_e64 v4, s[40:41], -1, v0
; %bb.5440:                             ;   in Loop: Header=BB4_4915 Depth=3
	s_or_b64 exec, exec, s[54:55]
	v_add_u32_e32 v0, 0xffffff81, v55
	v_mov_b32_e32 v5, 0xffffff82
	v_cndmask_b32_e32 v0, v0, v5, vcc
	v_lshrrev_b32_e32 v5, 23, v12
	v_add3_u32 v5, v42, v0, v5
	v_add_u32_e32 v0, 6, v5
	v_and_b32_e32 v4, 0xfffff, v4
	v_add_u32_e32 v12, v4, v12
	v_mov_b32_e32 v13, v3
	v_cmp_ne_u32_e32 vcc, 0, v0
                                        ; implicit-def: $vgpr4
	s_and_saveexec_b64 s[40:41], vcc
	s_xor_b64 s[40:41], exec, s[40:41]
; %bb.5441:                             ;   in Loop: Header=BB4_4915 Depth=3
	v_cmp_lt_u64_e32 vcc, s[88:89], v[12:13]
	v_add_u32_e32 v4, 7, v5
	v_cndmask_b32_e32 v4, v0, v4, vcc
	v_cndmask_b32_e64 v0, 0, 1, vcc
	v_lshrrev_b64 v[12:13], v0, v[12:13]
; %bb.5442:                             ;   in Loop: Header=BB4_4915 Depth=3
	s_andn2_saveexec_b64 s[40:41], s[40:41]
; %bb.5443:                             ;   in Loop: Header=BB4_4915 Depth=3
	v_bfe_u32 v4, v12, 23, 1
; %bb.5444:                             ;   in Loop: Header=BB4_4915 Depth=3
	s_or_b64 exec, exec, s[40:41]
	v_lshrrev_b64 v[12:13], 20, v[12:13]
	v_cmp_gt_i32_e32 vcc, 16, v4
	v_cndmask_b32_e32 v13, 0, v13, vcc
	v_cndmask_b32_e32 v12, 7, v12, vcc
	v_min_i32_e32 v0, 15, v4
	v_cmp_eq_u64_e64 s[40:41], 0, v[12:13]
	v_lshlrev_b32_e32 v0, 3, v0
	v_cmp_eq_u32_e32 vcc, 0, v4
	v_and_b32_e32 v0, 0xf8, v0
	v_and_or_b32 v0, v12, 7, v0
	s_and_b64 s[40:41], vcc, s[40:41]
	v_cndmask_b32_e64 v0, v0, 0, s[40:41]
	v_or_b32_e32 v13, v0, v9
.LBB4_5445:                             ;   in Loop: Header=BB4_4915 Depth=3
	s_or_b64 exec, exec, s[46:47]
                                        ; implicit-def: $vgpr9
.LBB4_5446:                             ;   in Loop: Header=BB4_4915 Depth=3
	s_andn2_saveexec_b64 s[40:41], s[44:45]
; %bb.5447:                             ;   in Loop: Header=BB4_4915 Depth=3
	v_or_b32_e32 v13, 0x7e, v9
; %bb.5448:                             ;   in Loop: Header=BB4_4915 Depth=3
	s_or_b64 exec, exec, s[40:41]
                                        ; implicit-def: $vgpr5
.LBB4_5449:                             ;   in Loop: Header=BB4_4915 Depth=3
	s_andn2_saveexec_b64 s[40:41], s[42:43]
; %bb.5450:                             ;   in Loop: Header=BB4_4915 Depth=3
	v_or_b32_sdwa v13, v5, s81 dst_sel:DWORD dst_unused:UNUSED_PAD src0_sel:BYTE_3 src1_sel:DWORD
; %bb.5451:                             ;   in Loop: Header=BB4_4915 Depth=3
	s_or_b64 exec, exec, s[40:41]
	v_lshrrev_b16_e32 v8, 8, v8
	v_and_b32_e32 v0, 7, v8
	v_and_b32_e32 v4, 0x7f, v8
	v_cmp_eq_u32_e64 s[40:41], s81, v4
	v_cmp_gt_u32_e32 vcc, 8, v4
	v_ffbh_u32_e32 v4, v0
	v_min_u32_e32 v40, 32, v4
	v_mov_b32_e32 v9, v3
	v_subrev_u32_e32 v4, 28, v40
	v_lshlrev_b64 v[4:5], v4, v[8:9]
	v_bfe_u32 v55, v8, 3, 4
	v_sub_u32_e32 v5, 29, v40
	v_and_b32_e32 v4, 7, v4
	v_cndmask_b32_e32 v5, v55, v5, vcc
	v_cndmask_b32_e32 v0, v0, v4, vcc
	v_lshlrev_b32_e32 v4, 24, v8
	v_lshrrev_b16_e32 v12, 8, v2
	v_lshlrev_b32_e32 v0, 20, v0
	v_and_b32_e32 v4, 0x80000000, v4
	v_lshl_add_u32 v5, v5, 23, v54
	v_or3_b32 v4, v4, v5, v0
	v_cmp_ne_u16_e64 s[42:43], 0, v12
	s_mov_b64 s[44:45], -1
	s_and_b64 vcc, exec, s[52:53]
                                        ; implicit-def: $vgpr5
	s_cbranch_vccz .LBB4_5465
; %bb.5452:                             ;   in Loop: Header=BB4_4915 Depth=3
	v_mov_b32_e32 v5, 0
	s_and_saveexec_b64 s[44:45], s[42:43]
	s_cbranch_execz .LBB4_5458
; %bb.5453:                             ;   in Loop: Header=BB4_4915 Depth=3
	v_cmp_ne_u16_e32 vcc, s80, v12
	v_bfrev_b32_e32 v5, 1
	s_and_saveexec_b64 s[46:47], vcc
	s_cbranch_execz .LBB4_5457
; %bb.5454:                             ;   in Loop: Header=BB4_4915 Depth=3
	v_and_b32_e32 v0, 0x7f, v12
	v_cmp_ne_u32_e32 vcc, s81, v0
	v_mov_b32_e32 v5, 0x7f800001
	s_and_saveexec_b64 s[54:55], vcc
	s_cbranch_execz .LBB4_5456
; %bb.5455:                             ;   in Loop: Header=BB4_4915 Depth=3
	v_and_b32_e32 v5, 7, v12
	v_lshrrev_b32_e32 v9, 3, v0
	v_cmp_gt_u32_e32 vcc, 8, v0
	v_ffbh_u32_e32 v0, v5
	v_min_u32_e32 v0, 32, v0
	v_subrev_u32_e32 v55, 28, v0
	v_lshlrev_b64 v[42:43], v55, v[12:13]
	v_sub_u32_e32 v0, 29, v0
	v_and_b32_e32 v55, 7, v42
	v_cndmask_b32_e32 v0, v9, v0, vcc
	v_cndmask_b32_e32 v5, v5, v55, vcc
	v_lshlrev_b32_e32 v9, 16, v2
	v_lshlrev_b32_e32 v5, 20, v5
	v_and_b32_e32 v9, 0x80000000, v9
	v_lshl_add_u32 v0, v0, 23, v54
	v_or3_b32 v5, v9, v0, v5
.LBB4_5456:                             ;   in Loop: Header=BB4_4915 Depth=3
	s_or_b64 exec, exec, s[54:55]
.LBB4_5457:                             ;   in Loop: Header=BB4_4915 Depth=3
	s_or_b64 exec, exec, s[46:47]
.LBB4_5458:                             ;   in Loop: Header=BB4_4915 Depth=3
	s_or_b64 exec, exec, s[44:45]
	v_cmp_lt_i16_e32 vcc, s81, v8
	s_mov_b64 s[44:45], 0
	s_and_saveexec_b64 s[46:47], vcc
	s_xor_b64 s[46:47], exec, s[46:47]
	s_cbranch_execz .LBB4_5614
; %bb.5459:                             ;   in Loop: Header=BB4_4915 Depth=3
	v_cmp_eq_u16_e32 vcc, s80, v8
	s_mov_b64 s[44:45], -1
	s_and_saveexec_b64 s[54:55], vcc
; %bb.5460:                             ;   in Loop: Header=BB4_4915 Depth=3
	s_xor_b64 s[44:45], exec, -1
; %bb.5461:                             ;   in Loop: Header=BB4_4915 Depth=3
	s_or_b64 exec, exec, s[54:55]
	s_and_b64 s[44:45], s[44:45], exec
	s_or_saveexec_b64 s[46:47], s[46:47]
	v_bfrev_b32_e32 v0, 1
	s_xor_b64 exec, exec, s[46:47]
	s_cbranch_execnz .LBB4_5615
.LBB4_5462:                             ;   in Loop: Header=BB4_4915 Depth=3
	s_or_b64 exec, exec, s[46:47]
	s_and_saveexec_b64 s[46:47], s[44:45]
.LBB4_5463:                             ;   in Loop: Header=BB4_4915 Depth=3
	v_mov_b32_e32 v0, 0x7f800001
	v_cndmask_b32_e64 v0, v4, v0, s[40:41]
.LBB4_5464:                             ;   in Loop: Header=BB4_4915 Depth=3
	s_or_b64 exec, exec, s[46:47]
	v_max_f32_e32 v0, v0, v0
	v_max_f32_e32 v5, v5, v5
	;; [unrolled: 1-line block ×3, first 2 shown]
	s_mov_b64 s[44:45], 0
.LBB4_5465:                             ;   in Loop: Header=BB4_4915 Depth=3
	s_and_b64 vcc, exec, s[44:45]
	s_cbranch_vccz .LBB4_5479
; %bb.5466:                             ;   in Loop: Header=BB4_4915 Depth=3
	v_mov_b32_e32 v5, 0
	s_and_saveexec_b64 s[44:45], s[42:43]
	s_cbranch_execz .LBB4_5472
; %bb.5467:                             ;   in Loop: Header=BB4_4915 Depth=3
	v_cmp_ne_u16_e32 vcc, s80, v12
	v_bfrev_b32_e32 v5, 1
	s_and_saveexec_b64 s[42:43], vcc
	s_cbranch_execz .LBB4_5471
; %bb.5468:                             ;   in Loop: Header=BB4_4915 Depth=3
	v_and_b32_e32 v0, 0x7f, v12
	v_cmp_ne_u32_e32 vcc, s81, v0
	v_mov_b32_e32 v5, 0x7f800001
	s_and_saveexec_b64 s[46:47], vcc
	s_cbranch_execz .LBB4_5470
; %bb.5469:                             ;   in Loop: Header=BB4_4915 Depth=3
	v_and_b32_e32 v5, 7, v12
	v_lshrrev_b32_e32 v9, 3, v0
	v_cmp_gt_u32_e32 vcc, 8, v0
	v_ffbh_u32_e32 v0, v5
	v_min_u32_e32 v0, 32, v0
	v_subrev_u32_e32 v55, 28, v0
	v_lshlrev_b64 v[42:43], v55, v[12:13]
	v_sub_u32_e32 v0, 29, v0
	v_and_b32_e32 v12, 7, v42
	v_cndmask_b32_e32 v0, v9, v0, vcc
	v_cndmask_b32_e32 v5, v5, v12, vcc
	v_lshlrev_b32_e32 v2, 16, v2
	v_lshlrev_b32_e32 v5, 20, v5
	v_and_b32_e32 v2, 0x80000000, v2
	v_lshl_add_u32 v0, v0, 23, v54
	v_or3_b32 v5, v2, v0, v5
.LBB4_5470:                             ;   in Loop: Header=BB4_4915 Depth=3
	s_or_b64 exec, exec, s[46:47]
.LBB4_5471:                             ;   in Loop: Header=BB4_4915 Depth=3
	s_or_b64 exec, exec, s[42:43]
.LBB4_5472:                             ;   in Loop: Header=BB4_4915 Depth=3
	s_or_b64 exec, exec, s[44:45]
	v_cmp_lt_i16_e32 vcc, s81, v8
	s_mov_b64 s[42:43], 0
	s_and_saveexec_b64 s[44:45], vcc
	s_xor_b64 s[44:45], exec, s[44:45]
	s_cbranch_execz .LBB4_5616
; %bb.5473:                             ;   in Loop: Header=BB4_4915 Depth=3
	v_cmp_eq_u16_e32 vcc, s80, v8
	s_mov_b64 s[42:43], -1
	s_and_saveexec_b64 s[46:47], vcc
; %bb.5474:                             ;   in Loop: Header=BB4_4915 Depth=3
	s_xor_b64 s[42:43], exec, -1
; %bb.5475:                             ;   in Loop: Header=BB4_4915 Depth=3
	s_or_b64 exec, exec, s[46:47]
	s_and_b64 s[42:43], s[42:43], exec
                                        ; implicit-def: $vgpr8
	s_or_saveexec_b64 s[44:45], s[44:45]
	v_bfrev_b32_e32 v0, 1
	s_xor_b64 exec, exec, s[44:45]
	s_cbranch_execnz .LBB4_5617
.LBB4_5476:                             ;   in Loop: Header=BB4_4915 Depth=3
	s_or_b64 exec, exec, s[44:45]
	s_and_saveexec_b64 s[44:45], s[42:43]
.LBB4_5477:                             ;   in Loop: Header=BB4_4915 Depth=3
	v_mov_b32_e32 v0, 0x7f800001
	v_cndmask_b32_e64 v0, v4, v0, s[40:41]
.LBB4_5478:                             ;   in Loop: Header=BB4_4915 Depth=3
	s_or_b64 exec, exec, s[44:45]
	v_max_f32_e32 v0, v0, v0
	v_max_f32_e32 v2, v5, v5
	v_min_f32_e32 v5, v2, v0
.LBB4_5479:                             ;   in Loop: Header=BB4_4915 Depth=3
	v_and_b32_e32 v2, 0x7f800000, v5
	v_cmp_ne_u64_e32 vcc, s[76:77], v[2:3]
                                        ; implicit-def: $vgpr12
	s_and_saveexec_b64 s[40:41], vcc
	s_xor_b64 s[42:43], exec, s[40:41]
	s_cbranch_execz .LBB4_5493
; %bb.5480:                             ;   in Loop: Header=BB4_4915 Depth=3
	v_and_b32_e32 v2, 0x7fffffff, v5
	v_cmp_gt_u64_e32 vcc, s[78:79], v[2:3]
	v_and_b32_sdwa v55, v5, s80 dst_sel:DWORD dst_unused:UNUSED_PAD src0_sel:BYTE_3 src1_sel:DWORD
                                        ; implicit-def: $vgpr12
	s_and_saveexec_b64 s[40:41], vcc
	s_xor_b64 s[44:45], exec, s[40:41]
	s_cbranch_execz .LBB4_5490
; %bb.5481:                             ;   in Loop: Header=BB4_4915 Depth=3
	v_mov_b32_e32 v12, 0
	v_cmp_ne_u32_e32 vcc, 0, v5
	s_and_saveexec_b64 s[46:47], vcc
	s_cbranch_execz .LBB4_5489
; %bb.5482:                             ;   in Loop: Header=BB4_4915 Depth=3
	v_bfe_u32 v12, v5, 23, 8
	v_cmp_gt_u32_e64 s[40:41], s83, v12
	v_sub_u32_e32 v2, 0x79, v12
	v_and_b32_e32 v0, 0x7fffff, v5
	v_cmp_eq_u32_e32 vcc, 0, v12
	v_cndmask_b32_e64 v2, 0, v2, s[40:41]
	v_mov_b32_e32 v5, 0x78
	v_or_b32_e32 v4, 0x800000, v0
	v_cndmask_b32_e32 v42, v2, v5, vcc
	v_cndmask_b32_e32 v2, v4, v0, vcc
	v_add_u32_e32 v0, 20, v42
	v_lshlrev_b64 v[4:5], v0, -1
	v_add_u32_e32 v0, 19, v42
	v_lshlrev_b64 v[8:9], v0, 1
	v_bfi_b32 v5, v5, 0, 0
	v_bfi_b32 v4, v4, 0, v2
	v_cmp_eq_u64_e64 s[40:41], v[4:5], v[8:9]
	v_lshrrev_b64 v[8:9], v42, v[2:3]
	v_mov_b32_e32 v4, v8
	v_mov_b32_e32 v5, v9
	s_and_saveexec_b64 s[54:55], s[40:41]
; %bb.5483:                             ;   in Loop: Header=BB4_4915 Depth=3
	v_bfe_u32 v0, v8, 20, 1
	v_add_co_u32_e64 v0, s[40:41], v8, v0
	v_add_co_u32_e64 v4, s[40:41], -1, v0
; %bb.5484:                             ;   in Loop: Header=BB4_4915 Depth=3
	s_or_b64 exec, exec, s[54:55]
	v_add_u32_e32 v0, 0xffffff81, v12
	v_mov_b32_e32 v2, 0xffffff82
	v_cndmask_b32_e32 v0, v0, v2, vcc
	v_lshrrev_b32_e32 v2, 23, v8
	v_add3_u32 v5, v42, v0, v2
	v_add_u32_e32 v0, 6, v5
	v_and_b32_e32 v2, 0xfffff, v4
	v_add_u32_e32 v2, v2, v8
	v_cmp_ne_u32_e32 vcc, 0, v0
                                        ; implicit-def: $vgpr8_vgpr9
                                        ; implicit-def: $vgpr4
	s_and_saveexec_b64 s[40:41], vcc
	s_xor_b64 s[40:41], exec, s[40:41]
; %bb.5485:                             ;   in Loop: Header=BB4_4915 Depth=3
	v_cmp_lt_u64_e32 vcc, s[88:89], v[2:3]
	v_add_u32_e32 v4, 7, v5
	v_cndmask_b32_e32 v4, v0, v4, vcc
	v_cndmask_b32_e64 v0, 0, 1, vcc
	v_lshrrev_b64 v[8:9], v0, v[2:3]
; %bb.5486:                             ;   in Loop: Header=BB4_4915 Depth=3
	s_andn2_saveexec_b64 s[40:41], s[40:41]
; %bb.5487:                             ;   in Loop: Header=BB4_4915 Depth=3
	v_mov_b32_e32 v9, v3
	v_bfe_u32 v4, v2, 23, 1
	v_mov_b32_e32 v8, v2
; %bb.5488:                             ;   in Loop: Header=BB4_4915 Depth=3
	s_or_b64 exec, exec, s[40:41]
	v_lshrrev_b64 v[8:9], 20, v[8:9]
	v_cmp_gt_i32_e32 vcc, 16, v4
	v_cndmask_b32_e32 v9, 0, v9, vcc
	v_cndmask_b32_e32 v8, 7, v8, vcc
	v_min_i32_e32 v0, 15, v4
	v_cmp_eq_u64_e64 s[40:41], 0, v[8:9]
	v_lshlrev_b32_e32 v0, 3, v0
	v_cmp_eq_u32_e32 vcc, 0, v4
	v_and_b32_e32 v0, 0xf8, v0
	v_and_or_b32 v0, v8, 7, v0
	s_and_b64 s[40:41], vcc, s[40:41]
	v_cndmask_b32_e64 v0, v0, 0, s[40:41]
	v_or_b32_e32 v12, v0, v55
.LBB4_5489:                             ;   in Loop: Header=BB4_4915 Depth=3
	s_or_b64 exec, exec, s[46:47]
                                        ; implicit-def: $vgpr55
.LBB4_5490:                             ;   in Loop: Header=BB4_4915 Depth=3
	s_andn2_saveexec_b64 s[40:41], s[44:45]
; %bb.5491:                             ;   in Loop: Header=BB4_4915 Depth=3
	v_or_b32_e32 v12, 0x7e, v55
; %bb.5492:                             ;   in Loop: Header=BB4_4915 Depth=3
	s_or_b64 exec, exec, s[40:41]
                                        ; implicit-def: $vgpr5
.LBB4_5493:                             ;   in Loop: Header=BB4_4915 Depth=3
	s_andn2_saveexec_b64 s[40:41], s[42:43]
; %bb.5494:                             ;   in Loop: Header=BB4_4915 Depth=3
	v_or_b32_sdwa v12, v5, s81 dst_sel:DWORD dst_unused:UNUSED_PAD src0_sel:BYTE_3 src1_sel:DWORD
; %bb.5495:                             ;   in Loop: Header=BB4_4915 Depth=3
	s_or_b64 exec, exec, s[40:41]
	v_bfe_u32 v0, v15, 16, 3
	v_bfe_u32 v4, v15, 16, 7
	v_cmp_eq_u32_e64 s[40:41], s81, v4
	v_cmp_gt_u32_e32 vcc, 8, v4
	v_ffbh_u32_e32 v4, v0
	v_min_u32_e32 v9, 32, v4
	v_lshrrev_b32_e32 v2, 16, v15
	v_subrev_u32_e32 v4, 28, v9
	v_lshlrev_b64 v[4:5], v4, v[2:3]
	v_bfe_u32 v8, v2, 3, 4
	v_sub_u32_e32 v5, 29, v9
	v_and_b32_e32 v4, 7, v4
	v_cndmask_b32_e32 v5, v8, v5, vcc
	v_cndmask_b32_e32 v0, v0, v4, vcc
	v_lshlrev_b32_e32 v4, 8, v15
	v_lshlrev_b32_e32 v0, 20, v0
	v_and_b32_e32 v4, 0x80000000, v4
	v_lshl_add_u32 v5, v5, 23, v54
	v_lshrrev_b32_e32 v8, 16, v11
	v_or3_b32 v4, v4, v5, v0
	v_cmp_ne_u16_sdwa s[42:43], v8, v3 src0_sel:BYTE_0 src1_sel:DWORD
	s_mov_b64 s[44:45], -1
	s_and_b64 vcc, exec, s[52:53]
                                        ; implicit-def: $vgpr5
	s_cbranch_vccz .LBB4_5509
; %bb.5496:                             ;   in Loop: Header=BB4_4915 Depth=3
	v_mov_b32_e32 v5, 0
	s_and_saveexec_b64 s[44:45], s[42:43]
	s_cbranch_execz .LBB4_5502
; %bb.5497:                             ;   in Loop: Header=BB4_4915 Depth=3
	v_cmp_ne_u16_sdwa vcc, v8, s80 src0_sel:BYTE_0 src1_sel:DWORD
	v_bfrev_b32_e32 v5, 1
	s_and_saveexec_b64 s[46:47], vcc
	s_cbranch_execz .LBB4_5501
; %bb.5498:                             ;   in Loop: Header=BB4_4915 Depth=3
	v_bfe_u32 v0, v11, 16, 7
	v_cmp_ne_u32_e32 vcc, s81, v0
	v_mov_b32_e32 v5, 0x7f800001
	s_and_saveexec_b64 s[54:55], vcc
	s_cbranch_execz .LBB4_5500
; %bb.5499:                             ;   in Loop: Header=BB4_4915 Depth=3
	v_and_b32_e32 v5, 7, v8
	v_lshrrev_b32_e32 v9, 3, v0
	v_cmp_gt_u32_e32 vcc, 8, v0
	v_ffbh_u32_e32 v0, v5
	v_min_u32_e32 v0, 32, v0
	v_subrev_u32_e32 v55, 28, v0
	v_lshlrev_b64 v[42:43], v55, v[8:9]
	v_sub_u32_e32 v0, 29, v0
	v_and_b32_e32 v55, 7, v42
	v_cndmask_b32_e32 v0, v9, v0, vcc
	v_cndmask_b32_e32 v5, v5, v55, vcc
	v_lshlrev_b32_e32 v9, 24, v8
	v_lshlrev_b32_e32 v5, 20, v5
	v_and_b32_e32 v9, 0x80000000, v9
	v_lshl_add_u32 v0, v0, 23, v54
	v_or3_b32 v5, v9, v0, v5
.LBB4_5500:                             ;   in Loop: Header=BB4_4915 Depth=3
	s_or_b64 exec, exec, s[54:55]
.LBB4_5501:                             ;   in Loop: Header=BB4_4915 Depth=3
	s_or_b64 exec, exec, s[46:47]
.LBB4_5502:                             ;   in Loop: Header=BB4_4915 Depth=3
	s_or_b64 exec, exec, s[44:45]
	v_cmp_gt_i16_sdwa s[46:47], v2, s81 src0_sel:BYTE_0 src1_sel:DWORD
	s_mov_b64 s[44:45], 0
	s_and_saveexec_b64 vcc, s[46:47]
	s_xor_b64 s[46:47], exec, vcc
	s_cbranch_execz .LBB4_5618
; %bb.5503:                             ;   in Loop: Header=BB4_4915 Depth=3
	v_cmp_eq_u16_sdwa s[54:55], v2, s80 src0_sel:BYTE_0 src1_sel:DWORD
	s_mov_b64 s[44:45], -1
	s_and_saveexec_b64 vcc, s[54:55]
; %bb.5504:                             ;   in Loop: Header=BB4_4915 Depth=3
	s_xor_b64 s[44:45], exec, -1
; %bb.5505:                             ;   in Loop: Header=BB4_4915 Depth=3
	s_or_b64 exec, exec, vcc
	s_and_b64 s[44:45], s[44:45], exec
	s_or_saveexec_b64 s[46:47], s[46:47]
	v_bfrev_b32_e32 v0, 1
	s_xor_b64 exec, exec, s[46:47]
	s_cbranch_execnz .LBB4_5619
.LBB4_5506:                             ;   in Loop: Header=BB4_4915 Depth=3
	s_or_b64 exec, exec, s[46:47]
	s_and_saveexec_b64 s[46:47], s[44:45]
.LBB4_5507:                             ;   in Loop: Header=BB4_4915 Depth=3
	v_mov_b32_e32 v0, 0x7f800001
	v_cndmask_b32_e64 v0, v4, v0, s[40:41]
.LBB4_5508:                             ;   in Loop: Header=BB4_4915 Depth=3
	s_or_b64 exec, exec, s[46:47]
	v_max_f32_e32 v0, v0, v0
	v_max_f32_e32 v5, v5, v5
	;; [unrolled: 1-line block ×3, first 2 shown]
	s_mov_b64 s[44:45], 0
.LBB4_5509:                             ;   in Loop: Header=BB4_4915 Depth=3
	s_and_b64 vcc, exec, s[44:45]
	s_cbranch_vccz .LBB4_5523
; %bb.5510:                             ;   in Loop: Header=BB4_4915 Depth=3
	v_mov_b32_e32 v5, 0
	s_and_saveexec_b64 s[44:45], s[42:43]
	s_cbranch_execz .LBB4_5516
; %bb.5511:                             ;   in Loop: Header=BB4_4915 Depth=3
	v_cmp_ne_u16_sdwa s[46:47], v8, s80 src0_sel:BYTE_0 src1_sel:DWORD
	v_bfrev_b32_e32 v5, 1
	s_and_saveexec_b64 s[42:43], s[46:47]
	s_cbranch_execz .LBB4_5515
; %bb.5512:                             ;   in Loop: Header=BB4_4915 Depth=3
	v_bfe_u32 v0, v11, 16, 7
	v_cmp_ne_u32_e32 vcc, s81, v0
	v_mov_b32_e32 v5, 0x7f800001
	s_and_saveexec_b64 s[46:47], vcc
	s_cbranch_execz .LBB4_5514
; %bb.5513:                             ;   in Loop: Header=BB4_4915 Depth=3
	v_and_b32_e32 v5, 7, v8
	v_lshrrev_b32_e32 v9, 3, v0
	v_cmp_gt_u32_e32 vcc, 8, v0
	v_ffbh_u32_e32 v0, v5
	v_min_u32_e32 v0, 32, v0
	v_subrev_u32_e32 v55, 28, v0
	v_lshlrev_b64 v[42:43], v55, v[8:9]
	v_sub_u32_e32 v0, 29, v0
	v_and_b32_e32 v55, 7, v42
	v_cndmask_b32_e32 v0, v9, v0, vcc
	v_cndmask_b32_e32 v5, v5, v55, vcc
	v_lshlrev_b32_e32 v8, 24, v8
	v_lshlrev_b32_e32 v5, 20, v5
	v_and_b32_e32 v8, 0x80000000, v8
	v_lshl_add_u32 v0, v0, 23, v54
	v_or3_b32 v5, v8, v0, v5
.LBB4_5514:                             ;   in Loop: Header=BB4_4915 Depth=3
	s_or_b64 exec, exec, s[46:47]
.LBB4_5515:                             ;   in Loop: Header=BB4_4915 Depth=3
	s_or_b64 exec, exec, s[42:43]
.LBB4_5516:                             ;   in Loop: Header=BB4_4915 Depth=3
	s_or_b64 exec, exec, s[44:45]
	v_cmp_gt_i16_sdwa s[44:45], v2, s81 src0_sel:BYTE_0 src1_sel:DWORD
	s_mov_b64 s[42:43], 0
	s_and_saveexec_b64 s[46:47], s[44:45]
	s_xor_b64 s[44:45], exec, s[46:47]
	s_cbranch_execz .LBB4_5620
; %bb.5517:                             ;   in Loop: Header=BB4_4915 Depth=3
	v_cmp_eq_u16_sdwa vcc, v2, s80 src0_sel:BYTE_0 src1_sel:DWORD
	s_mov_b64 s[42:43], -1
	s_and_saveexec_b64 s[46:47], vcc
; %bb.5518:                             ;   in Loop: Header=BB4_4915 Depth=3
	s_xor_b64 s[42:43], exec, -1
; %bb.5519:                             ;   in Loop: Header=BB4_4915 Depth=3
	s_or_b64 exec, exec, s[46:47]
	s_and_b64 s[42:43], s[42:43], exec
                                        ; implicit-def: $vgpr2
	s_or_saveexec_b64 s[44:45], s[44:45]
	v_bfrev_b32_e32 v0, 1
	s_xor_b64 exec, exec, s[44:45]
	s_cbranch_execnz .LBB4_5621
.LBB4_5520:                             ;   in Loop: Header=BB4_4915 Depth=3
	s_or_b64 exec, exec, s[44:45]
	s_and_saveexec_b64 s[44:45], s[42:43]
.LBB4_5521:                             ;   in Loop: Header=BB4_4915 Depth=3
	v_mov_b32_e32 v0, 0x7f800001
	v_cndmask_b32_e64 v0, v4, v0, s[40:41]
.LBB4_5522:                             ;   in Loop: Header=BB4_4915 Depth=3
	s_or_b64 exec, exec, s[44:45]
	v_max_f32_e32 v0, v0, v0
	v_max_f32_e32 v2, v5, v5
	v_min_f32_e32 v5, v2, v0
.LBB4_5523:                             ;   in Loop: Header=BB4_4915 Depth=3
	v_and_b32_e32 v2, 0x7f800000, v5
	v_cmp_ne_u64_e32 vcc, s[76:77], v[2:3]
                                        ; implicit-def: $vgpr55
	s_and_saveexec_b64 s[40:41], vcc
	s_xor_b64 s[42:43], exec, s[40:41]
	s_cbranch_execz .LBB4_5537
; %bb.5524:                             ;   in Loop: Header=BB4_4915 Depth=3
	v_and_b32_e32 v2, 0x7fffffff, v5
	v_cmp_gt_u64_e32 vcc, s[78:79], v[2:3]
	v_and_b32_sdwa v42, v5, s80 dst_sel:DWORD dst_unused:UNUSED_PAD src0_sel:BYTE_3 src1_sel:DWORD
                                        ; implicit-def: $vgpr55
	s_and_saveexec_b64 s[40:41], vcc
	s_xor_b64 s[44:45], exec, s[40:41]
	s_cbranch_execz .LBB4_5534
; %bb.5525:                             ;   in Loop: Header=BB4_4915 Depth=3
	v_mov_b32_e32 v55, 0
	v_cmp_ne_u32_e32 vcc, 0, v5
	s_and_saveexec_b64 s[46:47], vcc
	s_cbranch_execz .LBB4_5533
; %bb.5526:                             ;   in Loop: Header=BB4_4915 Depth=3
	v_bfe_u32 v55, v5, 23, 8
	v_cmp_gt_u32_e64 s[40:41], s83, v55
	v_sub_u32_e32 v2, 0x79, v55
	v_and_b32_e32 v0, 0x7fffff, v5
	v_cmp_eq_u32_e32 vcc, 0, v55
	v_cndmask_b32_e64 v2, 0, v2, s[40:41]
	v_mov_b32_e32 v5, 0x78
	v_or_b32_e32 v4, 0x800000, v0
	v_cndmask_b32_e32 v43, v2, v5, vcc
	v_cndmask_b32_e32 v2, v4, v0, vcc
	v_add_u32_e32 v0, 20, v43
	v_lshlrev_b64 v[4:5], v0, -1
	v_add_u32_e32 v0, 19, v43
	v_lshlrev_b64 v[8:9], v0, 1
	v_bfi_b32 v5, v5, 0, 0
	v_bfi_b32 v4, v4, 0, v2
	v_cmp_eq_u64_e64 s[40:41], v[4:5], v[8:9]
	v_lshrrev_b64 v[8:9], v43, v[2:3]
	v_mov_b32_e32 v4, v8
	v_mov_b32_e32 v5, v9
	s_and_saveexec_b64 s[54:55], s[40:41]
; %bb.5527:                             ;   in Loop: Header=BB4_4915 Depth=3
	v_bfe_u32 v0, v8, 20, 1
	v_add_co_u32_e64 v0, s[40:41], v8, v0
	v_add_co_u32_e64 v4, s[40:41], -1, v0
; %bb.5528:                             ;   in Loop: Header=BB4_4915 Depth=3
	s_or_b64 exec, exec, s[54:55]
	v_add_u32_e32 v0, 0xffffff81, v55
	v_mov_b32_e32 v2, 0xffffff82
	v_cndmask_b32_e32 v0, v0, v2, vcc
	v_lshrrev_b32_e32 v2, 23, v8
	v_add3_u32 v5, v43, v0, v2
	v_add_u32_e32 v0, 6, v5
	v_and_b32_e32 v2, 0xfffff, v4
	v_add_u32_e32 v2, v2, v8
	v_cmp_ne_u32_e32 vcc, 0, v0
                                        ; implicit-def: $vgpr8_vgpr9
                                        ; implicit-def: $vgpr4
	s_and_saveexec_b64 s[40:41], vcc
	s_xor_b64 s[40:41], exec, s[40:41]
; %bb.5529:                             ;   in Loop: Header=BB4_4915 Depth=3
	v_cmp_lt_u64_e32 vcc, s[88:89], v[2:3]
	v_add_u32_e32 v4, 7, v5
	v_cndmask_b32_e32 v4, v0, v4, vcc
	v_cndmask_b32_e64 v0, 0, 1, vcc
	v_lshrrev_b64 v[8:9], v0, v[2:3]
; %bb.5530:                             ;   in Loop: Header=BB4_4915 Depth=3
	s_andn2_saveexec_b64 s[40:41], s[40:41]
; %bb.5531:                             ;   in Loop: Header=BB4_4915 Depth=3
	v_mov_b32_e32 v9, v3
	v_bfe_u32 v4, v2, 23, 1
	v_mov_b32_e32 v8, v2
; %bb.5532:                             ;   in Loop: Header=BB4_4915 Depth=3
	s_or_b64 exec, exec, s[40:41]
	v_lshrrev_b64 v[8:9], 20, v[8:9]
	v_cmp_gt_i32_e32 vcc, 16, v4
	v_cndmask_b32_e32 v9, 0, v9, vcc
	v_cndmask_b32_e32 v8, 7, v8, vcc
	v_min_i32_e32 v0, 15, v4
	v_cmp_eq_u64_e64 s[40:41], 0, v[8:9]
	v_lshlrev_b32_e32 v0, 3, v0
	v_cmp_eq_u32_e32 vcc, 0, v4
	v_and_b32_e32 v0, 0xf8, v0
	v_and_or_b32 v0, v8, 7, v0
	s_and_b64 s[40:41], vcc, s[40:41]
	v_cndmask_b32_e64 v0, v0, 0, s[40:41]
	v_or_b32_e32 v55, v0, v42
.LBB4_5533:                             ;   in Loop: Header=BB4_4915 Depth=3
	s_or_b64 exec, exec, s[46:47]
                                        ; implicit-def: $vgpr42
.LBB4_5534:                             ;   in Loop: Header=BB4_4915 Depth=3
	s_andn2_saveexec_b64 s[40:41], s[44:45]
; %bb.5535:                             ;   in Loop: Header=BB4_4915 Depth=3
	v_or_b32_e32 v55, 0x7e, v42
; %bb.5536:                             ;   in Loop: Header=BB4_4915 Depth=3
	s_or_b64 exec, exec, s[40:41]
                                        ; implicit-def: $vgpr5
.LBB4_5537:                             ;   in Loop: Header=BB4_4915 Depth=3
	s_andn2_saveexec_b64 s[40:41], s[42:43]
; %bb.5538:                             ;   in Loop: Header=BB4_4915 Depth=3
	v_or_b32_sdwa v55, v5, s81 dst_sel:DWORD dst_unused:UNUSED_PAD src0_sel:BYTE_3 src1_sel:DWORD
; %bb.5539:                             ;   in Loop: Header=BB4_4915 Depth=3
	s_or_b64 exec, exec, s[40:41]
	v_bfe_u32 v8, v15, 24, 3
	v_bfe_u32 v4, v15, 24, 7
	v_cmp_eq_u32_e64 s[44:45], s81, v4
	v_cmp_gt_u32_e32 vcc, 8, v4
	v_ffbh_u32_e32 v4, v8
	v_cmp_gt_u64_e64 s[40:41], s[60:61], v[14:15]
	v_min_u32_e32 v14, 32, v4
	v_lshrrev_b32_e32 v0, 24, v15
	v_subrev_u32_e32 v4, 28, v14
	v_lshlrev_b64 v[4:5], v4, v[0:1]
	v_bfe_u32 v9, v0, 3, 4
	v_cmp_eq_u32_e64 s[42:43], s80, v0
	v_sub_u32_e32 v0, 29, v14
	v_and_b32_e32 v4, 7, v4
	v_cndmask_b32_e32 v0, v9, v0, vcc
	v_cndmask_b32_e32 v4, v8, v4, vcc
	v_lshlrev_b32_e32 v4, 20, v4
	v_and_b32_e32 v5, 0x80000000, v15
	v_lshl_add_u32 v0, v0, 23, v54
	v_cmp_lt_u64_e64 s[46:47], s[62:63], v[10:11]
	v_lshrrev_b32_e32 v2, 24, v11
	v_or3_b32 v4, v5, v0, v4
	s_mov_b64 s[54:55], -1
	s_and_b64 vcc, exec, s[52:53]
                                        ; implicit-def: $vgpr5
	s_cbranch_vccz .LBB4_5547
; %bb.5540:                             ;   in Loop: Header=BB4_4915 Depth=3
	v_mov_b32_e32 v0, 0
	s_and_saveexec_b64 s[54:55], s[46:47]
	s_cbranch_execz .LBB4_5546
; %bb.5541:                             ;   in Loop: Header=BB4_4915 Depth=3
	v_cmp_ne_u32_e32 vcc, s80, v2
	v_bfrev_b32_e32 v0, 1
	s_and_saveexec_b64 s[64:65], vcc
	s_cbranch_execz .LBB4_5545
; %bb.5542:                             ;   in Loop: Header=BB4_4915 Depth=3
	v_bfe_u32 v5, v11, 24, 7
	v_cmp_ne_u32_e32 vcc, s81, v5
	v_mov_b32_e32 v0, 0x7f800001
	s_and_saveexec_b64 s[66:67], vcc
	s_cbranch_execz .LBB4_5544
; %bb.5543:                             ;   in Loop: Header=BB4_4915 Depth=3
	v_and_b32_e32 v0, 7, v2
	v_lshrrev_b32_e32 v10, 3, v5
	v_cmp_gt_u32_e32 vcc, 8, v5
	v_ffbh_u32_e32 v5, v0
	v_min_u32_e32 v5, 32, v5
	v_subrev_u32_e32 v8, 28, v5
	v_lshlrev_b64 v[8:9], v8, v[2:3]
	v_sub_u32_e32 v5, 29, v5
	v_and_b32_e32 v8, 7, v8
	v_cndmask_b32_e32 v5, v10, v5, vcc
	v_cndmask_b32_e32 v0, v0, v8, vcc
	v_lshlrev_b32_e32 v8, 24, v2
	v_lshlrev_b32_e32 v0, 20, v0
	v_and_b32_e32 v8, 0x80000000, v8
	v_lshl_add_u32 v5, v5, 23, v54
	v_or3_b32 v0, v8, v5, v0
.LBB4_5544:                             ;   in Loop: Header=BB4_4915 Depth=3
	s_or_b64 exec, exec, s[66:67]
.LBB4_5545:                             ;   in Loop: Header=BB4_4915 Depth=3
	s_or_b64 exec, exec, s[64:65]
.LBB4_5546:                             ;   in Loop: Header=BB4_4915 Depth=3
	s_or_b64 exec, exec, s[54:55]
	v_mov_b32_e32 v5, 0x7f800001
	v_cndmask_b32_e64 v5, v4, v5, s[44:45]
	v_bfrev_b32_e32 v8, 1
	v_cndmask_b32_e64 v5, v5, v8, s[42:43]
	v_cndmask_b32_e64 v5, v5, 0, s[40:41]
	v_max_f32_e32 v5, v5, v5
	v_max_f32_e32 v0, v0, v0
	;; [unrolled: 1-line block ×3, first 2 shown]
	s_mov_b64 s[54:55], 0
.LBB4_5547:                             ;   in Loop: Header=BB4_4915 Depth=3
	s_and_b64 vcc, exec, s[54:55]
	s_cbranch_vccz .LBB4_5555
; %bb.5548:                             ;   in Loop: Header=BB4_4915 Depth=3
	v_mov_b32_e32 v0, 0
	s_and_saveexec_b64 s[54:55], s[46:47]
	s_cbranch_execz .LBB4_5554
; %bb.5549:                             ;   in Loop: Header=BB4_4915 Depth=3
	v_cmp_ne_u32_e32 vcc, s80, v2
	v_bfrev_b32_e32 v0, 1
	s_and_saveexec_b64 s[46:47], vcc
	s_cbranch_execz .LBB4_5553
; %bb.5550:                             ;   in Loop: Header=BB4_4915 Depth=3
	v_bfe_u32 v5, v11, 24, 7
	v_cmp_ne_u32_e32 vcc, s81, v5
	v_mov_b32_e32 v0, 0x7f800001
	s_and_saveexec_b64 s[64:65], vcc
	s_cbranch_execz .LBB4_5552
; %bb.5551:                             ;   in Loop: Header=BB4_4915 Depth=3
	v_and_b32_e32 v0, 7, v2
	v_lshrrev_b32_e32 v10, 3, v5
	v_cmp_gt_u32_e32 vcc, 8, v5
	v_ffbh_u32_e32 v5, v0
	v_min_u32_e32 v5, 32, v5
	v_subrev_u32_e32 v8, 28, v5
	v_lshlrev_b64 v[8:9], v8, v[2:3]
	v_sub_u32_e32 v5, 29, v5
	v_and_b32_e32 v8, 7, v8
	v_cndmask_b32_e32 v5, v10, v5, vcc
	v_cndmask_b32_e32 v0, v0, v8, vcc
	v_lshlrev_b32_e32 v2, 24, v2
	v_lshlrev_b32_e32 v0, 20, v0
	v_and_b32_e32 v2, 0x80000000, v2
	v_lshl_add_u32 v5, v5, 23, v54
	v_or3_b32 v0, v2, v5, v0
.LBB4_5552:                             ;   in Loop: Header=BB4_4915 Depth=3
	s_or_b64 exec, exec, s[64:65]
.LBB4_5553:                             ;   in Loop: Header=BB4_4915 Depth=3
	s_or_b64 exec, exec, s[46:47]
.LBB4_5554:                             ;   in Loop: Header=BB4_4915 Depth=3
	s_or_b64 exec, exec, s[54:55]
	v_mov_b32_e32 v2, 0x7f800001
	v_cndmask_b32_e64 v2, v4, v2, s[44:45]
	v_bfrev_b32_e32 v4, 1
	v_cndmask_b32_e64 v2, v2, v4, s[42:43]
	v_cndmask_b32_e64 v2, v2, 0, s[40:41]
	v_max_f32_e32 v2, v2, v2
	v_max_f32_e32 v0, v0, v0
	v_min_f32_e32 v5, v0, v2
.LBB4_5555:                             ;   in Loop: Header=BB4_4915 Depth=3
	v_and_b32_e32 v2, 0x7f800000, v5
	v_cmp_ne_u64_e32 vcc, s[76:77], v[2:3]
                                        ; implicit-def: $vgpr2
	s_and_saveexec_b64 s[40:41], vcc
	s_xor_b64 s[42:43], exec, s[40:41]
	s_cbranch_execz .LBB4_5569
; %bb.5556:                             ;   in Loop: Header=BB4_4915 Depth=3
	v_and_b32_e32 v2, 0x7fffffff, v5
	v_cmp_gt_u64_e32 vcc, s[78:79], v[2:3]
	v_and_b32_sdwa v10, v5, s80 dst_sel:DWORD dst_unused:UNUSED_PAD src0_sel:BYTE_3 src1_sel:DWORD
                                        ; implicit-def: $vgpr2
	s_and_saveexec_b64 s[40:41], vcc
	s_xor_b64 s[44:45], exec, s[40:41]
	s_cbranch_execz .LBB4_5566
; %bb.5557:                             ;   in Loop: Header=BB4_4915 Depth=3
	v_mov_b32_e32 v2, 0
	v_cmp_ne_u32_e32 vcc, 0, v5
	s_and_saveexec_b64 s[46:47], vcc
	s_cbranch_execz .LBB4_5565
; %bb.5558:                             ;   in Loop: Header=BB4_4915 Depth=3
	v_bfe_u32 v11, v5, 23, 8
	v_cmp_gt_u32_e64 s[40:41], s83, v11
	v_sub_u32_e32 v2, 0x79, v11
	v_and_b32_e32 v0, 0x7fffff, v5
	v_cmp_eq_u32_e32 vcc, 0, v11
	v_cndmask_b32_e64 v2, 0, v2, s[40:41]
	v_mov_b32_e32 v5, 0x78
	v_or_b32_e32 v4, 0x800000, v0
	v_cndmask_b32_e32 v14, v2, v5, vcc
	v_cndmask_b32_e32 v2, v4, v0, vcc
	v_add_u32_e32 v0, 20, v14
	v_lshlrev_b64 v[4:5], v0, -1
	v_add_u32_e32 v0, 19, v14
	v_lshlrev_b64 v[8:9], v0, 1
	v_bfi_b32 v5, v5, 0, 0
	v_bfi_b32 v4, v4, 0, v2
	v_cmp_eq_u64_e64 s[40:41], v[4:5], v[8:9]
	v_lshrrev_b64 v[8:9], v14, v[2:3]
	v_mov_b32_e32 v4, v8
	v_mov_b32_e32 v5, v9
	s_and_saveexec_b64 s[54:55], s[40:41]
; %bb.5559:                             ;   in Loop: Header=BB4_4915 Depth=3
	v_bfe_u32 v0, v8, 20, 1
	v_add_co_u32_e64 v0, s[40:41], v8, v0
	v_add_co_u32_e64 v4, s[40:41], -1, v0
; %bb.5560:                             ;   in Loop: Header=BB4_4915 Depth=3
	s_or_b64 exec, exec, s[54:55]
	v_add_u32_e32 v0, 0xffffff81, v11
	v_mov_b32_e32 v2, 0xffffff82
	v_cndmask_b32_e32 v0, v0, v2, vcc
	v_lshrrev_b32_e32 v2, 23, v8
	v_add3_u32 v5, v14, v0, v2
	v_add_u32_e32 v0, 6, v5
	v_and_b32_e32 v2, 0xfffff, v4
	v_add_u32_e32 v2, v2, v8
	v_cmp_ne_u32_e32 vcc, 0, v0
                                        ; implicit-def: $vgpr8_vgpr9
                                        ; implicit-def: $vgpr4
	s_and_saveexec_b64 s[40:41], vcc
	s_xor_b64 s[40:41], exec, s[40:41]
; %bb.5561:                             ;   in Loop: Header=BB4_4915 Depth=3
	v_cmp_lt_u64_e32 vcc, s[88:89], v[2:3]
	v_add_u32_e32 v4, 7, v5
	v_cndmask_b32_e32 v4, v0, v4, vcc
	v_cndmask_b32_e64 v0, 0, 1, vcc
	v_lshrrev_b64 v[8:9], v0, v[2:3]
; %bb.5562:                             ;   in Loop: Header=BB4_4915 Depth=3
	s_andn2_saveexec_b64 s[40:41], s[40:41]
; %bb.5563:                             ;   in Loop: Header=BB4_4915 Depth=3
	v_mov_b32_e32 v9, v3
	v_bfe_u32 v4, v2, 23, 1
	v_mov_b32_e32 v8, v2
; %bb.5564:                             ;   in Loop: Header=BB4_4915 Depth=3
	s_or_b64 exec, exec, s[40:41]
	v_lshrrev_b64 v[8:9], 20, v[8:9]
	v_cmp_gt_i32_e32 vcc, 16, v4
	v_cndmask_b32_e32 v9, 0, v9, vcc
	v_cndmask_b32_e32 v8, 7, v8, vcc
	v_min_i32_e32 v0, 15, v4
	v_cmp_eq_u64_e64 s[40:41], 0, v[8:9]
	v_lshlrev_b32_e32 v0, 3, v0
	v_cmp_eq_u32_e32 vcc, 0, v4
	v_and_b32_e32 v0, 0xf8, v0
	v_and_or_b32 v0, v8, 7, v0
	s_and_b64 s[40:41], vcc, s[40:41]
	v_cndmask_b32_e64 v0, v0, 0, s[40:41]
	v_or_b32_e32 v2, v0, v10
.LBB4_5565:                             ;   in Loop: Header=BB4_4915 Depth=3
	s_or_b64 exec, exec, s[46:47]
                                        ; implicit-def: $vgpr10
.LBB4_5566:                             ;   in Loop: Header=BB4_4915 Depth=3
	s_andn2_saveexec_b64 s[40:41], s[44:45]
; %bb.5567:                             ;   in Loop: Header=BB4_4915 Depth=3
	v_or_b32_e32 v2, 0x7e, v10
; %bb.5568:                             ;   in Loop: Header=BB4_4915 Depth=3
	s_or_b64 exec, exec, s[40:41]
                                        ; implicit-def: $vgpr5
.LBB4_5569:                             ;   in Loop: Header=BB4_4915 Depth=3
	s_andn2_saveexec_b64 s[40:41], s[42:43]
; %bb.5570:                             ;   in Loop: Header=BB4_4915 Depth=3
	v_or_b32_sdwa v2, v5, s81 dst_sel:DWORD dst_unused:UNUSED_PAD src0_sel:BYTE_3 src1_sel:DWORD
; %bb.5571:                             ;   in Loop: Header=BB4_4915 Depth=3
	s_or_b64 exec, exec, s[40:41]
	v_lshl_or_b32 v0, v36, 8, v22
	v_lshlrev_b32_e32 v4, 16, v20
	v_lshlrev_b32_e32 v5, 24, v21
	v_or3_b32 v9, v0, v4, v5
	v_lshl_or_b32 v0, v34, 8, v31
	v_lshlrev_b32_e32 v4, 16, v35
	v_lshlrev_b32_e32 v5, 24, v6
	v_or3_b32 v8, v0, v4, v5
	;; [unrolled: 4-line block ×3, first 2 shown]
	v_lshlrev_b32_e32 v0, 24, v2
	v_lshlrev_b32_e32 v2, 16, v55
	v_lshl_or_b32 v4, v12, 8, v13
	v_or3_b32 v11, v4, v2, v0
	s_mov_b64 s[46:47], 0
	s_mov_b64 s[44:45], -1
.LBB4_5572:                             ;   Parent Loop BB4_47 Depth=1
                                        ;     Parent Loop BB4_3419 Depth=2
                                        ;       Parent Loop BB4_4915 Depth=3
                                        ; =>      This Inner Loop Header: Depth=4
	s_cmp_eq_u32 s46, 1
	s_cselect_b64 s[40:41], -1, 0
	v_cndmask_b32_e64 v4, v27, v29, s[40:41]
	v_cndmask_b32_e64 v5, v28, v30, s[40:41]
	v_add_co_u32_e32 v0, vcc, 0x400, v4
	s_cmp_eq_u32 s46, 0
	v_addc_co_u32_e32 v2, vcc, 0, v5, vcc
	s_cselect_b64 vcc, -1, 0
	s_and_b64 s[42:43], exec, s[44:45]
	s_mov_b64 s[46:47], 1
	v_cndmask_b32_e64 v29, v29, v0, s[40:41]
	s_mov_b64 s[44:45], 0
	v_cndmask_b32_e64 v30, v30, v2, s[40:41]
	v_cndmask_b32_e32 v28, v28, v2, vcc
	v_cndmask_b32_e32 v27, v27, v0, vcc
	s_mov_b64 vcc, s[42:43]
	global_store_dwordx4 v[4:5], v[8:11], off glc slc
	s_cbranch_vccnz .LBB4_5572
; %bb.5573:                             ;   in Loop: Header=BB4_4915 Depth=3
	buffer_load_dword v0, off, s[0:3], s33 offset:148 ; 4-byte Folded Reload
	buffer_load_dword v2, off, s[0:3], s33 offset:152 ; 4-byte Folded Reload
	v_sub_u32_e32 v25, v25, v41
	s_waitcnt vmcnt(1)
	v_add_co_u32_e32 v16, vcc, v16, v0
	s_waitcnt vmcnt(0)
	v_addc_co_u32_e32 v17, vcc, v17, v2, vcc
	v_add_co_u32_e32 v18, vcc, v18, v0
	buffer_load_dword v0, off, s[0:3], s33 offset:140 ; 4-byte Folded Reload
	v_addc_co_u32_e32 v19, vcc, v19, v2, vcc
	buffer_load_dword v2, off, s[0:3], s33 offset:144 ; 4-byte Folded Reload
	s_waitcnt vmcnt(1)
	v_add_co_u32_e32 v27, vcc, v27, v0
	s_waitcnt vmcnt(0)
	v_addc_co_u32_e32 v28, vcc, v28, v2, vcc
	v_add_co_u32_e32 v29, vcc, v29, v0
	buffer_load_dword v0, off, s[0:3], s33 offset:64 ; 4-byte Folded Reload
	v_addc_co_u32_e32 v30, vcc, v30, v2, vcc
	s_waitcnt vmcnt(0)
	v_sub_u32_e32 v26, v26, v0
	v_cmp_gt_i32_e32 vcc, 16, v26
	s_or_b64 s[50:51], vcc, s[50:51]
	s_andn2_b64 exec, exec, s[50:51]
	s_cbranch_execnz .LBB4_4915
	s_branch .LBB4_5622
.LBB4_5574:                             ;   in Loop: Header=BB4_4915 Depth=3
	s_or_saveexec_b64 s[46:47], s[46:47]
	v_bfrev_b32_e32 v0, 1
	s_xor_b64 exec, exec, s[46:47]
	s_cbranch_execz .LBB4_4926
.LBB4_5575:                             ;   in Loop: Header=BB4_4915 Depth=3
	v_cmp_ne_u16_sdwa vcc, v12, v3 src0_sel:BYTE_0 src1_sel:DWORD
	s_andn2_b64 s[44:45], s[44:45], exec
	s_and_b64 vcc, vcc, exec
	v_mov_b32_e32 v0, 0
	s_or_b64 s[44:45], s[44:45], vcc
	s_or_b64 exec, exec, s[46:47]
	s_and_saveexec_b64 s[46:47], s[44:45]
	s_cbranch_execnz .LBB4_4927
	s_branch .LBB4_4928
.LBB4_5576:                             ;   in Loop: Header=BB4_4915 Depth=3
	s_or_saveexec_b64 s[44:45], s[44:45]
	v_bfrev_b32_e32 v0, 1
	s_xor_b64 exec, exec, s[44:45]
	s_cbranch_execz .LBB4_4940
.LBB4_5577:                             ;   in Loop: Header=BB4_4915 Depth=3
	v_cmp_ne_u16_sdwa s[46:47], v12, v3 src0_sel:BYTE_0 src1_sel:DWORD
	s_andn2_b64 s[42:43], s[42:43], exec
	s_and_b64 s[46:47], s[46:47], exec
	v_mov_b32_e32 v0, 0
	s_or_b64 s[42:43], s[42:43], s[46:47]
	s_or_b64 exec, exec, s[44:45]
	s_and_saveexec_b64 s[44:45], s[42:43]
	s_cbranch_execnz .LBB4_4941
	s_branch .LBB4_4942
.LBB4_5578:                             ;   in Loop: Header=BB4_4915 Depth=3
	s_or_saveexec_b64 s[46:47], s[46:47]
	v_bfrev_b32_e32 v0, 1
	s_xor_b64 exec, exec, s[46:47]
	s_cbranch_execz .LBB4_4970
.LBB4_5579:                             ;   in Loop: Header=BB4_4915 Depth=3
	v_cmp_ne_u16_e32 vcc, 0, v2
	s_andn2_b64 s[44:45], s[44:45], exec
	s_and_b64 vcc, vcc, exec
	v_mov_b32_e32 v0, 0
	s_or_b64 s[44:45], s[44:45], vcc
	s_or_b64 exec, exec, s[46:47]
	s_and_saveexec_b64 s[46:47], s[44:45]
	s_cbranch_execnz .LBB4_4971
	s_branch .LBB4_4972
.LBB4_5580:                             ;   in Loop: Header=BB4_4915 Depth=3
	s_or_saveexec_b64 s[44:45], s[44:45]
	v_bfrev_b32_e32 v0, 1
	s_xor_b64 exec, exec, s[44:45]
	s_cbranch_execz .LBB4_4984
.LBB4_5581:                             ;   in Loop: Header=BB4_4915 Depth=3
	v_cmp_ne_u16_e32 vcc, 0, v2
	s_andn2_b64 s[42:43], s[42:43], exec
	s_and_b64 s[46:47], vcc, exec
	v_mov_b32_e32 v0, 0
	s_or_b64 s[42:43], s[42:43], s[46:47]
	s_or_b64 exec, exec, s[44:45]
	s_and_saveexec_b64 s[44:45], s[42:43]
	s_cbranch_execnz .LBB4_4985
	s_branch .LBB4_4986
.LBB4_5582:                             ;   in Loop: Header=BB4_4915 Depth=3
	s_or_saveexec_b64 s[46:47], s[46:47]
	v_bfrev_b32_e32 v0, 1
	s_xor_b64 exec, exec, s[46:47]
	s_cbranch_execz .LBB4_5014
.LBB4_5583:                             ;   in Loop: Header=BB4_4915 Depth=3
	v_cmp_ne_u16_sdwa vcc, v2, v3 src0_sel:BYTE_0 src1_sel:DWORD
	s_andn2_b64 s[44:45], s[44:45], exec
	s_and_b64 vcc, vcc, exec
	v_mov_b32_e32 v0, 0
	s_or_b64 s[44:45], s[44:45], vcc
	s_or_b64 exec, exec, s[46:47]
	s_and_saveexec_b64 s[46:47], s[44:45]
	s_cbranch_execnz .LBB4_5015
	s_branch .LBB4_5016
.LBB4_5584:                             ;   in Loop: Header=BB4_4915 Depth=3
	s_or_saveexec_b64 s[44:45], s[44:45]
	v_bfrev_b32_e32 v0, 1
	s_xor_b64 exec, exec, s[44:45]
	s_cbranch_execz .LBB4_5028
.LBB4_5585:                             ;   in Loop: Header=BB4_4915 Depth=3
	v_cmp_ne_u16_sdwa s[46:47], v2, v3 src0_sel:BYTE_0 src1_sel:DWORD
	s_andn2_b64 s[42:43], s[42:43], exec
	s_and_b64 s[46:47], s[46:47], exec
	v_mov_b32_e32 v0, 0
	s_or_b64 s[42:43], s[42:43], s[46:47]
	s_or_b64 exec, exec, s[44:45]
	s_and_saveexec_b64 s[44:45], s[42:43]
	s_cbranch_execnz .LBB4_5029
	s_branch .LBB4_5030
.LBB4_5586:                             ;   in Loop: Header=BB4_4915 Depth=3
	s_or_saveexec_b64 s[46:47], s[46:47]
	v_bfrev_b32_e32 v0, 1
	s_xor_b64 exec, exec, s[46:47]
	s_cbranch_execz .LBB4_5090
.LBB4_5587:                             ;   in Loop: Header=BB4_4915 Depth=3
	v_cmp_ne_u16_sdwa vcc, v13, v3 src0_sel:BYTE_0 src1_sel:DWORD
	s_andn2_b64 s[44:45], s[44:45], exec
	s_and_b64 vcc, vcc, exec
	v_mov_b32_e32 v0, 0
	s_or_b64 s[44:45], s[44:45], vcc
	s_or_b64 exec, exec, s[46:47]
	s_and_saveexec_b64 s[46:47], s[44:45]
	s_cbranch_execnz .LBB4_5091
	s_branch .LBB4_5092
.LBB4_5588:                             ;   in Loop: Header=BB4_4915 Depth=3
	s_or_saveexec_b64 s[44:45], s[44:45]
	v_bfrev_b32_e32 v0, 1
	s_xor_b64 exec, exec, s[44:45]
	s_cbranch_execz .LBB4_5104
.LBB4_5589:                             ;   in Loop: Header=BB4_4915 Depth=3
	v_cmp_ne_u16_sdwa s[46:47], v13, v3 src0_sel:BYTE_0 src1_sel:DWORD
	s_andn2_b64 s[42:43], s[42:43], exec
	s_and_b64 s[46:47], s[46:47], exec
	v_mov_b32_e32 v0, 0
	s_or_b64 s[42:43], s[42:43], s[46:47]
	s_or_b64 exec, exec, s[44:45]
	s_and_saveexec_b64 s[44:45], s[42:43]
	s_cbranch_execnz .LBB4_5105
	s_branch .LBB4_5106
.LBB4_5590:                             ;   in Loop: Header=BB4_4915 Depth=3
	s_or_saveexec_b64 s[46:47], s[46:47]
	v_bfrev_b32_e32 v0, 1
	s_xor_b64 exec, exec, s[46:47]
	s_cbranch_execz .LBB4_5134
.LBB4_5591:                             ;   in Loop: Header=BB4_4915 Depth=3
	v_cmp_ne_u16_e32 vcc, 0, v2
	s_andn2_b64 s[44:45], s[44:45], exec
	s_and_b64 vcc, vcc, exec
	v_mov_b32_e32 v0, 0
	s_or_b64 s[44:45], s[44:45], vcc
	s_or_b64 exec, exec, s[46:47]
	s_and_saveexec_b64 s[46:47], s[44:45]
	s_cbranch_execnz .LBB4_5135
	s_branch .LBB4_5136
.LBB4_5592:                             ;   in Loop: Header=BB4_4915 Depth=3
	s_or_saveexec_b64 s[44:45], s[44:45]
	v_bfrev_b32_e32 v0, 1
	s_xor_b64 exec, exec, s[44:45]
	s_cbranch_execz .LBB4_5148
.LBB4_5593:                             ;   in Loop: Header=BB4_4915 Depth=3
	v_cmp_ne_u16_e32 vcc, 0, v2
	s_andn2_b64 s[42:43], s[42:43], exec
	s_and_b64 s[46:47], vcc, exec
	v_mov_b32_e32 v0, 0
	s_or_b64 s[42:43], s[42:43], s[46:47]
	s_or_b64 exec, exec, s[44:45]
	s_and_saveexec_b64 s[44:45], s[42:43]
	s_cbranch_execnz .LBB4_5149
	s_branch .LBB4_5150
.LBB4_5594:                             ;   in Loop: Header=BB4_4915 Depth=3
	s_or_saveexec_b64 s[46:47], s[46:47]
	v_bfrev_b32_e32 v0, 1
	s_xor_b64 exec, exec, s[46:47]
	s_cbranch_execz .LBB4_5178
.LBB4_5595:                             ;   in Loop: Header=BB4_4915 Depth=3
	v_cmp_ne_u16_sdwa vcc, v2, v3 src0_sel:BYTE_0 src1_sel:DWORD
	s_andn2_b64 s[44:45], s[44:45], exec
	s_and_b64 vcc, vcc, exec
	v_mov_b32_e32 v0, 0
	s_or_b64 s[44:45], s[44:45], vcc
	s_or_b64 exec, exec, s[46:47]
	s_and_saveexec_b64 s[46:47], s[44:45]
	s_cbranch_execnz .LBB4_5179
	s_branch .LBB4_5180
.LBB4_5596:                             ;   in Loop: Header=BB4_4915 Depth=3
	s_or_saveexec_b64 s[44:45], s[44:45]
	v_bfrev_b32_e32 v0, 1
	s_xor_b64 exec, exec, s[44:45]
	s_cbranch_execz .LBB4_5192
.LBB4_5597:                             ;   in Loop: Header=BB4_4915 Depth=3
	v_cmp_ne_u16_sdwa s[46:47], v2, v3 src0_sel:BYTE_0 src1_sel:DWORD
	s_andn2_b64 s[42:43], s[42:43], exec
	s_and_b64 s[46:47], s[46:47], exec
	v_mov_b32_e32 v0, 0
	s_or_b64 s[42:43], s[42:43], s[46:47]
	s_or_b64 exec, exec, s[44:45]
	s_and_saveexec_b64 s[44:45], s[42:43]
	s_cbranch_execnz .LBB4_5193
	s_branch .LBB4_5194
.LBB4_5598:                             ;   in Loop: Header=BB4_4915 Depth=3
	s_or_saveexec_b64 s[46:47], s[46:47]
	v_bfrev_b32_e32 v0, 1
	s_xor_b64 exec, exec, s[46:47]
	s_cbranch_execz .LBB4_5254
.LBB4_5599:                             ;   in Loop: Header=BB4_4915 Depth=3
	v_cmp_ne_u16_sdwa vcc, v14, v3 src0_sel:BYTE_0 src1_sel:DWORD
	s_andn2_b64 s[44:45], s[44:45], exec
	s_and_b64 vcc, vcc, exec
	v_mov_b32_e32 v0, 0
	s_or_b64 s[44:45], s[44:45], vcc
	s_or_b64 exec, exec, s[46:47]
	s_and_saveexec_b64 s[46:47], s[44:45]
	s_cbranch_execnz .LBB4_5255
	s_branch .LBB4_5256
.LBB4_5600:                             ;   in Loop: Header=BB4_4915 Depth=3
	s_or_saveexec_b64 s[44:45], s[44:45]
	v_bfrev_b32_e32 v0, 1
	s_xor_b64 exec, exec, s[44:45]
	s_cbranch_execz .LBB4_5268
.LBB4_5601:                             ;   in Loop: Header=BB4_4915 Depth=3
	v_cmp_ne_u16_sdwa s[46:47], v14, v3 src0_sel:BYTE_0 src1_sel:DWORD
	s_andn2_b64 s[42:43], s[42:43], exec
	s_and_b64 s[46:47], s[46:47], exec
	v_mov_b32_e32 v0, 0
	s_or_b64 s[42:43], s[42:43], s[46:47]
	s_or_b64 exec, exec, s[44:45]
	s_and_saveexec_b64 s[44:45], s[42:43]
	s_cbranch_execnz .LBB4_5269
	s_branch .LBB4_5270
.LBB4_5602:                             ;   in Loop: Header=BB4_4915 Depth=3
	s_or_saveexec_b64 s[46:47], s[46:47]
	v_bfrev_b32_e32 v0, 1
	s_xor_b64 exec, exec, s[46:47]
	s_cbranch_execz .LBB4_5298
.LBB4_5603:                             ;   in Loop: Header=BB4_4915 Depth=3
	v_cmp_ne_u16_e32 vcc, 0, v2
	s_andn2_b64 s[44:45], s[44:45], exec
	s_and_b64 vcc, vcc, exec
	v_mov_b32_e32 v0, 0
	s_or_b64 s[44:45], s[44:45], vcc
	s_or_b64 exec, exec, s[46:47]
	s_and_saveexec_b64 s[46:47], s[44:45]
	s_cbranch_execnz .LBB4_5299
	s_branch .LBB4_5300
.LBB4_5604:                             ;   in Loop: Header=BB4_4915 Depth=3
	s_or_saveexec_b64 s[44:45], s[44:45]
	v_bfrev_b32_e32 v0, 1
	s_xor_b64 exec, exec, s[44:45]
	s_cbranch_execz .LBB4_5312
.LBB4_5605:                             ;   in Loop: Header=BB4_4915 Depth=3
	v_cmp_ne_u16_e32 vcc, 0, v2
	s_andn2_b64 s[42:43], s[42:43], exec
	s_and_b64 s[46:47], vcc, exec
	v_mov_b32_e32 v0, 0
	s_or_b64 s[42:43], s[42:43], s[46:47]
	s_or_b64 exec, exec, s[44:45]
	s_and_saveexec_b64 s[44:45], s[42:43]
	s_cbranch_execnz .LBB4_5313
	s_branch .LBB4_5314
.LBB4_5606:                             ;   in Loop: Header=BB4_4915 Depth=3
	s_or_saveexec_b64 s[46:47], s[46:47]
	v_bfrev_b32_e32 v0, 1
	s_xor_b64 exec, exec, s[46:47]
	s_cbranch_execz .LBB4_5342
.LBB4_5607:                             ;   in Loop: Header=BB4_4915 Depth=3
	v_cmp_ne_u16_sdwa vcc, v2, v3 src0_sel:BYTE_0 src1_sel:DWORD
	s_andn2_b64 s[44:45], s[44:45], exec
	s_and_b64 vcc, vcc, exec
	v_mov_b32_e32 v0, 0
	s_or_b64 s[44:45], s[44:45], vcc
	s_or_b64 exec, exec, s[46:47]
	s_and_saveexec_b64 s[46:47], s[44:45]
	s_cbranch_execnz .LBB4_5343
	s_branch .LBB4_5344
.LBB4_5608:                             ;   in Loop: Header=BB4_4915 Depth=3
	s_or_saveexec_b64 s[44:45], s[44:45]
	v_bfrev_b32_e32 v0, 1
	s_xor_b64 exec, exec, s[44:45]
	s_cbranch_execz .LBB4_5356
.LBB4_5609:                             ;   in Loop: Header=BB4_4915 Depth=3
	v_cmp_ne_u16_sdwa s[46:47], v2, v3 src0_sel:BYTE_0 src1_sel:DWORD
	s_andn2_b64 s[42:43], s[42:43], exec
	s_and_b64 s[46:47], s[46:47], exec
	v_mov_b32_e32 v0, 0
	s_or_b64 s[42:43], s[42:43], s[46:47]
	s_or_b64 exec, exec, s[44:45]
	s_and_saveexec_b64 s[44:45], s[42:43]
	s_cbranch_execnz .LBB4_5357
	s_branch .LBB4_5358
.LBB4_5610:                             ;   in Loop: Header=BB4_4915 Depth=3
	s_or_saveexec_b64 s[46:47], s[46:47]
	v_bfrev_b32_e32 v0, 1
	s_xor_b64 exec, exec, s[46:47]
	s_cbranch_execz .LBB4_5418
.LBB4_5611:                             ;   in Loop: Header=BB4_4915 Depth=3
	v_cmp_ne_u16_sdwa vcc, v15, v3 src0_sel:BYTE_0 src1_sel:DWORD
	s_andn2_b64 s[44:45], s[44:45], exec
	s_and_b64 vcc, vcc, exec
	v_mov_b32_e32 v0, 0
	s_or_b64 s[44:45], s[44:45], vcc
	s_or_b64 exec, exec, s[46:47]
	s_and_saveexec_b64 s[46:47], s[44:45]
	s_cbranch_execnz .LBB4_5419
	s_branch .LBB4_5420
.LBB4_5612:                             ;   in Loop: Header=BB4_4915 Depth=3
	s_or_saveexec_b64 s[44:45], s[44:45]
	v_bfrev_b32_e32 v0, 1
	s_xor_b64 exec, exec, s[44:45]
	s_cbranch_execz .LBB4_5432
.LBB4_5613:                             ;   in Loop: Header=BB4_4915 Depth=3
	v_cmp_ne_u16_sdwa s[46:47], v15, v3 src0_sel:BYTE_0 src1_sel:DWORD
	s_andn2_b64 s[42:43], s[42:43], exec
	s_and_b64 s[46:47], s[46:47], exec
	v_mov_b32_e32 v0, 0
	s_or_b64 s[42:43], s[42:43], s[46:47]
	s_or_b64 exec, exec, s[44:45]
	s_and_saveexec_b64 s[44:45], s[42:43]
	s_cbranch_execnz .LBB4_5433
	s_branch .LBB4_5434
.LBB4_5614:                             ;   in Loop: Header=BB4_4915 Depth=3
	s_or_saveexec_b64 s[46:47], s[46:47]
	v_bfrev_b32_e32 v0, 1
	s_xor_b64 exec, exec, s[46:47]
	s_cbranch_execz .LBB4_5462
.LBB4_5615:                             ;   in Loop: Header=BB4_4915 Depth=3
	v_cmp_ne_u16_e32 vcc, 0, v8
	s_andn2_b64 s[44:45], s[44:45], exec
	s_and_b64 vcc, vcc, exec
	v_mov_b32_e32 v0, 0
	s_or_b64 s[44:45], s[44:45], vcc
	s_or_b64 exec, exec, s[46:47]
	s_and_saveexec_b64 s[46:47], s[44:45]
	s_cbranch_execnz .LBB4_5463
	s_branch .LBB4_5464
.LBB4_5616:                             ;   in Loop: Header=BB4_4915 Depth=3
	s_or_saveexec_b64 s[44:45], s[44:45]
	v_bfrev_b32_e32 v0, 1
	s_xor_b64 exec, exec, s[44:45]
	s_cbranch_execz .LBB4_5476
.LBB4_5617:                             ;   in Loop: Header=BB4_4915 Depth=3
	v_cmp_ne_u16_e32 vcc, 0, v8
	s_andn2_b64 s[42:43], s[42:43], exec
	s_and_b64 s[46:47], vcc, exec
	v_mov_b32_e32 v0, 0
	s_or_b64 s[42:43], s[42:43], s[46:47]
	s_or_b64 exec, exec, s[44:45]
	s_and_saveexec_b64 s[44:45], s[42:43]
	s_cbranch_execnz .LBB4_5477
	s_branch .LBB4_5478
.LBB4_5618:                             ;   in Loop: Header=BB4_4915 Depth=3
	s_or_saveexec_b64 s[46:47], s[46:47]
	v_bfrev_b32_e32 v0, 1
	s_xor_b64 exec, exec, s[46:47]
	s_cbranch_execz .LBB4_5506
.LBB4_5619:                             ;   in Loop: Header=BB4_4915 Depth=3
	v_cmp_ne_u16_sdwa vcc, v2, v3 src0_sel:BYTE_0 src1_sel:DWORD
	s_andn2_b64 s[44:45], s[44:45], exec
	s_and_b64 vcc, vcc, exec
	v_mov_b32_e32 v0, 0
	s_or_b64 s[44:45], s[44:45], vcc
	s_or_b64 exec, exec, s[46:47]
	s_and_saveexec_b64 s[46:47], s[44:45]
	s_cbranch_execnz .LBB4_5507
	s_branch .LBB4_5508
.LBB4_5620:                             ;   in Loop: Header=BB4_4915 Depth=3
	s_or_saveexec_b64 s[44:45], s[44:45]
	v_bfrev_b32_e32 v0, 1
	s_xor_b64 exec, exec, s[44:45]
	s_cbranch_execz .LBB4_5520
.LBB4_5621:                             ;   in Loop: Header=BB4_4915 Depth=3
	v_cmp_ne_u16_sdwa s[46:47], v2, v3 src0_sel:BYTE_0 src1_sel:DWORD
	s_andn2_b64 s[42:43], s[42:43], exec
	s_and_b64 s[46:47], s[46:47], exec
	v_mov_b32_e32 v0, 0
	s_or_b64 s[42:43], s[42:43], s[46:47]
	s_or_b64 exec, exec, s[44:45]
	s_and_saveexec_b64 s[44:45], s[42:43]
	s_cbranch_execnz .LBB4_5521
	s_branch .LBB4_5522
.LBB4_5622:                             ;   in Loop: Header=BB4_3419 Depth=2
	s_or_b64 exec, exec, s[50:51]
	buffer_load_dword v30, off, s[0:3], s33 offset:64 ; 4-byte Folded Reload
	v_mov_b32_e32 v10, v57
	v_mov_b32_e32 v11, v58
.LBB4_5623:                             ;   in Loop: Header=BB4_3419 Depth=2
	s_or_b64 exec, exec, s[48:49]
	v_mov_b32_e32 v21, v45
	v_and_b32_e32 v0, 15, v21
	v_cmp_lt_i32_e32 vcc, 0, v25
	v_sub_u32_e32 v2, v7, v0
	v_cndmask_b32_e64 v7, v7, v0, s[28:29]
	s_waitcnt vmcnt(0)
	v_cndmask_b32_e32 v0, 0, v41, vcc
	buffer_load_dword v41, off, s[0:3], s33 offset:200 ; 4-byte Folded Reload
	v_cndmask_b32_e64 v2, 0, v2, s[28:29]
	v_sub_u32_e32 v0, v0, v25
	v_cmp_ne_u32_e32 vcc, 0, v7
	v_add3_u32 v4, v1, v23, v2
	v_lshl_add_u32 v18, v0, 6, v24
	s_and_b64 s[28:29], vcc, exec
.LBB4_5624:                             ;   in Loop: Header=BB4_3419 Depth=2
	s_or_b64 exec, exec, s[38:39]
.LBB4_5625:                             ;   in Loop: Header=BB4_3419 Depth=2
	s_mov_b64 s[44:45], exec
	buffer_load_dword v57, off, s[0:3], s33 offset:68 ; 4-byte Folded Reload
	s_and_b64 s[28:29], s[44:45], s[28:29]
	s_mov_b64 exec, s[28:29]
	s_cbranch_execz .LBB4_6452
; %bb.5626:                             ;   in Loop: Header=BB4_3419 Depth=2
	s_waitcnt vmcnt(1)
	v_ashrrev_i32_e32 v0, 31, v18
	v_ashrrev_i32_e32 v1, 31, v7
	v_lshrrev_b32_e32 v0, 26, v0
	v_lshrrev_b32_e32 v1, 22, v1
	v_add_u32_e32 v0, v18, v0
	v_add_u32_e32 v1, v7, v1
	v_ashrrev_i32_e32 v2, 6, v0
	v_ashrrev_i32_e32 v1, 10, v1
	v_sub_u32_e32 v20, v1, v2
	v_cmp_lt_i32_e32 vcc, 0, v20
	s_and_saveexec_b64 s[42:43], vcc
	s_cbranch_execz .LBB4_6398
; %bb.5627:                             ;   in Loop: Header=BB4_3419 Depth=2
	v_and_b32_e32 v0, 0xffffffc0, v0
	buffer_store_dword v1, off, s[0:3], s33 offset:264 ; 4-byte Folded Spill
	buffer_store_dword v21, off, s[0:3], s33 offset:244 ; 4-byte Folded Spill
	v_sub_u32_e32 v0, v18, v0
	buffer_store_dword v2, off, s[0:3], s33 offset:180 ; 4-byte Folded Spill
	v_lshlrev_b32_e32 v1, 10, v2
	buffer_store_dword v4, off, s[0:3], s33 offset:172 ; 4-byte Folded Spill
	v_add3_u32 v2, v4, v0, v1
	buffer_load_dword v0, off, s[0:3], s33 offset:208 ; 4-byte Folded Reload
	buffer_load_dword v1, off, s[0:3], s33 offset:212 ; 4-byte Folded Reload
	v_ashrrev_i32_e32 v4, 31, v2
	s_trap 2
	s_bitcmp1_b32 s84, 0
	s_mov_b64 s[46:47], 0
	s_cselect_b64 s[38:39], -1, 0
	s_waitcnt vmcnt(1)
	v_add_co_u32_e32 v8, vcc, v2, v0
	s_waitcnt vmcnt(0)
	v_addc_co_u32_e32 v9, vcc, v4, v1, vcc
	ds_read_b64 v[0:1], v0
	buffer_load_dword v5, off, s[0:3], s33 offset:188 ; 4-byte Folded Reload
	buffer_load_dword v6, off, s[0:3], s33 offset:192 ; 4-byte Folded Reload
	v_add_co_u32_e32 v10, vcc, v2, v10
	v_addc_co_u32_e32 v11, vcc, v4, v11, vcc
	s_waitcnt vmcnt(1)
	v_add_co_u32_e32 v12, vcc, v2, v5
	s_waitcnt vmcnt(0)
	v_addc_co_u32_e32 v13, vcc, v4, v6, vcc
	s_waitcnt lgkmcnt(0)
	v_add_co_u32_e32 v14, vcc, v0, v2
	v_addc_co_u32_e32 v15, vcc, v1, v4, vcc
	s_branch .LBB4_5629
.LBB4_5628:                             ;   in Loop: Header=BB4_5629 Depth=3
	s_or_b64 exec, exec, s[28:29]
	flat_store_byte v[8:9], v24 glc slc
	flat_store_byte v[8:9], v27 offset:64 glc slc
	flat_store_byte v[8:9], v30 offset:128 glc slc
	;; [unrolled: 1-line block ×15, first 2 shown]
	flat_store_byte v[10:11], v24 glc slc
	flat_store_byte v[10:11], v27 offset:64 glc slc
	flat_store_byte v[10:11], v30 offset:128 glc slc
	flat_store_byte v[10:11], v34 offset:192 glc slc
	flat_store_byte v[10:11], v37 offset:256 glc slc
	flat_store_byte v[10:11], v53 offset:320 glc slc
	flat_store_byte v[10:11], v47 offset:384 glc slc
	flat_store_byte v[10:11], v59 offset:448 glc slc
	flat_store_byte v[10:11], v57 offset:512 glc slc
	flat_store_byte v[10:11], v43 offset:576 glc slc
	flat_store_byte v[10:11], v50 offset:640 glc slc
	flat_store_byte v[10:11], v35 offset:704 glc slc
	flat_store_byte v[10:11], v6 offset:768 glc slc
	flat_store_byte v[10:11], v19 offset:832 glc slc
	flat_store_byte v[10:11], v21 offset:896 glc slc
	flat_store_byte v[10:11], v2 offset:960 glc slc
	buffer_load_dword v30, off, s[0:3], s33 offset:64 ; 4-byte Folded Reload
	buffer_load_dword v57, off, s[0:3], s33 offset:68 ; 4-byte Folded Reload
	s_waitcnt vmcnt(0)
	v_add_co_u32_e32 v12, vcc, v12, v30
	v_addc_co_u32_e32 v13, vcc, 0, v13, vcc
	v_add_co_u32_e32 v14, vcc, v14, v30
	v_addc_co_u32_e32 v15, vcc, 0, v15, vcc
	;; [unrolled: 2-line block ×3, first 2 shown]
	v_sub_u32_e32 v20, v20, v57
	v_cmp_gt_i32_e32 vcc, 1, v20
	s_or_b64 s[46:47], vcc, s[46:47]
	v_add_co_u32_e32 v10, vcc, v10, v30
	v_addc_co_u32_e32 v11, vcc, 0, v11, vcc
	s_andn2_b64 exec, exec, s[46:47]
	s_cbranch_execz .LBB4_6397
.LBB4_5629:                             ;   Parent Loop BB4_47 Depth=1
                                        ;     Parent Loop BB4_3419 Depth=2
                                        ; =>    This Inner Loop Header: Depth=3
	flat_load_ubyte v5, v[12:13] glc slc
	flat_load_ubyte v21, v[12:13] offset:64 glc slc
	flat_load_ubyte v19, v[12:13] offset:128 glc slc
	;; [unrolled: 1-line block ×15, first 2 shown]
	flat_load_ubyte v4, v[14:15] glc slc
	flat_load_ubyte v27, v[14:15] offset:64 glc slc
	flat_load_ubyte v30, v[14:15] offset:128 glc slc
	;; [unrolled: 1-line block ×15, first 2 shown]
	s_mov_b64 s[40:41], -1
	s_and_b64 vcc, exec, s[38:39]
                                        ; implicit-def: $vgpr16
	s_waitcnt vmcnt(0) lgkmcnt(0)
	v_cmp_ne_u16_e64 s[28:29], 0, v5
	s_cbranch_vccz .LBB4_5643
; %bb.5630:                             ;   in Loop: Header=BB4_5629 Depth=3
	v_mov_b32_e32 v16, 0
	v_mov_b32_e32 v17, 0
	s_and_saveexec_b64 s[40:41], s[28:29]
	s_cbranch_execz .LBB4_5636
; %bb.5631:                             ;   in Loop: Header=BB4_5629 Depth=3
	v_cmp_ne_u16_e32 vcc, s80, v5
	v_bfrev_b32_e32 v17, 1
	s_and_saveexec_b64 s[48:49], vcc
	s_cbranch_execz .LBB4_5635
; %bb.5632:                             ;   in Loop: Header=BB4_5629 Depth=3
	v_and_b32_e32 v2, 0xffff, v5
	v_and_b32_e32 v0, 0x7f, v2
	v_cmp_ne_u32_e32 vcc, s81, v0
	v_mov_b32_e32 v17, 0x7f800001
	s_and_saveexec_b64 s[50:51], vcc
	s_cbranch_execz .LBB4_5634
; %bb.5633:                             ;   in Loop: Header=BB4_5629 Depth=3
	v_and_b32_e32 v17, 7, v2
	v_lshrrev_b32_e32 v24, 3, v0
	v_cmp_gt_u32_e32 vcc, 8, v0
	v_ffbh_u32_e32 v0, v17
	v_min_u32_e32 v40, 32, v0
	v_subrev_u32_e32 v0, 28, v40
	v_lshlrev_b64 v[0:1], v0, v[2:3]
	v_sub_u32_e32 v1, 29, v40
	v_and_b32_e32 v0, 7, v0
	v_cndmask_b32_e32 v1, v24, v1, vcc
	v_cndmask_b32_e32 v0, v17, v0, vcc
	v_lshlrev_b32_e32 v2, 24, v5
	v_lshlrev_b32_e32 v0, 20, v0
	v_and_b32_e32 v2, 0x80000000, v2
	v_lshl_add_u32 v1, v1, 23, v54
	v_or3_b32 v17, v2, v1, v0
.LBB4_5634:                             ;   in Loop: Header=BB4_5629 Depth=3
	s_or_b64 exec, exec, s[50:51]
.LBB4_5635:                             ;   in Loop: Header=BB4_5629 Depth=3
	s_or_b64 exec, exec, s[48:49]
.LBB4_5636:                             ;   in Loop: Header=BB4_5629 Depth=3
	s_or_b64 exec, exec, s[40:41]
	v_and_b32_e32 v2, 0xff, v4
	v_cmp_ne_u16_e32 vcc, 0, v2
	s_and_saveexec_b64 s[40:41], vcc
	s_cbranch_execz .LBB4_5642
; %bb.5637:                             ;   in Loop: Header=BB4_5629 Depth=3
	v_cmp_ne_u16_e32 vcc, s80, v2
	v_bfrev_b32_e32 v16, 1
	s_and_saveexec_b64 s[48:49], vcc
	s_cbranch_execz .LBB4_5641
; %bb.5638:                             ;   in Loop: Header=BB4_5629 Depth=3
	v_and_b32_e32 v0, 0x7f, v4
	v_cmp_ne_u32_e32 vcc, s81, v0
	v_mov_b32_e32 v16, 0x7f800001
	s_and_saveexec_b64 s[50:51], vcc
	s_cbranch_execz .LBB4_5640
; %bb.5639:                             ;   in Loop: Header=BB4_5629 Depth=3
	v_and_b32_e32 v16, 7, v2
	v_lshrrev_b32_e32 v24, 3, v0
	v_cmp_gt_u32_e32 vcc, 8, v0
	v_ffbh_u32_e32 v0, v16
	v_min_u32_e32 v40, 32, v0
	v_subrev_u32_e32 v0, 28, v40
	v_lshlrev_b64 v[0:1], v0, v[2:3]
	v_sub_u32_e32 v1, 29, v40
	v_and_b32_e32 v0, 7, v0
	v_cndmask_b32_e32 v1, v24, v1, vcc
	v_cndmask_b32_e32 v0, v16, v0, vcc
	v_lshlrev_b32_e32 v2, 24, v4
	v_lshlrev_b32_e32 v0, 20, v0
	v_and_b32_e32 v2, 0x80000000, v2
	v_lshl_add_u32 v1, v1, 23, v54
	v_or3_b32 v16, v2, v1, v0
.LBB4_5640:                             ;   in Loop: Header=BB4_5629 Depth=3
	s_or_b64 exec, exec, s[50:51]
.LBB4_5641:                             ;   in Loop: Header=BB4_5629 Depth=3
	s_or_b64 exec, exec, s[48:49]
.LBB4_5642:                             ;   in Loop: Header=BB4_5629 Depth=3
	s_or_b64 exec, exec, s[40:41]
	v_max_f32_e32 v0, v16, v16
	v_max_f32_e32 v1, v17, v17
	;; [unrolled: 1-line block ×3, first 2 shown]
	s_mov_b64 s[40:41], 0
.LBB4_5643:                             ;   in Loop: Header=BB4_5629 Depth=3
	s_and_b64 vcc, exec, s[40:41]
	s_cbranch_vccz .LBB4_5657
; %bb.5644:                             ;   in Loop: Header=BB4_5629 Depth=3
	v_mov_b32_e32 v16, 0
	v_mov_b32_e32 v17, 0
	s_and_saveexec_b64 s[40:41], s[28:29]
	s_cbranch_execz .LBB4_5650
; %bb.5645:                             ;   in Loop: Header=BB4_5629 Depth=3
	v_cmp_ne_u16_e32 vcc, s80, v5
	v_bfrev_b32_e32 v17, 1
	s_and_saveexec_b64 s[28:29], vcc
	s_cbranch_execz .LBB4_5649
; %bb.5646:                             ;   in Loop: Header=BB4_5629 Depth=3
	v_and_b32_e32 v2, 0xffff, v5
	v_and_b32_e32 v0, 0x7f, v2
	v_cmp_ne_u32_e32 vcc, s81, v0
	v_mov_b32_e32 v17, 0x7f800001
	s_and_saveexec_b64 s[48:49], vcc
	s_cbranch_execz .LBB4_5648
; %bb.5647:                             ;   in Loop: Header=BB4_5629 Depth=3
	v_and_b32_e32 v17, 7, v2
	v_lshrrev_b32_e32 v24, 3, v0
	v_cmp_gt_u32_e32 vcc, 8, v0
	v_ffbh_u32_e32 v0, v17
	v_min_u32_e32 v40, 32, v0
	v_subrev_u32_e32 v0, 28, v40
	v_lshlrev_b64 v[0:1], v0, v[2:3]
	v_sub_u32_e32 v1, 29, v40
	v_and_b32_e32 v0, 7, v0
	v_cndmask_b32_e32 v1, v24, v1, vcc
	v_cndmask_b32_e32 v0, v17, v0, vcc
	v_lshlrev_b32_e32 v2, 24, v5
	v_lshlrev_b32_e32 v0, 20, v0
	v_and_b32_e32 v2, 0x80000000, v2
	v_lshl_add_u32 v1, v1, 23, v54
	v_or3_b32 v17, v2, v1, v0
.LBB4_5648:                             ;   in Loop: Header=BB4_5629 Depth=3
	s_or_b64 exec, exec, s[48:49]
.LBB4_5649:                             ;   in Loop: Header=BB4_5629 Depth=3
	s_or_b64 exec, exec, s[28:29]
.LBB4_5650:                             ;   in Loop: Header=BB4_5629 Depth=3
	s_or_b64 exec, exec, s[40:41]
	v_and_b32_e32 v2, 0xff, v4
	v_cmp_ne_u16_e32 vcc, 0, v2
	s_and_saveexec_b64 s[28:29], vcc
	s_cbranch_execz .LBB4_5656
; %bb.5651:                             ;   in Loop: Header=BB4_5629 Depth=3
	v_cmp_ne_u16_e32 vcc, s80, v2
	v_bfrev_b32_e32 v16, 1
	s_and_saveexec_b64 s[40:41], vcc
	s_cbranch_execz .LBB4_5655
; %bb.5652:                             ;   in Loop: Header=BB4_5629 Depth=3
	v_and_b32_e32 v0, 0x7f, v4
	v_cmp_ne_u32_e32 vcc, s81, v0
	v_mov_b32_e32 v16, 0x7f800001
	s_and_saveexec_b64 s[48:49], vcc
	s_cbranch_execz .LBB4_5654
; %bb.5653:                             ;   in Loop: Header=BB4_5629 Depth=3
	v_and_b32_e32 v5, 7, v2
	v_lshrrev_b32_e32 v16, 3, v0
	v_cmp_gt_u32_e32 vcc, 8, v0
	v_ffbh_u32_e32 v0, v5
	v_min_u32_e32 v24, 32, v0
	v_subrev_u32_e32 v0, 28, v24
	v_lshlrev_b64 v[0:1], v0, v[2:3]
	v_sub_u32_e32 v1, 29, v24
	v_and_b32_e32 v0, 7, v0
	v_cndmask_b32_e32 v1, v16, v1, vcc
	v_cndmask_b32_e32 v0, v5, v0, vcc
	v_lshlrev_b32_e32 v2, 24, v4
	v_lshlrev_b32_e32 v0, 20, v0
	v_and_b32_e32 v2, 0x80000000, v2
	v_lshl_add_u32 v1, v1, 23, v54
	v_or3_b32 v16, v2, v1, v0
.LBB4_5654:                             ;   in Loop: Header=BB4_5629 Depth=3
	s_or_b64 exec, exec, s[48:49]
.LBB4_5655:                             ;   in Loop: Header=BB4_5629 Depth=3
	s_or_b64 exec, exec, s[40:41]
.LBB4_5656:                             ;   in Loop: Header=BB4_5629 Depth=3
	s_or_b64 exec, exec, s[28:29]
	v_max_f32_e32 v0, v16, v16
	v_max_f32_e32 v1, v17, v17
	v_min_f32_e32 v16, v1, v0
.LBB4_5657:                             ;   in Loop: Header=BB4_5629 Depth=3
	v_and_b32_e32 v2, 0x7f800000, v16
	v_cmp_ne_u64_e32 vcc, s[76:77], v[2:3]
                                        ; implicit-def: $vgpr24
	s_and_saveexec_b64 s[28:29], vcc
	s_xor_b64 s[40:41], exec, s[28:29]
	s_cbranch_execz .LBB4_5675
; %bb.5658:                             ;   in Loop: Header=BB4_5629 Depth=3
	v_and_b32_e32 v2, 0x7fffffff, v16
	v_cmp_gt_u64_e32 vcc, s[78:79], v[2:3]
	v_and_b32_sdwa v44, v16, s80 dst_sel:DWORD dst_unused:UNUSED_PAD src0_sel:BYTE_3 src1_sel:DWORD
                                        ; implicit-def: $vgpr24
	s_and_saveexec_b64 s[28:29], vcc
	s_xor_b64 s[48:49], exec, s[28:29]
	s_cbranch_execz .LBB4_5672
; %bb.5659:                             ;   in Loop: Header=BB4_5629 Depth=3
	v_cmp_ne_u32_e32 vcc, 0, v16
	v_mov_b32_e32 v24, 0
	s_and_saveexec_b64 s[50:51], vcc
	s_cbranch_execz .LBB4_5671
; %bb.5660:                             ;   in Loop: Header=BB4_5629 Depth=3
	v_bfe_u32 v24, v16, 23, 8
	v_cmp_gt_u32_e64 s[28:29], s83, v24
	v_sub_u32_e32 v1, 0x79, v24
	v_and_b32_e32 v0, 0x7fffff, v16
	v_cmp_eq_u32_e32 vcc, 0, v24
	v_cndmask_b32_e64 v1, 0, v1, s[28:29]
	v_mov_b32_e32 v4, 0x78
	v_or_b32_e32 v2, 0x800000, v0
	v_cndmask_b32_e32 v1, v1, v4, vcc
	v_cndmask_b32_e32 v2, v2, v0, vcc
	v_add_u32_e32 v0, 20, v1
	v_lshlrev_b64 v[4:5], v0, -1
	v_add_u32_e32 v0, 19, v1
	v_lshlrev_b64 v[16:17], v0, 1
	v_bfi_b32 v5, v5, 0, 0
	v_bfi_b32 v4, v4, 0, v2
	v_cmp_eq_u64_e64 s[28:29], v[4:5], v[16:17]
	v_lshrrev_b64 v[16:17], v1, v[2:3]
	v_mov_b32_e32 v4, v16
	v_mov_b32_e32 v5, v17
	s_and_saveexec_b64 s[52:53], s[28:29]
; %bb.5661:                             ;   in Loop: Header=BB4_5629 Depth=3
	v_bfe_u32 v0, v16, 20, 1
	v_add_co_u32_e64 v0, s[28:29], v16, v0
	v_add_co_u32_e64 v4, s[28:29], -1, v0
; %bb.5662:                             ;   in Loop: Header=BB4_5629 Depth=3
	s_or_b64 exec, exec, s[52:53]
	v_add_u32_e32 v0, 0xffffff81, v24
	v_mov_b32_e32 v2, 0xffffff82
	v_cndmask_b32_e32 v0, v0, v2, vcc
	v_lshrrev_b32_e32 v2, 23, v16
	v_add3_u32 v1, v1, v0, v2
	v_add_u32_e32 v0, 6, v1
	v_and_b32_e32 v2, 0xfffff, v4
	v_add_u32_e32 v2, v2, v16
	v_cmp_ne_u32_e32 vcc, 0, v0
                                        ; implicit-def: $vgpr16_vgpr17
                                        ; implicit-def: $vgpr4
	s_and_saveexec_b64 s[28:29], vcc
	s_xor_b64 s[28:29], exec, s[28:29]
; %bb.5663:                             ;   in Loop: Header=BB4_5629 Depth=3
	v_cmp_lt_u64_e32 vcc, s[88:89], v[2:3]
	v_add_u32_e32 v1, 7, v1
	v_cndmask_b32_e32 v4, v0, v1, vcc
	v_cndmask_b32_e64 v0, 0, 1, vcc
	v_lshrrev_b64 v[16:17], v0, v[2:3]
; %bb.5664:                             ;   in Loop: Header=BB4_5629 Depth=3
	s_andn2_saveexec_b64 s[28:29], s[28:29]
; %bb.5665:                             ;   in Loop: Header=BB4_5629 Depth=3
	v_mov_b32_e32 v17, v3
	v_bfe_u32 v4, v2, 23, 1
	v_mov_b32_e32 v16, v2
; %bb.5666:                             ;   in Loop: Header=BB4_5629 Depth=3
	s_or_b64 exec, exec, s[28:29]
	v_lshrrev_b64 v[0:1], 20, v[16:17]
	v_cmp_gt_i32_e32 vcc, 16, v4
	v_cndmask_b32_e32 v17, 0, v1, vcc
	v_cndmask_b32_e32 v16, 7, v0, vcc
	v_cmp_ne_u64_e32 vcc, 0, v[16:17]
	v_cmp_ne_u32_e64 s[28:29], 0, v4
	s_or_b64 s[28:29], s[28:29], vcc
                                        ; implicit-def: $vgpr24
	s_and_saveexec_b64 vcc, s[28:29]
	s_xor_b64 s[28:29], exec, vcc
; %bb.5667:                             ;   in Loop: Header=BB4_5629 Depth=3
	v_min_i32_e32 v0, 15, v4
	v_lshl_or_b32 v0, v0, 3, v44
	v_and_or_b32 v24, v16, 7, v0
                                        ; implicit-def: $vgpr44
; %bb.5668:                             ;   in Loop: Header=BB4_5629 Depth=3
	s_andn2_saveexec_b64 s[28:29], s[28:29]
; %bb.5669:                             ;   in Loop: Header=BB4_5629 Depth=3
	v_mov_b32_e32 v24, v44
; %bb.5670:                             ;   in Loop: Header=BB4_5629 Depth=3
	s_or_b64 exec, exec, s[28:29]
.LBB4_5671:                             ;   in Loop: Header=BB4_5629 Depth=3
	s_or_b64 exec, exec, s[50:51]
                                        ; implicit-def: $vgpr44
.LBB4_5672:                             ;   in Loop: Header=BB4_5629 Depth=3
	s_andn2_saveexec_b64 s[28:29], s[48:49]
; %bb.5673:                             ;   in Loop: Header=BB4_5629 Depth=3
	v_or_b32_e32 v24, 0x7e, v44
; %bb.5674:                             ;   in Loop: Header=BB4_5629 Depth=3
	s_or_b64 exec, exec, s[28:29]
                                        ; implicit-def: $vgpr16
.LBB4_5675:                             ;   in Loop: Header=BB4_5629 Depth=3
	s_andn2_saveexec_b64 s[28:29], s[40:41]
; %bb.5676:                             ;   in Loop: Header=BB4_5629 Depth=3
	v_or_b32_sdwa v24, v16, s81 dst_sel:DWORD dst_unused:UNUSED_PAD src0_sel:BYTE_3 src1_sel:DWORD
; %bb.5677:                             ;   in Loop: Header=BB4_5629 Depth=3
	s_or_b64 exec, exec, s[28:29]
	v_and_b32_e32 v2, 0xff, v21
	v_cndmask_b32_e64 v0, 0, 1, s[38:39]
	v_cmp_ne_u16_e64 s[40:41], 0, v2
	v_cmp_ne_u32_e64 s[28:29], 1, v0
	s_andn2_b64 vcc, exec, s[38:39]
	s_mov_b64 s[48:49], -1
                                        ; implicit-def: $vgpr4
	s_cbranch_vccnz .LBB4_5691
; %bb.5678:                             ;   in Loop: Header=BB4_5629 Depth=3
	v_mov_b32_e32 v5, 0
	v_mov_b32_e32 v4, 0
	s_and_saveexec_b64 s[48:49], s[40:41]
	s_cbranch_execz .LBB4_5684
; %bb.5679:                             ;   in Loop: Header=BB4_5629 Depth=3
	v_cmp_ne_u16_e32 vcc, s80, v2
	v_bfrev_b32_e32 v4, 1
	s_and_saveexec_b64 s[50:51], vcc
	s_cbranch_execz .LBB4_5683
; %bb.5680:                             ;   in Loop: Header=BB4_5629 Depth=3
	v_and_b32_e32 v0, 0x7f, v21
	v_cmp_ne_u32_e32 vcc, s81, v0
	v_mov_b32_e32 v4, 0x7f800001
	s_and_saveexec_b64 s[52:53], vcc
	s_cbranch_execz .LBB4_5682
; %bb.5681:                             ;   in Loop: Header=BB4_5629 Depth=3
	v_and_b32_e32 v4, 7, v2
	v_lshrrev_b32_e32 v16, 3, v0
	v_cmp_gt_u32_e32 vcc, 8, v0
	v_ffbh_u32_e32 v0, v4
	v_min_u32_e32 v17, 32, v0
	v_subrev_u32_e32 v0, 28, v17
	v_lshlrev_b64 v[0:1], v0, v[2:3]
	v_sub_u32_e32 v1, 29, v17
	v_and_b32_e32 v0, 7, v0
	v_cndmask_b32_e32 v1, v16, v1, vcc
	v_cndmask_b32_e32 v0, v4, v0, vcc
	v_lshlrev_b32_e32 v4, 24, v21
	v_lshlrev_b32_e32 v0, 20, v0
	v_and_b32_e32 v4, 0x80000000, v4
	v_lshl_add_u32 v1, v1, 23, v54
	v_or3_b32 v4, v4, v1, v0
.LBB4_5682:                             ;   in Loop: Header=BB4_5629 Depth=3
	s_or_b64 exec, exec, s[52:53]
.LBB4_5683:                             ;   in Loop: Header=BB4_5629 Depth=3
	s_or_b64 exec, exec, s[50:51]
.LBB4_5684:                             ;   in Loop: Header=BB4_5629 Depth=3
	s_or_b64 exec, exec, s[48:49]
	v_and_b32_e32 v16, 0xff, v27
	v_cmp_ne_u16_e32 vcc, 0, v16
	s_and_saveexec_b64 s[48:49], vcc
	s_cbranch_execz .LBB4_5690
; %bb.5685:                             ;   in Loop: Header=BB4_5629 Depth=3
	v_cmp_ne_u16_e32 vcc, s80, v16
	v_bfrev_b32_e32 v5, 1
	s_and_saveexec_b64 s[50:51], vcc
	s_cbranch_execz .LBB4_5689
; %bb.5686:                             ;   in Loop: Header=BB4_5629 Depth=3
	v_and_b32_e32 v0, 0x7f, v27
	v_cmp_ne_u32_e32 vcc, s81, v0
	v_mov_b32_e32 v5, 0x7f800001
	s_and_saveexec_b64 s[52:53], vcc
	s_cbranch_execz .LBB4_5688
; %bb.5687:                             ;   in Loop: Header=BB4_5629 Depth=3
	v_and_b32_e32 v5, 7, v16
	v_lshrrev_b32_e32 v17, 3, v0
	v_cmp_gt_u32_e32 vcc, 8, v0
	v_ffbh_u32_e32 v0, v5
	v_min_u32_e32 v40, 32, v0
	v_subrev_u32_e32 v0, 28, v40
	v_lshlrev_b64 v[0:1], v0, v[16:17]
	v_sub_u32_e32 v1, 29, v40
	v_and_b32_e32 v0, 7, v0
	v_cndmask_b32_e32 v1, v17, v1, vcc
	v_cndmask_b32_e32 v0, v5, v0, vcc
	v_lshlrev_b32_e32 v5, 24, v27
	v_lshlrev_b32_e32 v0, 20, v0
	v_and_b32_e32 v5, 0x80000000, v5
	v_lshl_add_u32 v1, v1, 23, v54
	v_or3_b32 v5, v5, v1, v0
.LBB4_5688:                             ;   in Loop: Header=BB4_5629 Depth=3
	s_or_b64 exec, exec, s[52:53]
.LBB4_5689:                             ;   in Loop: Header=BB4_5629 Depth=3
	s_or_b64 exec, exec, s[50:51]
.LBB4_5690:                             ;   in Loop: Header=BB4_5629 Depth=3
	s_or_b64 exec, exec, s[48:49]
	v_max_f32_e32 v0, v5, v5
	v_max_f32_e32 v1, v4, v4
	;; [unrolled: 1-line block ×3, first 2 shown]
	s_mov_b64 s[48:49], 0
.LBB4_5691:                             ;   in Loop: Header=BB4_5629 Depth=3
	s_and_b64 vcc, exec, s[48:49]
	s_cbranch_vccz .LBB4_5705
; %bb.5692:                             ;   in Loop: Header=BB4_5629 Depth=3
	v_mov_b32_e32 v5, 0
	v_mov_b32_e32 v4, 0
	s_and_saveexec_b64 s[48:49], s[40:41]
	s_cbranch_execz .LBB4_5698
; %bb.5693:                             ;   in Loop: Header=BB4_5629 Depth=3
	v_cmp_ne_u16_e32 vcc, s80, v2
	v_bfrev_b32_e32 v4, 1
	s_and_saveexec_b64 s[40:41], vcc
	s_cbranch_execz .LBB4_5697
; %bb.5694:                             ;   in Loop: Header=BB4_5629 Depth=3
	v_and_b32_e32 v0, 0x7f, v21
	v_cmp_ne_u32_e32 vcc, s81, v0
	v_mov_b32_e32 v4, 0x7f800001
	s_and_saveexec_b64 s[50:51], vcc
	s_cbranch_execz .LBB4_5696
; %bb.5695:                             ;   in Loop: Header=BB4_5629 Depth=3
	v_and_b32_e32 v4, 7, v2
	v_lshrrev_b32_e32 v16, 3, v0
	v_cmp_gt_u32_e32 vcc, 8, v0
	v_ffbh_u32_e32 v0, v4
	v_min_u32_e32 v17, 32, v0
	v_subrev_u32_e32 v0, 28, v17
	v_lshlrev_b64 v[0:1], v0, v[2:3]
	v_sub_u32_e32 v1, 29, v17
	v_and_b32_e32 v0, 7, v0
	v_cndmask_b32_e32 v1, v16, v1, vcc
	v_cndmask_b32_e32 v0, v4, v0, vcc
	v_lshlrev_b32_e32 v2, 24, v21
	v_lshlrev_b32_e32 v0, 20, v0
	v_and_b32_e32 v2, 0x80000000, v2
	v_lshl_add_u32 v1, v1, 23, v54
	v_or3_b32 v4, v2, v1, v0
.LBB4_5696:                             ;   in Loop: Header=BB4_5629 Depth=3
	s_or_b64 exec, exec, s[50:51]
.LBB4_5697:                             ;   in Loop: Header=BB4_5629 Depth=3
	s_or_b64 exec, exec, s[40:41]
.LBB4_5698:                             ;   in Loop: Header=BB4_5629 Depth=3
	s_or_b64 exec, exec, s[48:49]
	v_and_b32_e32 v2, 0xff, v27
	v_cmp_ne_u16_e32 vcc, 0, v2
	s_and_saveexec_b64 s[40:41], vcc
	s_cbranch_execz .LBB4_5704
; %bb.5699:                             ;   in Loop: Header=BB4_5629 Depth=3
	v_cmp_ne_u16_e32 vcc, s80, v2
	v_bfrev_b32_e32 v5, 1
	s_and_saveexec_b64 s[48:49], vcc
	s_cbranch_execz .LBB4_5703
; %bb.5700:                             ;   in Loop: Header=BB4_5629 Depth=3
	v_and_b32_e32 v0, 0x7f, v27
	v_cmp_ne_u32_e32 vcc, s81, v0
	v_mov_b32_e32 v5, 0x7f800001
	s_and_saveexec_b64 s[50:51], vcc
	s_cbranch_execz .LBB4_5702
; %bb.5701:                             ;   in Loop: Header=BB4_5629 Depth=3
	v_and_b32_e32 v5, 7, v2
	v_lshrrev_b32_e32 v16, 3, v0
	v_cmp_gt_u32_e32 vcc, 8, v0
	v_ffbh_u32_e32 v0, v5
	v_min_u32_e32 v17, 32, v0
	v_subrev_u32_e32 v0, 28, v17
	v_lshlrev_b64 v[0:1], v0, v[2:3]
	v_sub_u32_e32 v1, 29, v17
	v_and_b32_e32 v0, 7, v0
	v_cndmask_b32_e32 v1, v16, v1, vcc
	v_cndmask_b32_e32 v0, v5, v0, vcc
	v_lshlrev_b32_e32 v2, 24, v27
	v_lshlrev_b32_e32 v0, 20, v0
	v_and_b32_e32 v2, 0x80000000, v2
	v_lshl_add_u32 v1, v1, 23, v54
	v_or3_b32 v5, v2, v1, v0
.LBB4_5702:                             ;   in Loop: Header=BB4_5629 Depth=3
	s_or_b64 exec, exec, s[50:51]
.LBB4_5703:                             ;   in Loop: Header=BB4_5629 Depth=3
	s_or_b64 exec, exec, s[48:49]
.LBB4_5704:                             ;   in Loop: Header=BB4_5629 Depth=3
	s_or_b64 exec, exec, s[40:41]
	v_max_f32_e32 v0, v5, v5
	v_max_f32_e32 v1, v4, v4
	v_min_f32_e32 v4, v1, v0
.LBB4_5705:                             ;   in Loop: Header=BB4_5629 Depth=3
	v_and_b32_e32 v2, 0x7f800000, v4
	v_cmp_ne_u64_e32 vcc, s[76:77], v[2:3]
                                        ; implicit-def: $vgpr27
	s_and_saveexec_b64 s[40:41], vcc
	s_xor_b64 s[48:49], exec, s[40:41]
	s_cbranch_execz .LBB4_5723
; %bb.5706:                             ;   in Loop: Header=BB4_5629 Depth=3
	v_and_b32_e32 v2, 0x7fffffff, v4
	v_cmp_gt_u64_e32 vcc, s[78:79], v[2:3]
	v_and_b32_sdwa v21, v4, s80 dst_sel:DWORD dst_unused:UNUSED_PAD src0_sel:BYTE_3 src1_sel:DWORD
                                        ; implicit-def: $vgpr27
	s_and_saveexec_b64 s[40:41], vcc
	s_xor_b64 s[50:51], exec, s[40:41]
	s_cbranch_execz .LBB4_5720
; %bb.5707:                             ;   in Loop: Header=BB4_5629 Depth=3
	v_cmp_ne_u32_e32 vcc, 0, v4
	v_mov_b32_e32 v27, 0
	s_and_saveexec_b64 s[52:53], vcc
	s_cbranch_execz .LBB4_5719
; %bb.5708:                             ;   in Loop: Header=BB4_5629 Depth=3
	v_bfe_u32 v27, v4, 23, 8
	v_cmp_gt_u32_e64 s[40:41], s83, v27
	v_sub_u32_e32 v1, 0x79, v27
	v_and_b32_e32 v0, 0x7fffff, v4
	v_cmp_eq_u32_e32 vcc, 0, v27
	v_cndmask_b32_e64 v1, 0, v1, s[40:41]
	v_mov_b32_e32 v4, 0x78
	v_or_b32_e32 v2, 0x800000, v0
	v_cndmask_b32_e32 v1, v1, v4, vcc
	v_cndmask_b32_e32 v2, v2, v0, vcc
	v_add_u32_e32 v0, 20, v1
	v_lshlrev_b64 v[4:5], v0, -1
	v_add_u32_e32 v0, 19, v1
	v_lshlrev_b64 v[16:17], v0, 1
	v_bfi_b32 v5, v5, 0, 0
	v_bfi_b32 v4, v4, 0, v2
	v_cmp_eq_u64_e64 s[40:41], v[4:5], v[16:17]
	v_lshrrev_b64 v[16:17], v1, v[2:3]
	v_mov_b32_e32 v4, v16
	v_mov_b32_e32 v5, v17
	s_and_saveexec_b64 s[54:55], s[40:41]
; %bb.5709:                             ;   in Loop: Header=BB4_5629 Depth=3
	v_bfe_u32 v0, v16, 20, 1
	v_add_co_u32_e64 v0, s[40:41], v16, v0
	v_add_co_u32_e64 v4, s[40:41], -1, v0
; %bb.5710:                             ;   in Loop: Header=BB4_5629 Depth=3
	s_or_b64 exec, exec, s[54:55]
	v_add_u32_e32 v0, 0xffffff81, v27
	v_mov_b32_e32 v2, 0xffffff82
	v_cndmask_b32_e32 v0, v0, v2, vcc
	v_lshrrev_b32_e32 v2, 23, v16
	v_add3_u32 v1, v1, v0, v2
	v_add_u32_e32 v0, 6, v1
	v_and_b32_e32 v2, 0xfffff, v4
	v_add_u32_e32 v2, v2, v16
	v_cmp_ne_u32_e32 vcc, 0, v0
                                        ; implicit-def: $vgpr16_vgpr17
                                        ; implicit-def: $vgpr4
	s_and_saveexec_b64 s[40:41], vcc
	s_xor_b64 s[40:41], exec, s[40:41]
; %bb.5711:                             ;   in Loop: Header=BB4_5629 Depth=3
	v_cmp_lt_u64_e32 vcc, s[88:89], v[2:3]
	v_add_u32_e32 v1, 7, v1
	v_cndmask_b32_e32 v4, v0, v1, vcc
	v_cndmask_b32_e64 v0, 0, 1, vcc
	v_lshrrev_b64 v[16:17], v0, v[2:3]
; %bb.5712:                             ;   in Loop: Header=BB4_5629 Depth=3
	s_andn2_saveexec_b64 s[40:41], s[40:41]
; %bb.5713:                             ;   in Loop: Header=BB4_5629 Depth=3
	v_mov_b32_e32 v17, v3
	v_bfe_u32 v4, v2, 23, 1
	v_mov_b32_e32 v16, v2
; %bb.5714:                             ;   in Loop: Header=BB4_5629 Depth=3
	s_or_b64 exec, exec, s[40:41]
	v_lshrrev_b64 v[0:1], 20, v[16:17]
	v_cmp_gt_i32_e32 vcc, 16, v4
	v_cndmask_b32_e32 v17, 0, v1, vcc
	v_cndmask_b32_e32 v16, 7, v0, vcc
	v_cmp_ne_u64_e32 vcc, 0, v[16:17]
	v_cmp_ne_u32_e64 s[40:41], 0, v4
	s_or_b64 s[40:41], s[40:41], vcc
                                        ; implicit-def: $vgpr27
	s_and_saveexec_b64 vcc, s[40:41]
	s_xor_b64 s[40:41], exec, vcc
; %bb.5715:                             ;   in Loop: Header=BB4_5629 Depth=3
	v_min_i32_e32 v0, 15, v4
	v_lshl_or_b32 v0, v0, 3, v21
	v_and_or_b32 v27, v16, 7, v0
                                        ; implicit-def: $vgpr21
; %bb.5716:                             ;   in Loop: Header=BB4_5629 Depth=3
	s_andn2_saveexec_b64 s[40:41], s[40:41]
; %bb.5717:                             ;   in Loop: Header=BB4_5629 Depth=3
	v_mov_b32_e32 v27, v21
; %bb.5718:                             ;   in Loop: Header=BB4_5629 Depth=3
	s_or_b64 exec, exec, s[40:41]
.LBB4_5719:                             ;   in Loop: Header=BB4_5629 Depth=3
	s_or_b64 exec, exec, s[52:53]
                                        ; implicit-def: $vgpr21
.LBB4_5720:                             ;   in Loop: Header=BB4_5629 Depth=3
	s_andn2_saveexec_b64 s[40:41], s[50:51]
; %bb.5721:                             ;   in Loop: Header=BB4_5629 Depth=3
	v_or_b32_e32 v27, 0x7e, v21
; %bb.5722:                             ;   in Loop: Header=BB4_5629 Depth=3
	s_or_b64 exec, exec, s[40:41]
                                        ; implicit-def: $vgpr4
.LBB4_5723:                             ;   in Loop: Header=BB4_5629 Depth=3
	s_andn2_saveexec_b64 s[40:41], s[48:49]
; %bb.5724:                             ;   in Loop: Header=BB4_5629 Depth=3
	v_or_b32_sdwa v27, v4, s81 dst_sel:DWORD dst_unused:UNUSED_PAD src0_sel:BYTE_3 src1_sel:DWORD
; %bb.5725:                             ;   in Loop: Header=BB4_5629 Depth=3
	s_or_b64 exec, exec, s[40:41]
	v_and_b32_e32 v2, 0xff, v19
	v_cmp_ne_u16_e64 s[40:41], 0, v2
	s_and_b64 vcc, exec, s[28:29]
	s_mov_b64 s[48:49], -1
                                        ; implicit-def: $vgpr4
	s_cbranch_vccnz .LBB4_5739
; %bb.5726:                             ;   in Loop: Header=BB4_5629 Depth=3
	v_mov_b32_e32 v5, 0
	v_mov_b32_e32 v4, 0
	s_and_saveexec_b64 s[48:49], s[40:41]
	s_cbranch_execz .LBB4_5732
; %bb.5727:                             ;   in Loop: Header=BB4_5629 Depth=3
	v_cmp_ne_u16_e32 vcc, s80, v2
	v_bfrev_b32_e32 v4, 1
	s_and_saveexec_b64 s[50:51], vcc
	s_cbranch_execz .LBB4_5731
; %bb.5728:                             ;   in Loop: Header=BB4_5629 Depth=3
	v_and_b32_e32 v0, 0x7f, v19
	v_cmp_ne_u32_e32 vcc, s81, v0
	v_mov_b32_e32 v4, 0x7f800001
	s_and_saveexec_b64 s[52:53], vcc
	s_cbranch_execz .LBB4_5730
; %bb.5729:                             ;   in Loop: Header=BB4_5629 Depth=3
	v_and_b32_e32 v4, 7, v2
	v_lshrrev_b32_e32 v16, 3, v0
	v_cmp_gt_u32_e32 vcc, 8, v0
	v_ffbh_u32_e32 v0, v4
	v_min_u32_e32 v17, 32, v0
	v_subrev_u32_e32 v0, 28, v17
	v_lshlrev_b64 v[0:1], v0, v[2:3]
	v_sub_u32_e32 v1, 29, v17
	v_and_b32_e32 v0, 7, v0
	v_cndmask_b32_e32 v1, v16, v1, vcc
	v_cndmask_b32_e32 v0, v4, v0, vcc
	v_lshlrev_b32_e32 v4, 24, v19
	v_lshlrev_b32_e32 v0, 20, v0
	v_and_b32_e32 v4, 0x80000000, v4
	v_lshl_add_u32 v1, v1, 23, v54
	v_or3_b32 v4, v4, v1, v0
.LBB4_5730:                             ;   in Loop: Header=BB4_5629 Depth=3
	s_or_b64 exec, exec, s[52:53]
.LBB4_5731:                             ;   in Loop: Header=BB4_5629 Depth=3
	s_or_b64 exec, exec, s[50:51]
.LBB4_5732:                             ;   in Loop: Header=BB4_5629 Depth=3
	s_or_b64 exec, exec, s[48:49]
	v_and_b32_e32 v16, 0xff, v30
	v_cmp_ne_u16_e32 vcc, 0, v16
	s_and_saveexec_b64 s[48:49], vcc
	s_cbranch_execz .LBB4_5738
; %bb.5733:                             ;   in Loop: Header=BB4_5629 Depth=3
	v_cmp_ne_u16_e32 vcc, s80, v16
	v_bfrev_b32_e32 v5, 1
	s_and_saveexec_b64 s[50:51], vcc
	s_cbranch_execz .LBB4_5737
; %bb.5734:                             ;   in Loop: Header=BB4_5629 Depth=3
	v_and_b32_e32 v0, 0x7f, v30
	v_cmp_ne_u32_e32 vcc, s81, v0
	v_mov_b32_e32 v5, 0x7f800001
	s_and_saveexec_b64 s[52:53], vcc
	s_cbranch_execz .LBB4_5736
; %bb.5735:                             ;   in Loop: Header=BB4_5629 Depth=3
	v_and_b32_e32 v5, 7, v16
	v_lshrrev_b32_e32 v17, 3, v0
	v_cmp_gt_u32_e32 vcc, 8, v0
	v_ffbh_u32_e32 v0, v5
	v_min_u32_e32 v21, 32, v0
	v_subrev_u32_e32 v0, 28, v21
	v_lshlrev_b64 v[0:1], v0, v[16:17]
	v_sub_u32_e32 v1, 29, v21
	v_and_b32_e32 v0, 7, v0
	v_cndmask_b32_e32 v1, v17, v1, vcc
	v_cndmask_b32_e32 v0, v5, v0, vcc
	v_lshlrev_b32_e32 v5, 24, v30
	v_lshlrev_b32_e32 v0, 20, v0
	v_and_b32_e32 v5, 0x80000000, v5
	v_lshl_add_u32 v1, v1, 23, v54
	v_or3_b32 v5, v5, v1, v0
.LBB4_5736:                             ;   in Loop: Header=BB4_5629 Depth=3
	s_or_b64 exec, exec, s[52:53]
.LBB4_5737:                             ;   in Loop: Header=BB4_5629 Depth=3
	s_or_b64 exec, exec, s[50:51]
.LBB4_5738:                             ;   in Loop: Header=BB4_5629 Depth=3
	s_or_b64 exec, exec, s[48:49]
	v_max_f32_e32 v0, v5, v5
	v_max_f32_e32 v1, v4, v4
	;; [unrolled: 1-line block ×3, first 2 shown]
	s_mov_b64 s[48:49], 0
.LBB4_5739:                             ;   in Loop: Header=BB4_5629 Depth=3
	s_and_b64 vcc, exec, s[48:49]
	s_cbranch_vccz .LBB4_5753
; %bb.5740:                             ;   in Loop: Header=BB4_5629 Depth=3
	v_mov_b32_e32 v5, 0
	v_mov_b32_e32 v4, 0
	s_and_saveexec_b64 s[48:49], s[40:41]
	s_cbranch_execz .LBB4_5746
; %bb.5741:                             ;   in Loop: Header=BB4_5629 Depth=3
	v_cmp_ne_u16_e32 vcc, s80, v2
	v_bfrev_b32_e32 v4, 1
	s_and_saveexec_b64 s[40:41], vcc
	s_cbranch_execz .LBB4_5745
; %bb.5742:                             ;   in Loop: Header=BB4_5629 Depth=3
	v_and_b32_e32 v0, 0x7f, v19
	v_cmp_ne_u32_e32 vcc, s81, v0
	v_mov_b32_e32 v4, 0x7f800001
	s_and_saveexec_b64 s[50:51], vcc
	s_cbranch_execz .LBB4_5744
; %bb.5743:                             ;   in Loop: Header=BB4_5629 Depth=3
	v_and_b32_e32 v4, 7, v2
	v_lshrrev_b32_e32 v16, 3, v0
	v_cmp_gt_u32_e32 vcc, 8, v0
	v_ffbh_u32_e32 v0, v4
	v_min_u32_e32 v17, 32, v0
	v_subrev_u32_e32 v0, 28, v17
	v_lshlrev_b64 v[0:1], v0, v[2:3]
	v_sub_u32_e32 v1, 29, v17
	v_and_b32_e32 v0, 7, v0
	v_cndmask_b32_e32 v1, v16, v1, vcc
	v_cndmask_b32_e32 v0, v4, v0, vcc
	v_lshlrev_b32_e32 v2, 24, v19
	v_lshlrev_b32_e32 v0, 20, v0
	v_and_b32_e32 v2, 0x80000000, v2
	v_lshl_add_u32 v1, v1, 23, v54
	v_or3_b32 v4, v2, v1, v0
.LBB4_5744:                             ;   in Loop: Header=BB4_5629 Depth=3
	s_or_b64 exec, exec, s[50:51]
.LBB4_5745:                             ;   in Loop: Header=BB4_5629 Depth=3
	s_or_b64 exec, exec, s[40:41]
.LBB4_5746:                             ;   in Loop: Header=BB4_5629 Depth=3
	s_or_b64 exec, exec, s[48:49]
	v_and_b32_e32 v2, 0xff, v30
	v_cmp_ne_u16_e32 vcc, 0, v2
	s_and_saveexec_b64 s[40:41], vcc
	s_cbranch_execz .LBB4_5752
; %bb.5747:                             ;   in Loop: Header=BB4_5629 Depth=3
	v_cmp_ne_u16_e32 vcc, s80, v2
	v_bfrev_b32_e32 v5, 1
	s_and_saveexec_b64 s[48:49], vcc
	s_cbranch_execz .LBB4_5751
; %bb.5748:                             ;   in Loop: Header=BB4_5629 Depth=3
	v_and_b32_e32 v0, 0x7f, v30
	v_cmp_ne_u32_e32 vcc, s81, v0
	v_mov_b32_e32 v5, 0x7f800001
	s_and_saveexec_b64 s[50:51], vcc
	s_cbranch_execz .LBB4_5750
; %bb.5749:                             ;   in Loop: Header=BB4_5629 Depth=3
	v_and_b32_e32 v5, 7, v2
	v_lshrrev_b32_e32 v16, 3, v0
	v_cmp_gt_u32_e32 vcc, 8, v0
	v_ffbh_u32_e32 v0, v5
	v_min_u32_e32 v17, 32, v0
	v_subrev_u32_e32 v0, 28, v17
	v_lshlrev_b64 v[0:1], v0, v[2:3]
	v_sub_u32_e32 v1, 29, v17
	v_and_b32_e32 v0, 7, v0
	v_cndmask_b32_e32 v1, v16, v1, vcc
	v_cndmask_b32_e32 v0, v5, v0, vcc
	v_lshlrev_b32_e32 v2, 24, v30
	v_lshlrev_b32_e32 v0, 20, v0
	v_and_b32_e32 v2, 0x80000000, v2
	v_lshl_add_u32 v1, v1, 23, v54
	v_or3_b32 v5, v2, v1, v0
.LBB4_5750:                             ;   in Loop: Header=BB4_5629 Depth=3
	s_or_b64 exec, exec, s[50:51]
.LBB4_5751:                             ;   in Loop: Header=BB4_5629 Depth=3
	s_or_b64 exec, exec, s[48:49]
.LBB4_5752:                             ;   in Loop: Header=BB4_5629 Depth=3
	s_or_b64 exec, exec, s[40:41]
	v_max_f32_e32 v0, v5, v5
	v_max_f32_e32 v1, v4, v4
	v_min_f32_e32 v4, v1, v0
.LBB4_5753:                             ;   in Loop: Header=BB4_5629 Depth=3
	v_and_b32_e32 v2, 0x7f800000, v4
	v_cmp_ne_u64_e32 vcc, s[76:77], v[2:3]
                                        ; implicit-def: $vgpr30
	s_and_saveexec_b64 s[40:41], vcc
	s_xor_b64 s[48:49], exec, s[40:41]
	s_cbranch_execz .LBB4_5771
; %bb.5754:                             ;   in Loop: Header=BB4_5629 Depth=3
	v_and_b32_e32 v2, 0x7fffffff, v4
	v_cmp_gt_u64_e32 vcc, s[78:79], v[2:3]
	v_and_b32_sdwa v19, v4, s80 dst_sel:DWORD dst_unused:UNUSED_PAD src0_sel:BYTE_3 src1_sel:DWORD
                                        ; implicit-def: $vgpr30
	s_and_saveexec_b64 s[40:41], vcc
	s_xor_b64 s[50:51], exec, s[40:41]
	s_cbranch_execz .LBB4_5768
; %bb.5755:                             ;   in Loop: Header=BB4_5629 Depth=3
	v_cmp_ne_u32_e32 vcc, 0, v4
	v_mov_b32_e32 v30, 0
	s_and_saveexec_b64 s[52:53], vcc
	s_cbranch_execz .LBB4_5767
; %bb.5756:                             ;   in Loop: Header=BB4_5629 Depth=3
	v_bfe_u32 v21, v4, 23, 8
	v_cmp_gt_u32_e64 s[40:41], s83, v21
	v_sub_u32_e32 v1, 0x79, v21
	v_and_b32_e32 v0, 0x7fffff, v4
	v_cmp_eq_u32_e32 vcc, 0, v21
	v_cndmask_b32_e64 v1, 0, v1, s[40:41]
	v_mov_b32_e32 v4, 0x78
	v_or_b32_e32 v2, 0x800000, v0
	v_cndmask_b32_e32 v1, v1, v4, vcc
	v_cndmask_b32_e32 v2, v2, v0, vcc
	v_add_u32_e32 v0, 20, v1
	v_lshlrev_b64 v[4:5], v0, -1
	v_add_u32_e32 v0, 19, v1
	v_lshlrev_b64 v[16:17], v0, 1
	v_bfi_b32 v5, v5, 0, 0
	v_bfi_b32 v4, v4, 0, v2
	v_cmp_eq_u64_e64 s[40:41], v[4:5], v[16:17]
	v_lshrrev_b64 v[16:17], v1, v[2:3]
	v_mov_b32_e32 v4, v16
	v_mov_b32_e32 v5, v17
	s_and_saveexec_b64 s[54:55], s[40:41]
; %bb.5757:                             ;   in Loop: Header=BB4_5629 Depth=3
	v_bfe_u32 v0, v16, 20, 1
	v_add_co_u32_e64 v0, s[40:41], v16, v0
	v_add_co_u32_e64 v4, s[40:41], -1, v0
; %bb.5758:                             ;   in Loop: Header=BB4_5629 Depth=3
	s_or_b64 exec, exec, s[54:55]
	v_add_u32_e32 v0, 0xffffff81, v21
	v_mov_b32_e32 v2, 0xffffff82
	v_cndmask_b32_e32 v0, v0, v2, vcc
	v_lshrrev_b32_e32 v2, 23, v16
	v_add3_u32 v1, v1, v0, v2
	v_add_u32_e32 v0, 6, v1
	v_and_b32_e32 v2, 0xfffff, v4
	v_add_u32_e32 v2, v2, v16
	v_cmp_ne_u32_e32 vcc, 0, v0
                                        ; implicit-def: $vgpr16_vgpr17
                                        ; implicit-def: $vgpr4
	s_and_saveexec_b64 s[40:41], vcc
	s_xor_b64 s[40:41], exec, s[40:41]
; %bb.5759:                             ;   in Loop: Header=BB4_5629 Depth=3
	v_cmp_lt_u64_e32 vcc, s[88:89], v[2:3]
	v_add_u32_e32 v1, 7, v1
	v_cndmask_b32_e32 v4, v0, v1, vcc
	v_cndmask_b32_e64 v0, 0, 1, vcc
	v_lshrrev_b64 v[16:17], v0, v[2:3]
; %bb.5760:                             ;   in Loop: Header=BB4_5629 Depth=3
	s_andn2_saveexec_b64 s[40:41], s[40:41]
; %bb.5761:                             ;   in Loop: Header=BB4_5629 Depth=3
	v_mov_b32_e32 v17, v3
	v_bfe_u32 v4, v2, 23, 1
	v_mov_b32_e32 v16, v2
; %bb.5762:                             ;   in Loop: Header=BB4_5629 Depth=3
	s_or_b64 exec, exec, s[40:41]
	v_lshrrev_b64 v[0:1], 20, v[16:17]
	v_cmp_gt_i32_e32 vcc, 16, v4
	v_cndmask_b32_e32 v17, 0, v1, vcc
	v_cndmask_b32_e32 v16, 7, v0, vcc
	v_cmp_ne_u64_e32 vcc, 0, v[16:17]
	v_cmp_ne_u32_e64 s[40:41], 0, v4
	s_or_b64 s[40:41], s[40:41], vcc
                                        ; implicit-def: $vgpr30
	s_and_saveexec_b64 vcc, s[40:41]
	s_xor_b64 s[40:41], exec, vcc
; %bb.5763:                             ;   in Loop: Header=BB4_5629 Depth=3
	v_min_i32_e32 v0, 15, v4
	v_lshl_or_b32 v0, v0, 3, v19
	v_and_or_b32 v30, v16, 7, v0
                                        ; implicit-def: $vgpr19
; %bb.5764:                             ;   in Loop: Header=BB4_5629 Depth=3
	s_andn2_saveexec_b64 s[40:41], s[40:41]
; %bb.5765:                             ;   in Loop: Header=BB4_5629 Depth=3
	v_mov_b32_e32 v30, v19
; %bb.5766:                             ;   in Loop: Header=BB4_5629 Depth=3
	s_or_b64 exec, exec, s[40:41]
.LBB4_5767:                             ;   in Loop: Header=BB4_5629 Depth=3
	s_or_b64 exec, exec, s[52:53]
                                        ; implicit-def: $vgpr19
.LBB4_5768:                             ;   in Loop: Header=BB4_5629 Depth=3
	s_andn2_saveexec_b64 s[40:41], s[50:51]
; %bb.5769:                             ;   in Loop: Header=BB4_5629 Depth=3
	v_or_b32_e32 v30, 0x7e, v19
; %bb.5770:                             ;   in Loop: Header=BB4_5629 Depth=3
	s_or_b64 exec, exec, s[40:41]
                                        ; implicit-def: $vgpr4
.LBB4_5771:                             ;   in Loop: Header=BB4_5629 Depth=3
	s_andn2_saveexec_b64 s[40:41], s[48:49]
; %bb.5772:                             ;   in Loop: Header=BB4_5629 Depth=3
	v_or_b32_sdwa v30, v4, s81 dst_sel:DWORD dst_unused:UNUSED_PAD src0_sel:BYTE_3 src1_sel:DWORD
; %bb.5773:                             ;   in Loop: Header=BB4_5629 Depth=3
	s_or_b64 exec, exec, s[40:41]
	v_and_b32_e32 v2, 0xff, v61
	v_cmp_ne_u16_e64 s[40:41], 0, v2
	s_and_b64 vcc, exec, s[28:29]
	s_mov_b64 s[48:49], -1
                                        ; implicit-def: $vgpr4
	s_cbranch_vccnz .LBB4_5787
; %bb.5774:                             ;   in Loop: Header=BB4_5629 Depth=3
	v_mov_b32_e32 v5, 0
	v_mov_b32_e32 v4, 0
	s_and_saveexec_b64 s[48:49], s[40:41]
	s_cbranch_execz .LBB4_5780
; %bb.5775:                             ;   in Loop: Header=BB4_5629 Depth=3
	v_cmp_ne_u16_e32 vcc, s80, v2
	v_bfrev_b32_e32 v4, 1
	s_and_saveexec_b64 s[50:51], vcc
	s_cbranch_execz .LBB4_5779
; %bb.5776:                             ;   in Loop: Header=BB4_5629 Depth=3
	v_and_b32_e32 v0, 0x7f, v61
	v_cmp_ne_u32_e32 vcc, s81, v0
	v_mov_b32_e32 v4, 0x7f800001
	s_and_saveexec_b64 s[52:53], vcc
	s_cbranch_execz .LBB4_5778
; %bb.5777:                             ;   in Loop: Header=BB4_5629 Depth=3
	v_and_b32_e32 v4, 7, v2
	v_lshrrev_b32_e32 v16, 3, v0
	v_cmp_gt_u32_e32 vcc, 8, v0
	v_ffbh_u32_e32 v0, v4
	v_min_u32_e32 v17, 32, v0
	v_subrev_u32_e32 v0, 28, v17
	v_lshlrev_b64 v[0:1], v0, v[2:3]
	v_sub_u32_e32 v1, 29, v17
	v_and_b32_e32 v0, 7, v0
	v_cndmask_b32_e32 v1, v16, v1, vcc
	v_cndmask_b32_e32 v0, v4, v0, vcc
	v_lshlrev_b32_e32 v4, 24, v61
	v_lshlrev_b32_e32 v0, 20, v0
	v_and_b32_e32 v4, 0x80000000, v4
	v_lshl_add_u32 v1, v1, 23, v54
	v_or3_b32 v4, v4, v1, v0
.LBB4_5778:                             ;   in Loop: Header=BB4_5629 Depth=3
	s_or_b64 exec, exec, s[52:53]
.LBB4_5779:                             ;   in Loop: Header=BB4_5629 Depth=3
	s_or_b64 exec, exec, s[50:51]
.LBB4_5780:                             ;   in Loop: Header=BB4_5629 Depth=3
	s_or_b64 exec, exec, s[48:49]
	v_and_b32_e32 v16, 0xff, v34
	v_cmp_ne_u16_e32 vcc, 0, v16
	s_and_saveexec_b64 s[48:49], vcc
	s_cbranch_execz .LBB4_5786
; %bb.5781:                             ;   in Loop: Header=BB4_5629 Depth=3
	v_cmp_ne_u16_e32 vcc, s80, v16
	v_bfrev_b32_e32 v5, 1
	s_and_saveexec_b64 s[50:51], vcc
	s_cbranch_execz .LBB4_5785
; %bb.5782:                             ;   in Loop: Header=BB4_5629 Depth=3
	v_and_b32_e32 v0, 0x7f, v34
	v_cmp_ne_u32_e32 vcc, s81, v0
	v_mov_b32_e32 v5, 0x7f800001
	s_and_saveexec_b64 s[52:53], vcc
	s_cbranch_execz .LBB4_5784
; %bb.5783:                             ;   in Loop: Header=BB4_5629 Depth=3
	v_and_b32_e32 v5, 7, v16
	v_lshrrev_b32_e32 v17, 3, v0
	v_cmp_gt_u32_e32 vcc, 8, v0
	v_ffbh_u32_e32 v0, v5
	v_min_u32_e32 v19, 32, v0
	v_subrev_u32_e32 v0, 28, v19
	v_lshlrev_b64 v[0:1], v0, v[16:17]
	v_sub_u32_e32 v1, 29, v19
	v_and_b32_e32 v0, 7, v0
	v_cndmask_b32_e32 v1, v17, v1, vcc
	v_cndmask_b32_e32 v0, v5, v0, vcc
	v_lshlrev_b32_e32 v5, 24, v34
	v_lshlrev_b32_e32 v0, 20, v0
	v_and_b32_e32 v5, 0x80000000, v5
	v_lshl_add_u32 v1, v1, 23, v54
	v_or3_b32 v5, v5, v1, v0
.LBB4_5784:                             ;   in Loop: Header=BB4_5629 Depth=3
	s_or_b64 exec, exec, s[52:53]
.LBB4_5785:                             ;   in Loop: Header=BB4_5629 Depth=3
	s_or_b64 exec, exec, s[50:51]
.LBB4_5786:                             ;   in Loop: Header=BB4_5629 Depth=3
	s_or_b64 exec, exec, s[48:49]
	v_max_f32_e32 v0, v5, v5
	v_max_f32_e32 v1, v4, v4
	;; [unrolled: 1-line block ×3, first 2 shown]
	s_mov_b64 s[48:49], 0
.LBB4_5787:                             ;   in Loop: Header=BB4_5629 Depth=3
	s_and_b64 vcc, exec, s[48:49]
	s_cbranch_vccz .LBB4_5801
; %bb.5788:                             ;   in Loop: Header=BB4_5629 Depth=3
	v_mov_b32_e32 v5, 0
	v_mov_b32_e32 v4, 0
	s_and_saveexec_b64 s[48:49], s[40:41]
	s_cbranch_execz .LBB4_5794
; %bb.5789:                             ;   in Loop: Header=BB4_5629 Depth=3
	v_cmp_ne_u16_e32 vcc, s80, v2
	v_bfrev_b32_e32 v4, 1
	s_and_saveexec_b64 s[40:41], vcc
	s_cbranch_execz .LBB4_5793
; %bb.5790:                             ;   in Loop: Header=BB4_5629 Depth=3
	v_and_b32_e32 v0, 0x7f, v61
	v_cmp_ne_u32_e32 vcc, s81, v0
	v_mov_b32_e32 v4, 0x7f800001
	s_and_saveexec_b64 s[50:51], vcc
	s_cbranch_execz .LBB4_5792
; %bb.5791:                             ;   in Loop: Header=BB4_5629 Depth=3
	v_and_b32_e32 v4, 7, v2
	v_lshrrev_b32_e32 v16, 3, v0
	v_cmp_gt_u32_e32 vcc, 8, v0
	v_ffbh_u32_e32 v0, v4
	v_min_u32_e32 v17, 32, v0
	v_subrev_u32_e32 v0, 28, v17
	v_lshlrev_b64 v[0:1], v0, v[2:3]
	v_sub_u32_e32 v1, 29, v17
	v_and_b32_e32 v0, 7, v0
	v_cndmask_b32_e32 v1, v16, v1, vcc
	v_cndmask_b32_e32 v0, v4, v0, vcc
	v_lshlrev_b32_e32 v2, 24, v61
	v_lshlrev_b32_e32 v0, 20, v0
	v_and_b32_e32 v2, 0x80000000, v2
	v_lshl_add_u32 v1, v1, 23, v54
	v_or3_b32 v4, v2, v1, v0
.LBB4_5792:                             ;   in Loop: Header=BB4_5629 Depth=3
	s_or_b64 exec, exec, s[50:51]
.LBB4_5793:                             ;   in Loop: Header=BB4_5629 Depth=3
	s_or_b64 exec, exec, s[40:41]
.LBB4_5794:                             ;   in Loop: Header=BB4_5629 Depth=3
	s_or_b64 exec, exec, s[48:49]
	v_and_b32_e32 v2, 0xff, v34
	v_cmp_ne_u16_e32 vcc, 0, v2
	s_and_saveexec_b64 s[40:41], vcc
	s_cbranch_execz .LBB4_5800
; %bb.5795:                             ;   in Loop: Header=BB4_5629 Depth=3
	v_cmp_ne_u16_e32 vcc, s80, v2
	v_bfrev_b32_e32 v5, 1
	s_and_saveexec_b64 s[48:49], vcc
	s_cbranch_execz .LBB4_5799
; %bb.5796:                             ;   in Loop: Header=BB4_5629 Depth=3
	v_and_b32_e32 v0, 0x7f, v34
	v_cmp_ne_u32_e32 vcc, s81, v0
	v_mov_b32_e32 v5, 0x7f800001
	s_and_saveexec_b64 s[50:51], vcc
	s_cbranch_execz .LBB4_5798
; %bb.5797:                             ;   in Loop: Header=BB4_5629 Depth=3
	v_and_b32_e32 v5, 7, v2
	v_lshrrev_b32_e32 v16, 3, v0
	v_cmp_gt_u32_e32 vcc, 8, v0
	v_ffbh_u32_e32 v0, v5
	v_min_u32_e32 v17, 32, v0
	v_subrev_u32_e32 v0, 28, v17
	v_lshlrev_b64 v[0:1], v0, v[2:3]
	v_sub_u32_e32 v1, 29, v17
	v_and_b32_e32 v0, 7, v0
	v_cndmask_b32_e32 v1, v16, v1, vcc
	v_cndmask_b32_e32 v0, v5, v0, vcc
	v_lshlrev_b32_e32 v2, 24, v34
	v_lshlrev_b32_e32 v0, 20, v0
	v_and_b32_e32 v2, 0x80000000, v2
	v_lshl_add_u32 v1, v1, 23, v54
	v_or3_b32 v5, v2, v1, v0
.LBB4_5798:                             ;   in Loop: Header=BB4_5629 Depth=3
	s_or_b64 exec, exec, s[50:51]
.LBB4_5799:                             ;   in Loop: Header=BB4_5629 Depth=3
	s_or_b64 exec, exec, s[48:49]
.LBB4_5800:                             ;   in Loop: Header=BB4_5629 Depth=3
	s_or_b64 exec, exec, s[40:41]
	v_max_f32_e32 v0, v5, v5
	v_max_f32_e32 v1, v4, v4
	v_min_f32_e32 v4, v1, v0
.LBB4_5801:                             ;   in Loop: Header=BB4_5629 Depth=3
	v_and_b32_e32 v2, 0x7f800000, v4
	v_cmp_ne_u64_e32 vcc, s[76:77], v[2:3]
                                        ; implicit-def: $vgpr34
	s_and_saveexec_b64 s[40:41], vcc
	s_xor_b64 s[48:49], exec, s[40:41]
	s_cbranch_execz .LBB4_5819
; %bb.5802:                             ;   in Loop: Header=BB4_5629 Depth=3
	v_and_b32_e32 v2, 0x7fffffff, v4
	v_cmp_gt_u64_e32 vcc, s[78:79], v[2:3]
	v_and_b32_sdwa v19, v4, s80 dst_sel:DWORD dst_unused:UNUSED_PAD src0_sel:BYTE_3 src1_sel:DWORD
                                        ; implicit-def: $vgpr34
	s_and_saveexec_b64 s[40:41], vcc
	s_xor_b64 s[50:51], exec, s[40:41]
	s_cbranch_execz .LBB4_5816
; %bb.5803:                             ;   in Loop: Header=BB4_5629 Depth=3
	v_cmp_ne_u32_e32 vcc, 0, v4
	v_mov_b32_e32 v34, 0
	s_and_saveexec_b64 s[52:53], vcc
	s_cbranch_execz .LBB4_5815
; %bb.5804:                             ;   in Loop: Header=BB4_5629 Depth=3
	v_bfe_u32 v21, v4, 23, 8
	v_cmp_gt_u32_e64 s[40:41], s83, v21
	v_sub_u32_e32 v1, 0x79, v21
	v_and_b32_e32 v0, 0x7fffff, v4
	v_cmp_eq_u32_e32 vcc, 0, v21
	v_cndmask_b32_e64 v1, 0, v1, s[40:41]
	v_mov_b32_e32 v4, 0x78
	v_or_b32_e32 v2, 0x800000, v0
	v_cndmask_b32_e32 v1, v1, v4, vcc
	v_cndmask_b32_e32 v2, v2, v0, vcc
	v_add_u32_e32 v0, 20, v1
	v_lshlrev_b64 v[4:5], v0, -1
	v_add_u32_e32 v0, 19, v1
	v_lshlrev_b64 v[16:17], v0, 1
	v_bfi_b32 v5, v5, 0, 0
	v_bfi_b32 v4, v4, 0, v2
	v_cmp_eq_u64_e64 s[40:41], v[4:5], v[16:17]
	v_lshrrev_b64 v[16:17], v1, v[2:3]
	v_mov_b32_e32 v4, v16
	v_mov_b32_e32 v5, v17
	s_and_saveexec_b64 s[54:55], s[40:41]
; %bb.5805:                             ;   in Loop: Header=BB4_5629 Depth=3
	v_bfe_u32 v0, v16, 20, 1
	v_add_co_u32_e64 v0, s[40:41], v16, v0
	v_add_co_u32_e64 v4, s[40:41], -1, v0
; %bb.5806:                             ;   in Loop: Header=BB4_5629 Depth=3
	s_or_b64 exec, exec, s[54:55]
	v_add_u32_e32 v0, 0xffffff81, v21
	v_mov_b32_e32 v2, 0xffffff82
	v_cndmask_b32_e32 v0, v0, v2, vcc
	v_lshrrev_b32_e32 v2, 23, v16
	v_add3_u32 v1, v1, v0, v2
	v_add_u32_e32 v0, 6, v1
	v_and_b32_e32 v2, 0xfffff, v4
	v_add_u32_e32 v2, v2, v16
	v_cmp_ne_u32_e32 vcc, 0, v0
                                        ; implicit-def: $vgpr16_vgpr17
                                        ; implicit-def: $vgpr4
	s_and_saveexec_b64 s[40:41], vcc
	s_xor_b64 s[40:41], exec, s[40:41]
; %bb.5807:                             ;   in Loop: Header=BB4_5629 Depth=3
	v_cmp_lt_u64_e32 vcc, s[88:89], v[2:3]
	v_add_u32_e32 v1, 7, v1
	v_cndmask_b32_e32 v4, v0, v1, vcc
	v_cndmask_b32_e64 v0, 0, 1, vcc
	v_lshrrev_b64 v[16:17], v0, v[2:3]
; %bb.5808:                             ;   in Loop: Header=BB4_5629 Depth=3
	s_andn2_saveexec_b64 s[40:41], s[40:41]
; %bb.5809:                             ;   in Loop: Header=BB4_5629 Depth=3
	v_mov_b32_e32 v17, v3
	v_bfe_u32 v4, v2, 23, 1
	v_mov_b32_e32 v16, v2
; %bb.5810:                             ;   in Loop: Header=BB4_5629 Depth=3
	s_or_b64 exec, exec, s[40:41]
	v_lshrrev_b64 v[0:1], 20, v[16:17]
	v_cmp_gt_i32_e32 vcc, 16, v4
	v_cndmask_b32_e32 v17, 0, v1, vcc
	v_cndmask_b32_e32 v16, 7, v0, vcc
	v_cmp_ne_u64_e32 vcc, 0, v[16:17]
	v_cmp_ne_u32_e64 s[40:41], 0, v4
	s_or_b64 s[40:41], s[40:41], vcc
                                        ; implicit-def: $vgpr34
	s_and_saveexec_b64 vcc, s[40:41]
	s_xor_b64 s[40:41], exec, vcc
; %bb.5811:                             ;   in Loop: Header=BB4_5629 Depth=3
	v_min_i32_e32 v0, 15, v4
	v_lshl_or_b32 v0, v0, 3, v19
	v_and_or_b32 v34, v16, 7, v0
                                        ; implicit-def: $vgpr19
; %bb.5812:                             ;   in Loop: Header=BB4_5629 Depth=3
	s_andn2_saveexec_b64 s[40:41], s[40:41]
; %bb.5813:                             ;   in Loop: Header=BB4_5629 Depth=3
	v_mov_b32_e32 v34, v19
; %bb.5814:                             ;   in Loop: Header=BB4_5629 Depth=3
	s_or_b64 exec, exec, s[40:41]
.LBB4_5815:                             ;   in Loop: Header=BB4_5629 Depth=3
	s_or_b64 exec, exec, s[52:53]
                                        ; implicit-def: $vgpr19
.LBB4_5816:                             ;   in Loop: Header=BB4_5629 Depth=3
	s_andn2_saveexec_b64 s[40:41], s[50:51]
; %bb.5817:                             ;   in Loop: Header=BB4_5629 Depth=3
	v_or_b32_e32 v34, 0x7e, v19
; %bb.5818:                             ;   in Loop: Header=BB4_5629 Depth=3
	s_or_b64 exec, exec, s[40:41]
                                        ; implicit-def: $vgpr4
.LBB4_5819:                             ;   in Loop: Header=BB4_5629 Depth=3
	s_andn2_saveexec_b64 s[40:41], s[48:49]
; %bb.5820:                             ;   in Loop: Header=BB4_5629 Depth=3
	v_or_b32_sdwa v34, v4, s81 dst_sel:DWORD dst_unused:UNUSED_PAD src0_sel:BYTE_3 src1_sel:DWORD
; %bb.5821:                             ;   in Loop: Header=BB4_5629 Depth=3
	s_or_b64 exec, exec, s[40:41]
	v_and_b32_e32 v2, 0xff, v42
	v_cmp_ne_u16_e64 s[40:41], 0, v2
	s_and_b64 vcc, exec, s[28:29]
	s_mov_b64 s[48:49], -1
                                        ; implicit-def: $vgpr4
	s_cbranch_vccnz .LBB4_5835
; %bb.5822:                             ;   in Loop: Header=BB4_5629 Depth=3
	v_mov_b32_e32 v5, 0
	v_mov_b32_e32 v4, 0
	s_and_saveexec_b64 s[48:49], s[40:41]
	s_cbranch_execz .LBB4_5828
; %bb.5823:                             ;   in Loop: Header=BB4_5629 Depth=3
	v_cmp_ne_u16_e32 vcc, s80, v2
	v_bfrev_b32_e32 v4, 1
	s_and_saveexec_b64 s[50:51], vcc
	s_cbranch_execz .LBB4_5827
; %bb.5824:                             ;   in Loop: Header=BB4_5629 Depth=3
	v_and_b32_e32 v0, 0x7f, v42
	v_cmp_ne_u32_e32 vcc, s81, v0
	v_mov_b32_e32 v4, 0x7f800001
	s_and_saveexec_b64 s[52:53], vcc
	s_cbranch_execz .LBB4_5826
; %bb.5825:                             ;   in Loop: Header=BB4_5629 Depth=3
	v_and_b32_e32 v4, 7, v2
	v_lshrrev_b32_e32 v16, 3, v0
	v_cmp_gt_u32_e32 vcc, 8, v0
	v_ffbh_u32_e32 v0, v4
	v_min_u32_e32 v17, 32, v0
	v_subrev_u32_e32 v0, 28, v17
	v_lshlrev_b64 v[0:1], v0, v[2:3]
	v_sub_u32_e32 v1, 29, v17
	v_and_b32_e32 v0, 7, v0
	v_cndmask_b32_e32 v1, v16, v1, vcc
	v_cndmask_b32_e32 v0, v4, v0, vcc
	v_lshlrev_b32_e32 v4, 24, v42
	v_lshlrev_b32_e32 v0, 20, v0
	v_and_b32_e32 v4, 0x80000000, v4
	v_lshl_add_u32 v1, v1, 23, v54
	v_or3_b32 v4, v4, v1, v0
.LBB4_5826:                             ;   in Loop: Header=BB4_5629 Depth=3
	s_or_b64 exec, exec, s[52:53]
.LBB4_5827:                             ;   in Loop: Header=BB4_5629 Depth=3
	s_or_b64 exec, exec, s[50:51]
.LBB4_5828:                             ;   in Loop: Header=BB4_5629 Depth=3
	s_or_b64 exec, exec, s[48:49]
	v_and_b32_e32 v16, 0xff, v37
	v_cmp_ne_u16_e32 vcc, 0, v16
	s_and_saveexec_b64 s[48:49], vcc
	s_cbranch_execz .LBB4_5834
; %bb.5829:                             ;   in Loop: Header=BB4_5629 Depth=3
	v_cmp_ne_u16_e32 vcc, s80, v16
	v_bfrev_b32_e32 v5, 1
	s_and_saveexec_b64 s[50:51], vcc
	s_cbranch_execz .LBB4_5833
; %bb.5830:                             ;   in Loop: Header=BB4_5629 Depth=3
	v_and_b32_e32 v0, 0x7f, v37
	v_cmp_ne_u32_e32 vcc, s81, v0
	v_mov_b32_e32 v5, 0x7f800001
	s_and_saveexec_b64 s[52:53], vcc
	s_cbranch_execz .LBB4_5832
; %bb.5831:                             ;   in Loop: Header=BB4_5629 Depth=3
	v_and_b32_e32 v5, 7, v16
	v_lshrrev_b32_e32 v17, 3, v0
	v_cmp_gt_u32_e32 vcc, 8, v0
	v_ffbh_u32_e32 v0, v5
	v_min_u32_e32 v19, 32, v0
	v_subrev_u32_e32 v0, 28, v19
	v_lshlrev_b64 v[0:1], v0, v[16:17]
	v_sub_u32_e32 v1, 29, v19
	v_and_b32_e32 v0, 7, v0
	v_cndmask_b32_e32 v1, v17, v1, vcc
	v_cndmask_b32_e32 v0, v5, v0, vcc
	v_lshlrev_b32_e32 v5, 24, v37
	v_lshlrev_b32_e32 v0, 20, v0
	v_and_b32_e32 v5, 0x80000000, v5
	v_lshl_add_u32 v1, v1, 23, v54
	v_or3_b32 v5, v5, v1, v0
.LBB4_5832:                             ;   in Loop: Header=BB4_5629 Depth=3
	s_or_b64 exec, exec, s[52:53]
.LBB4_5833:                             ;   in Loop: Header=BB4_5629 Depth=3
	s_or_b64 exec, exec, s[50:51]
.LBB4_5834:                             ;   in Loop: Header=BB4_5629 Depth=3
	s_or_b64 exec, exec, s[48:49]
	v_max_f32_e32 v0, v5, v5
	v_max_f32_e32 v1, v4, v4
	;; [unrolled: 1-line block ×3, first 2 shown]
	s_mov_b64 s[48:49], 0
.LBB4_5835:                             ;   in Loop: Header=BB4_5629 Depth=3
	s_and_b64 vcc, exec, s[48:49]
	s_cbranch_vccz .LBB4_5849
; %bb.5836:                             ;   in Loop: Header=BB4_5629 Depth=3
	v_mov_b32_e32 v5, 0
	v_mov_b32_e32 v4, 0
	s_and_saveexec_b64 s[48:49], s[40:41]
	s_cbranch_execz .LBB4_5842
; %bb.5837:                             ;   in Loop: Header=BB4_5629 Depth=3
	v_cmp_ne_u16_e32 vcc, s80, v2
	v_bfrev_b32_e32 v4, 1
	s_and_saveexec_b64 s[40:41], vcc
	s_cbranch_execz .LBB4_5841
; %bb.5838:                             ;   in Loop: Header=BB4_5629 Depth=3
	v_and_b32_e32 v0, 0x7f, v42
	v_cmp_ne_u32_e32 vcc, s81, v0
	v_mov_b32_e32 v4, 0x7f800001
	s_and_saveexec_b64 s[50:51], vcc
	s_cbranch_execz .LBB4_5840
; %bb.5839:                             ;   in Loop: Header=BB4_5629 Depth=3
	v_and_b32_e32 v4, 7, v2
	v_lshrrev_b32_e32 v16, 3, v0
	v_cmp_gt_u32_e32 vcc, 8, v0
	v_ffbh_u32_e32 v0, v4
	v_min_u32_e32 v17, 32, v0
	v_subrev_u32_e32 v0, 28, v17
	v_lshlrev_b64 v[0:1], v0, v[2:3]
	v_sub_u32_e32 v1, 29, v17
	v_and_b32_e32 v0, 7, v0
	v_cndmask_b32_e32 v1, v16, v1, vcc
	v_cndmask_b32_e32 v0, v4, v0, vcc
	v_lshlrev_b32_e32 v2, 24, v42
	v_lshlrev_b32_e32 v0, 20, v0
	v_and_b32_e32 v2, 0x80000000, v2
	v_lshl_add_u32 v1, v1, 23, v54
	v_or3_b32 v4, v2, v1, v0
.LBB4_5840:                             ;   in Loop: Header=BB4_5629 Depth=3
	s_or_b64 exec, exec, s[50:51]
.LBB4_5841:                             ;   in Loop: Header=BB4_5629 Depth=3
	s_or_b64 exec, exec, s[40:41]
.LBB4_5842:                             ;   in Loop: Header=BB4_5629 Depth=3
	s_or_b64 exec, exec, s[48:49]
	v_and_b32_e32 v2, 0xff, v37
	v_cmp_ne_u16_e32 vcc, 0, v2
	s_and_saveexec_b64 s[40:41], vcc
	s_cbranch_execz .LBB4_5848
; %bb.5843:                             ;   in Loop: Header=BB4_5629 Depth=3
	v_cmp_ne_u16_e32 vcc, s80, v2
	v_bfrev_b32_e32 v5, 1
	s_and_saveexec_b64 s[48:49], vcc
	s_cbranch_execz .LBB4_5847
; %bb.5844:                             ;   in Loop: Header=BB4_5629 Depth=3
	v_and_b32_e32 v0, 0x7f, v37
	v_cmp_ne_u32_e32 vcc, s81, v0
	v_mov_b32_e32 v5, 0x7f800001
	s_and_saveexec_b64 s[50:51], vcc
	s_cbranch_execz .LBB4_5846
; %bb.5845:                             ;   in Loop: Header=BB4_5629 Depth=3
	v_and_b32_e32 v5, 7, v2
	v_lshrrev_b32_e32 v16, 3, v0
	v_cmp_gt_u32_e32 vcc, 8, v0
	v_ffbh_u32_e32 v0, v5
	v_min_u32_e32 v17, 32, v0
	v_subrev_u32_e32 v0, 28, v17
	v_lshlrev_b64 v[0:1], v0, v[2:3]
	v_sub_u32_e32 v1, 29, v17
	v_and_b32_e32 v0, 7, v0
	v_cndmask_b32_e32 v1, v16, v1, vcc
	v_cndmask_b32_e32 v0, v5, v0, vcc
	v_lshlrev_b32_e32 v2, 24, v37
	v_lshlrev_b32_e32 v0, 20, v0
	v_and_b32_e32 v2, 0x80000000, v2
	v_lshl_add_u32 v1, v1, 23, v54
	v_or3_b32 v5, v2, v1, v0
.LBB4_5846:                             ;   in Loop: Header=BB4_5629 Depth=3
	s_or_b64 exec, exec, s[50:51]
.LBB4_5847:                             ;   in Loop: Header=BB4_5629 Depth=3
	s_or_b64 exec, exec, s[48:49]
.LBB4_5848:                             ;   in Loop: Header=BB4_5629 Depth=3
	s_or_b64 exec, exec, s[40:41]
	v_max_f32_e32 v0, v5, v5
	v_max_f32_e32 v1, v4, v4
	v_min_f32_e32 v4, v1, v0
.LBB4_5849:                             ;   in Loop: Header=BB4_5629 Depth=3
	v_and_b32_e32 v2, 0x7f800000, v4
	v_cmp_ne_u64_e32 vcc, s[76:77], v[2:3]
                                        ; implicit-def: $vgpr37
	s_and_saveexec_b64 s[40:41], vcc
	s_xor_b64 s[48:49], exec, s[40:41]
	s_cbranch_execz .LBB4_5867
; %bb.5850:                             ;   in Loop: Header=BB4_5629 Depth=3
	v_and_b32_e32 v2, 0x7fffffff, v4
	v_cmp_gt_u64_e32 vcc, s[78:79], v[2:3]
	v_and_b32_sdwa v19, v4, s80 dst_sel:DWORD dst_unused:UNUSED_PAD src0_sel:BYTE_3 src1_sel:DWORD
                                        ; implicit-def: $vgpr37
	s_and_saveexec_b64 s[40:41], vcc
	s_xor_b64 s[50:51], exec, s[40:41]
	s_cbranch_execz .LBB4_5864
; %bb.5851:                             ;   in Loop: Header=BB4_5629 Depth=3
	v_cmp_ne_u32_e32 vcc, 0, v4
	v_mov_b32_e32 v37, 0
	s_and_saveexec_b64 s[52:53], vcc
	s_cbranch_execz .LBB4_5863
; %bb.5852:                             ;   in Loop: Header=BB4_5629 Depth=3
	v_bfe_u32 v21, v4, 23, 8
	v_cmp_gt_u32_e64 s[40:41], s83, v21
	v_sub_u32_e32 v1, 0x79, v21
	v_and_b32_e32 v0, 0x7fffff, v4
	v_cmp_eq_u32_e32 vcc, 0, v21
	v_cndmask_b32_e64 v1, 0, v1, s[40:41]
	v_mov_b32_e32 v4, 0x78
	v_or_b32_e32 v2, 0x800000, v0
	v_cndmask_b32_e32 v1, v1, v4, vcc
	v_cndmask_b32_e32 v2, v2, v0, vcc
	v_add_u32_e32 v0, 20, v1
	v_lshlrev_b64 v[4:5], v0, -1
	v_add_u32_e32 v0, 19, v1
	v_lshlrev_b64 v[16:17], v0, 1
	v_bfi_b32 v5, v5, 0, 0
	v_bfi_b32 v4, v4, 0, v2
	v_cmp_eq_u64_e64 s[40:41], v[4:5], v[16:17]
	v_lshrrev_b64 v[16:17], v1, v[2:3]
	v_mov_b32_e32 v4, v16
	v_mov_b32_e32 v5, v17
	s_and_saveexec_b64 s[54:55], s[40:41]
; %bb.5853:                             ;   in Loop: Header=BB4_5629 Depth=3
	v_bfe_u32 v0, v16, 20, 1
	v_add_co_u32_e64 v0, s[40:41], v16, v0
	v_add_co_u32_e64 v4, s[40:41], -1, v0
; %bb.5854:                             ;   in Loop: Header=BB4_5629 Depth=3
	s_or_b64 exec, exec, s[54:55]
	v_add_u32_e32 v0, 0xffffff81, v21
	v_mov_b32_e32 v2, 0xffffff82
	v_cndmask_b32_e32 v0, v0, v2, vcc
	v_lshrrev_b32_e32 v2, 23, v16
	v_add3_u32 v1, v1, v0, v2
	v_add_u32_e32 v0, 6, v1
	v_and_b32_e32 v2, 0xfffff, v4
	v_add_u32_e32 v2, v2, v16
	v_cmp_ne_u32_e32 vcc, 0, v0
                                        ; implicit-def: $vgpr16_vgpr17
                                        ; implicit-def: $vgpr4
	s_and_saveexec_b64 s[40:41], vcc
	s_xor_b64 s[40:41], exec, s[40:41]
; %bb.5855:                             ;   in Loop: Header=BB4_5629 Depth=3
	v_cmp_lt_u64_e32 vcc, s[88:89], v[2:3]
	v_add_u32_e32 v1, 7, v1
	v_cndmask_b32_e32 v4, v0, v1, vcc
	v_cndmask_b32_e64 v0, 0, 1, vcc
	v_lshrrev_b64 v[16:17], v0, v[2:3]
; %bb.5856:                             ;   in Loop: Header=BB4_5629 Depth=3
	s_andn2_saveexec_b64 s[40:41], s[40:41]
; %bb.5857:                             ;   in Loop: Header=BB4_5629 Depth=3
	v_mov_b32_e32 v17, v3
	v_bfe_u32 v4, v2, 23, 1
	v_mov_b32_e32 v16, v2
; %bb.5858:                             ;   in Loop: Header=BB4_5629 Depth=3
	s_or_b64 exec, exec, s[40:41]
	v_lshrrev_b64 v[0:1], 20, v[16:17]
	v_cmp_gt_i32_e32 vcc, 16, v4
	v_cndmask_b32_e32 v17, 0, v1, vcc
	v_cndmask_b32_e32 v16, 7, v0, vcc
	v_cmp_ne_u64_e32 vcc, 0, v[16:17]
	v_cmp_ne_u32_e64 s[40:41], 0, v4
	s_or_b64 s[40:41], s[40:41], vcc
                                        ; implicit-def: $vgpr37
	s_and_saveexec_b64 vcc, s[40:41]
	s_xor_b64 s[40:41], exec, vcc
; %bb.5859:                             ;   in Loop: Header=BB4_5629 Depth=3
	v_min_i32_e32 v0, 15, v4
	v_lshl_or_b32 v0, v0, 3, v19
	v_and_or_b32 v37, v16, 7, v0
                                        ; implicit-def: $vgpr19
; %bb.5860:                             ;   in Loop: Header=BB4_5629 Depth=3
	s_andn2_saveexec_b64 s[40:41], s[40:41]
; %bb.5861:                             ;   in Loop: Header=BB4_5629 Depth=3
	v_mov_b32_e32 v37, v19
; %bb.5862:                             ;   in Loop: Header=BB4_5629 Depth=3
	s_or_b64 exec, exec, s[40:41]
.LBB4_5863:                             ;   in Loop: Header=BB4_5629 Depth=3
	s_or_b64 exec, exec, s[52:53]
                                        ; implicit-def: $vgpr19
.LBB4_5864:                             ;   in Loop: Header=BB4_5629 Depth=3
	s_andn2_saveexec_b64 s[40:41], s[50:51]
; %bb.5865:                             ;   in Loop: Header=BB4_5629 Depth=3
	v_or_b32_e32 v37, 0x7e, v19
; %bb.5866:                             ;   in Loop: Header=BB4_5629 Depth=3
	s_or_b64 exec, exec, s[40:41]
                                        ; implicit-def: $vgpr4
.LBB4_5867:                             ;   in Loop: Header=BB4_5629 Depth=3
	s_andn2_saveexec_b64 s[40:41], s[48:49]
; %bb.5868:                             ;   in Loop: Header=BB4_5629 Depth=3
	v_or_b32_sdwa v37, v4, s81 dst_sel:DWORD dst_unused:UNUSED_PAD src0_sel:BYTE_3 src1_sel:DWORD
; %bb.5869:                             ;   in Loop: Header=BB4_5629 Depth=3
	s_or_b64 exec, exec, s[40:41]
	v_and_b32_e32 v2, 0xff, v55
	v_cmp_ne_u16_e64 s[40:41], 0, v2
	s_and_b64 vcc, exec, s[28:29]
	s_mov_b64 s[48:49], -1
                                        ; implicit-def: $vgpr4
	s_cbranch_vccnz .LBB4_5883
; %bb.5870:                             ;   in Loop: Header=BB4_5629 Depth=3
	v_mov_b32_e32 v5, 0
	v_mov_b32_e32 v4, 0
	s_and_saveexec_b64 s[48:49], s[40:41]
	s_cbranch_execz .LBB4_5876
; %bb.5871:                             ;   in Loop: Header=BB4_5629 Depth=3
	v_cmp_ne_u16_e32 vcc, s80, v2
	v_bfrev_b32_e32 v4, 1
	s_and_saveexec_b64 s[50:51], vcc
	s_cbranch_execz .LBB4_5875
; %bb.5872:                             ;   in Loop: Header=BB4_5629 Depth=3
	v_and_b32_e32 v0, 0x7f, v55
	v_cmp_ne_u32_e32 vcc, s81, v0
	v_mov_b32_e32 v4, 0x7f800001
	s_and_saveexec_b64 s[52:53], vcc
	s_cbranch_execz .LBB4_5874
; %bb.5873:                             ;   in Loop: Header=BB4_5629 Depth=3
	v_and_b32_e32 v4, 7, v2
	v_lshrrev_b32_e32 v16, 3, v0
	v_cmp_gt_u32_e32 vcc, 8, v0
	v_ffbh_u32_e32 v0, v4
	v_min_u32_e32 v17, 32, v0
	v_subrev_u32_e32 v0, 28, v17
	v_lshlrev_b64 v[0:1], v0, v[2:3]
	v_sub_u32_e32 v1, 29, v17
	v_and_b32_e32 v0, 7, v0
	v_cndmask_b32_e32 v1, v16, v1, vcc
	v_cndmask_b32_e32 v0, v4, v0, vcc
	v_lshlrev_b32_e32 v4, 24, v55
	v_lshlrev_b32_e32 v0, 20, v0
	v_and_b32_e32 v4, 0x80000000, v4
	v_lshl_add_u32 v1, v1, 23, v54
	v_or3_b32 v4, v4, v1, v0
.LBB4_5874:                             ;   in Loop: Header=BB4_5629 Depth=3
	s_or_b64 exec, exec, s[52:53]
.LBB4_5875:                             ;   in Loop: Header=BB4_5629 Depth=3
	s_or_b64 exec, exec, s[50:51]
.LBB4_5876:                             ;   in Loop: Header=BB4_5629 Depth=3
	s_or_b64 exec, exec, s[48:49]
	v_and_b32_e32 v16, 0xff, v53
	v_cmp_ne_u16_e32 vcc, 0, v16
	s_and_saveexec_b64 s[48:49], vcc
	s_cbranch_execz .LBB4_5882
; %bb.5877:                             ;   in Loop: Header=BB4_5629 Depth=3
	v_cmp_ne_u16_e32 vcc, s80, v16
	v_bfrev_b32_e32 v5, 1
	s_and_saveexec_b64 s[50:51], vcc
	s_cbranch_execz .LBB4_5881
; %bb.5878:                             ;   in Loop: Header=BB4_5629 Depth=3
	v_and_b32_e32 v0, 0x7f, v53
	v_cmp_ne_u32_e32 vcc, s81, v0
	v_mov_b32_e32 v5, 0x7f800001
	s_and_saveexec_b64 s[52:53], vcc
	s_cbranch_execz .LBB4_5880
; %bb.5879:                             ;   in Loop: Header=BB4_5629 Depth=3
	v_and_b32_e32 v5, 7, v16
	v_lshrrev_b32_e32 v17, 3, v0
	v_cmp_gt_u32_e32 vcc, 8, v0
	v_ffbh_u32_e32 v0, v5
	v_min_u32_e32 v19, 32, v0
	v_subrev_u32_e32 v0, 28, v19
	v_lshlrev_b64 v[0:1], v0, v[16:17]
	v_sub_u32_e32 v1, 29, v19
	v_and_b32_e32 v0, 7, v0
	v_cndmask_b32_e32 v1, v17, v1, vcc
	v_cndmask_b32_e32 v0, v5, v0, vcc
	v_lshlrev_b32_e32 v5, 24, v53
	v_lshlrev_b32_e32 v0, 20, v0
	v_and_b32_e32 v5, 0x80000000, v5
	v_lshl_add_u32 v1, v1, 23, v54
	v_or3_b32 v5, v5, v1, v0
.LBB4_5880:                             ;   in Loop: Header=BB4_5629 Depth=3
	s_or_b64 exec, exec, s[52:53]
.LBB4_5881:                             ;   in Loop: Header=BB4_5629 Depth=3
	s_or_b64 exec, exec, s[50:51]
.LBB4_5882:                             ;   in Loop: Header=BB4_5629 Depth=3
	s_or_b64 exec, exec, s[48:49]
	v_max_f32_e32 v0, v5, v5
	v_max_f32_e32 v1, v4, v4
	;; [unrolled: 1-line block ×3, first 2 shown]
	s_mov_b64 s[48:49], 0
.LBB4_5883:                             ;   in Loop: Header=BB4_5629 Depth=3
	s_and_b64 vcc, exec, s[48:49]
	s_cbranch_vccz .LBB4_5897
; %bb.5884:                             ;   in Loop: Header=BB4_5629 Depth=3
	v_mov_b32_e32 v5, 0
	v_mov_b32_e32 v4, 0
	s_and_saveexec_b64 s[48:49], s[40:41]
	s_cbranch_execz .LBB4_5890
; %bb.5885:                             ;   in Loop: Header=BB4_5629 Depth=3
	v_cmp_ne_u16_e32 vcc, s80, v2
	v_bfrev_b32_e32 v4, 1
	s_and_saveexec_b64 s[40:41], vcc
	s_cbranch_execz .LBB4_5889
; %bb.5886:                             ;   in Loop: Header=BB4_5629 Depth=3
	v_and_b32_e32 v0, 0x7f, v55
	v_cmp_ne_u32_e32 vcc, s81, v0
	v_mov_b32_e32 v4, 0x7f800001
	s_and_saveexec_b64 s[50:51], vcc
	s_cbranch_execz .LBB4_5888
; %bb.5887:                             ;   in Loop: Header=BB4_5629 Depth=3
	v_and_b32_e32 v4, 7, v2
	v_lshrrev_b32_e32 v16, 3, v0
	v_cmp_gt_u32_e32 vcc, 8, v0
	v_ffbh_u32_e32 v0, v4
	v_min_u32_e32 v17, 32, v0
	v_subrev_u32_e32 v0, 28, v17
	v_lshlrev_b64 v[0:1], v0, v[2:3]
	v_sub_u32_e32 v1, 29, v17
	v_and_b32_e32 v0, 7, v0
	v_cndmask_b32_e32 v1, v16, v1, vcc
	v_cndmask_b32_e32 v0, v4, v0, vcc
	v_lshlrev_b32_e32 v2, 24, v55
	v_lshlrev_b32_e32 v0, 20, v0
	v_and_b32_e32 v2, 0x80000000, v2
	v_lshl_add_u32 v1, v1, 23, v54
	v_or3_b32 v4, v2, v1, v0
.LBB4_5888:                             ;   in Loop: Header=BB4_5629 Depth=3
	s_or_b64 exec, exec, s[50:51]
.LBB4_5889:                             ;   in Loop: Header=BB4_5629 Depth=3
	s_or_b64 exec, exec, s[40:41]
.LBB4_5890:                             ;   in Loop: Header=BB4_5629 Depth=3
	s_or_b64 exec, exec, s[48:49]
	v_and_b32_e32 v2, 0xff, v53
	v_cmp_ne_u16_e32 vcc, 0, v2
	s_and_saveexec_b64 s[40:41], vcc
	s_cbranch_execz .LBB4_5896
; %bb.5891:                             ;   in Loop: Header=BB4_5629 Depth=3
	v_cmp_ne_u16_e32 vcc, s80, v2
	v_bfrev_b32_e32 v5, 1
	s_and_saveexec_b64 s[48:49], vcc
	s_cbranch_execz .LBB4_5895
; %bb.5892:                             ;   in Loop: Header=BB4_5629 Depth=3
	v_and_b32_e32 v0, 0x7f, v53
	v_cmp_ne_u32_e32 vcc, s81, v0
	v_mov_b32_e32 v5, 0x7f800001
	s_and_saveexec_b64 s[50:51], vcc
	s_cbranch_execz .LBB4_5894
; %bb.5893:                             ;   in Loop: Header=BB4_5629 Depth=3
	v_and_b32_e32 v5, 7, v2
	v_lshrrev_b32_e32 v16, 3, v0
	v_cmp_gt_u32_e32 vcc, 8, v0
	v_ffbh_u32_e32 v0, v5
	v_min_u32_e32 v17, 32, v0
	v_subrev_u32_e32 v0, 28, v17
	v_lshlrev_b64 v[0:1], v0, v[2:3]
	v_sub_u32_e32 v1, 29, v17
	v_and_b32_e32 v0, 7, v0
	v_cndmask_b32_e32 v1, v16, v1, vcc
	v_cndmask_b32_e32 v0, v5, v0, vcc
	v_lshlrev_b32_e32 v2, 24, v53
	v_lshlrev_b32_e32 v0, 20, v0
	v_and_b32_e32 v2, 0x80000000, v2
	v_lshl_add_u32 v1, v1, 23, v54
	v_or3_b32 v5, v2, v1, v0
.LBB4_5894:                             ;   in Loop: Header=BB4_5629 Depth=3
	s_or_b64 exec, exec, s[50:51]
.LBB4_5895:                             ;   in Loop: Header=BB4_5629 Depth=3
	s_or_b64 exec, exec, s[48:49]
.LBB4_5896:                             ;   in Loop: Header=BB4_5629 Depth=3
	s_or_b64 exec, exec, s[40:41]
	v_max_f32_e32 v0, v5, v5
	v_max_f32_e32 v1, v4, v4
	v_min_f32_e32 v4, v1, v0
.LBB4_5897:                             ;   in Loop: Header=BB4_5629 Depth=3
	v_and_b32_e32 v2, 0x7f800000, v4
	v_cmp_ne_u64_e32 vcc, s[76:77], v[2:3]
                                        ; implicit-def: $vgpr53
	s_and_saveexec_b64 s[40:41], vcc
	s_xor_b64 s[48:49], exec, s[40:41]
	s_cbranch_execz .LBB4_5915
; %bb.5898:                             ;   in Loop: Header=BB4_5629 Depth=3
	v_and_b32_e32 v2, 0x7fffffff, v4
	v_cmp_gt_u64_e32 vcc, s[78:79], v[2:3]
	v_and_b32_sdwa v19, v4, s80 dst_sel:DWORD dst_unused:UNUSED_PAD src0_sel:BYTE_3 src1_sel:DWORD
                                        ; implicit-def: $vgpr53
	s_and_saveexec_b64 s[40:41], vcc
	s_xor_b64 s[50:51], exec, s[40:41]
	s_cbranch_execz .LBB4_5912
; %bb.5899:                             ;   in Loop: Header=BB4_5629 Depth=3
	v_cmp_ne_u32_e32 vcc, 0, v4
	v_mov_b32_e32 v53, 0
	s_and_saveexec_b64 s[52:53], vcc
	s_cbranch_execz .LBB4_5911
; %bb.5900:                             ;   in Loop: Header=BB4_5629 Depth=3
	v_bfe_u32 v21, v4, 23, 8
	v_cmp_gt_u32_e64 s[40:41], s83, v21
	v_sub_u32_e32 v1, 0x79, v21
	v_and_b32_e32 v0, 0x7fffff, v4
	v_cmp_eq_u32_e32 vcc, 0, v21
	v_cndmask_b32_e64 v1, 0, v1, s[40:41]
	v_mov_b32_e32 v4, 0x78
	v_or_b32_e32 v2, 0x800000, v0
	v_cndmask_b32_e32 v1, v1, v4, vcc
	v_cndmask_b32_e32 v2, v2, v0, vcc
	v_add_u32_e32 v0, 20, v1
	v_lshlrev_b64 v[4:5], v0, -1
	v_add_u32_e32 v0, 19, v1
	v_lshlrev_b64 v[16:17], v0, 1
	v_bfi_b32 v5, v5, 0, 0
	v_bfi_b32 v4, v4, 0, v2
	v_cmp_eq_u64_e64 s[40:41], v[4:5], v[16:17]
	v_lshrrev_b64 v[16:17], v1, v[2:3]
	v_mov_b32_e32 v4, v16
	v_mov_b32_e32 v5, v17
	s_and_saveexec_b64 s[54:55], s[40:41]
; %bb.5901:                             ;   in Loop: Header=BB4_5629 Depth=3
	v_bfe_u32 v0, v16, 20, 1
	v_add_co_u32_e64 v0, s[40:41], v16, v0
	v_add_co_u32_e64 v4, s[40:41], -1, v0
; %bb.5902:                             ;   in Loop: Header=BB4_5629 Depth=3
	s_or_b64 exec, exec, s[54:55]
	v_add_u32_e32 v0, 0xffffff81, v21
	v_mov_b32_e32 v2, 0xffffff82
	v_cndmask_b32_e32 v0, v0, v2, vcc
	v_lshrrev_b32_e32 v2, 23, v16
	v_add3_u32 v1, v1, v0, v2
	v_add_u32_e32 v0, 6, v1
	v_and_b32_e32 v2, 0xfffff, v4
	v_add_u32_e32 v2, v2, v16
	v_cmp_ne_u32_e32 vcc, 0, v0
                                        ; implicit-def: $vgpr16_vgpr17
                                        ; implicit-def: $vgpr4
	s_and_saveexec_b64 s[40:41], vcc
	s_xor_b64 s[40:41], exec, s[40:41]
; %bb.5903:                             ;   in Loop: Header=BB4_5629 Depth=3
	v_cmp_lt_u64_e32 vcc, s[88:89], v[2:3]
	v_add_u32_e32 v1, 7, v1
	v_cndmask_b32_e32 v4, v0, v1, vcc
	v_cndmask_b32_e64 v0, 0, 1, vcc
	v_lshrrev_b64 v[16:17], v0, v[2:3]
; %bb.5904:                             ;   in Loop: Header=BB4_5629 Depth=3
	s_andn2_saveexec_b64 s[40:41], s[40:41]
; %bb.5905:                             ;   in Loop: Header=BB4_5629 Depth=3
	v_mov_b32_e32 v17, v3
	v_bfe_u32 v4, v2, 23, 1
	v_mov_b32_e32 v16, v2
; %bb.5906:                             ;   in Loop: Header=BB4_5629 Depth=3
	s_or_b64 exec, exec, s[40:41]
	v_lshrrev_b64 v[0:1], 20, v[16:17]
	v_cmp_gt_i32_e32 vcc, 16, v4
	v_cndmask_b32_e32 v17, 0, v1, vcc
	v_cndmask_b32_e32 v16, 7, v0, vcc
	v_cmp_ne_u64_e32 vcc, 0, v[16:17]
	v_cmp_ne_u32_e64 s[40:41], 0, v4
	s_or_b64 s[40:41], s[40:41], vcc
                                        ; implicit-def: $vgpr53
	s_and_saveexec_b64 vcc, s[40:41]
	s_xor_b64 s[40:41], exec, vcc
; %bb.5907:                             ;   in Loop: Header=BB4_5629 Depth=3
	v_min_i32_e32 v0, 15, v4
	v_lshl_or_b32 v0, v0, 3, v19
	v_and_or_b32 v53, v16, 7, v0
                                        ; implicit-def: $vgpr19
; %bb.5908:                             ;   in Loop: Header=BB4_5629 Depth=3
	s_andn2_saveexec_b64 s[40:41], s[40:41]
; %bb.5909:                             ;   in Loop: Header=BB4_5629 Depth=3
	v_mov_b32_e32 v53, v19
; %bb.5910:                             ;   in Loop: Header=BB4_5629 Depth=3
	s_or_b64 exec, exec, s[40:41]
.LBB4_5911:                             ;   in Loop: Header=BB4_5629 Depth=3
	s_or_b64 exec, exec, s[52:53]
                                        ; implicit-def: $vgpr19
.LBB4_5912:                             ;   in Loop: Header=BB4_5629 Depth=3
	s_andn2_saveexec_b64 s[40:41], s[50:51]
; %bb.5913:                             ;   in Loop: Header=BB4_5629 Depth=3
	v_or_b32_e32 v53, 0x7e, v19
; %bb.5914:                             ;   in Loop: Header=BB4_5629 Depth=3
	s_or_b64 exec, exec, s[40:41]
                                        ; implicit-def: $vgpr4
.LBB4_5915:                             ;   in Loop: Header=BB4_5629 Depth=3
	s_andn2_saveexec_b64 s[40:41], s[48:49]
; %bb.5916:                             ;   in Loop: Header=BB4_5629 Depth=3
	v_or_b32_sdwa v53, v4, s81 dst_sel:DWORD dst_unused:UNUSED_PAD src0_sel:BYTE_3 src1_sel:DWORD
; %bb.5917:                             ;   in Loop: Header=BB4_5629 Depth=3
	s_or_b64 exec, exec, s[40:41]
	v_and_b32_e32 v2, 0xff, v47
	v_cmp_ne_u16_e64 s[40:41], 0, v2
	s_and_b64 vcc, exec, s[28:29]
	s_mov_b64 s[48:49], -1
                                        ; implicit-def: $vgpr4
	s_cbranch_vccnz .LBB4_5931
; %bb.5918:                             ;   in Loop: Header=BB4_5629 Depth=3
	v_mov_b32_e32 v5, 0
	v_mov_b32_e32 v4, 0
	s_and_saveexec_b64 s[48:49], s[40:41]
	s_cbranch_execz .LBB4_5924
; %bb.5919:                             ;   in Loop: Header=BB4_5629 Depth=3
	v_cmp_ne_u16_e32 vcc, s80, v2
	v_bfrev_b32_e32 v4, 1
	s_and_saveexec_b64 s[50:51], vcc
	s_cbranch_execz .LBB4_5923
; %bb.5920:                             ;   in Loop: Header=BB4_5629 Depth=3
	v_and_b32_e32 v0, 0x7f, v47
	v_cmp_ne_u32_e32 vcc, s81, v0
	v_mov_b32_e32 v4, 0x7f800001
	s_and_saveexec_b64 s[52:53], vcc
	s_cbranch_execz .LBB4_5922
; %bb.5921:                             ;   in Loop: Header=BB4_5629 Depth=3
	v_and_b32_e32 v4, 7, v2
	v_lshrrev_b32_e32 v16, 3, v0
	v_cmp_gt_u32_e32 vcc, 8, v0
	v_ffbh_u32_e32 v0, v4
	v_min_u32_e32 v17, 32, v0
	v_subrev_u32_e32 v0, 28, v17
	v_lshlrev_b64 v[0:1], v0, v[2:3]
	v_sub_u32_e32 v1, 29, v17
	v_and_b32_e32 v0, 7, v0
	v_cndmask_b32_e32 v1, v16, v1, vcc
	v_cndmask_b32_e32 v0, v4, v0, vcc
	v_lshlrev_b32_e32 v4, 24, v47
	v_lshlrev_b32_e32 v0, 20, v0
	v_and_b32_e32 v4, 0x80000000, v4
	v_lshl_add_u32 v1, v1, 23, v54
	v_or3_b32 v4, v4, v1, v0
.LBB4_5922:                             ;   in Loop: Header=BB4_5629 Depth=3
	s_or_b64 exec, exec, s[52:53]
.LBB4_5923:                             ;   in Loop: Header=BB4_5629 Depth=3
	s_or_b64 exec, exec, s[50:51]
.LBB4_5924:                             ;   in Loop: Header=BB4_5629 Depth=3
	s_or_b64 exec, exec, s[48:49]
	v_and_b32_e32 v16, 0xff, v43
	v_cmp_ne_u16_e32 vcc, 0, v16
	s_and_saveexec_b64 s[48:49], vcc
	s_cbranch_execz .LBB4_5930
; %bb.5925:                             ;   in Loop: Header=BB4_5629 Depth=3
	v_cmp_ne_u16_e32 vcc, s80, v16
	v_bfrev_b32_e32 v5, 1
	s_and_saveexec_b64 s[50:51], vcc
	s_cbranch_execz .LBB4_5929
; %bb.5926:                             ;   in Loop: Header=BB4_5629 Depth=3
	v_and_b32_e32 v0, 0x7f, v43
	v_cmp_ne_u32_e32 vcc, s81, v0
	v_mov_b32_e32 v5, 0x7f800001
	s_and_saveexec_b64 s[52:53], vcc
	s_cbranch_execz .LBB4_5928
; %bb.5927:                             ;   in Loop: Header=BB4_5629 Depth=3
	v_and_b32_e32 v5, 7, v16
	v_lshrrev_b32_e32 v17, 3, v0
	v_cmp_gt_u32_e32 vcc, 8, v0
	v_ffbh_u32_e32 v0, v5
	v_min_u32_e32 v19, 32, v0
	v_subrev_u32_e32 v0, 28, v19
	v_lshlrev_b64 v[0:1], v0, v[16:17]
	v_sub_u32_e32 v1, 29, v19
	v_and_b32_e32 v0, 7, v0
	v_cndmask_b32_e32 v1, v17, v1, vcc
	v_cndmask_b32_e32 v0, v5, v0, vcc
	v_lshlrev_b32_e32 v5, 24, v43
	v_lshlrev_b32_e32 v0, 20, v0
	v_and_b32_e32 v5, 0x80000000, v5
	v_lshl_add_u32 v1, v1, 23, v54
	v_or3_b32 v5, v5, v1, v0
.LBB4_5928:                             ;   in Loop: Header=BB4_5629 Depth=3
	s_or_b64 exec, exec, s[52:53]
.LBB4_5929:                             ;   in Loop: Header=BB4_5629 Depth=3
	s_or_b64 exec, exec, s[50:51]
.LBB4_5930:                             ;   in Loop: Header=BB4_5629 Depth=3
	s_or_b64 exec, exec, s[48:49]
	v_max_f32_e32 v0, v5, v5
	v_max_f32_e32 v1, v4, v4
	;; [unrolled: 1-line block ×3, first 2 shown]
	s_mov_b64 s[48:49], 0
.LBB4_5931:                             ;   in Loop: Header=BB4_5629 Depth=3
	s_and_b64 vcc, exec, s[48:49]
	s_cbranch_vccz .LBB4_5945
; %bb.5932:                             ;   in Loop: Header=BB4_5629 Depth=3
	v_mov_b32_e32 v5, 0
	v_mov_b32_e32 v4, 0
	s_and_saveexec_b64 s[48:49], s[40:41]
	s_cbranch_execz .LBB4_5938
; %bb.5933:                             ;   in Loop: Header=BB4_5629 Depth=3
	v_cmp_ne_u16_e32 vcc, s80, v2
	v_bfrev_b32_e32 v4, 1
	s_and_saveexec_b64 s[40:41], vcc
	s_cbranch_execz .LBB4_5937
; %bb.5934:                             ;   in Loop: Header=BB4_5629 Depth=3
	v_and_b32_e32 v0, 0x7f, v47
	v_cmp_ne_u32_e32 vcc, s81, v0
	v_mov_b32_e32 v4, 0x7f800001
	s_and_saveexec_b64 s[50:51], vcc
	s_cbranch_execz .LBB4_5936
; %bb.5935:                             ;   in Loop: Header=BB4_5629 Depth=3
	v_and_b32_e32 v4, 7, v2
	v_lshrrev_b32_e32 v16, 3, v0
	v_cmp_gt_u32_e32 vcc, 8, v0
	v_ffbh_u32_e32 v0, v4
	v_min_u32_e32 v17, 32, v0
	v_subrev_u32_e32 v0, 28, v17
	v_lshlrev_b64 v[0:1], v0, v[2:3]
	v_sub_u32_e32 v1, 29, v17
	v_and_b32_e32 v0, 7, v0
	v_cndmask_b32_e32 v1, v16, v1, vcc
	v_cndmask_b32_e32 v0, v4, v0, vcc
	v_lshlrev_b32_e32 v2, 24, v47
	v_lshlrev_b32_e32 v0, 20, v0
	v_and_b32_e32 v2, 0x80000000, v2
	v_lshl_add_u32 v1, v1, 23, v54
	v_or3_b32 v4, v2, v1, v0
.LBB4_5936:                             ;   in Loop: Header=BB4_5629 Depth=3
	s_or_b64 exec, exec, s[50:51]
.LBB4_5937:                             ;   in Loop: Header=BB4_5629 Depth=3
	s_or_b64 exec, exec, s[40:41]
.LBB4_5938:                             ;   in Loop: Header=BB4_5629 Depth=3
	s_or_b64 exec, exec, s[48:49]
	v_and_b32_e32 v2, 0xff, v43
	v_cmp_ne_u16_e32 vcc, 0, v2
	s_and_saveexec_b64 s[40:41], vcc
	s_cbranch_execz .LBB4_5944
; %bb.5939:                             ;   in Loop: Header=BB4_5629 Depth=3
	v_cmp_ne_u16_e32 vcc, s80, v2
	v_bfrev_b32_e32 v5, 1
	s_and_saveexec_b64 s[48:49], vcc
	s_cbranch_execz .LBB4_5943
; %bb.5940:                             ;   in Loop: Header=BB4_5629 Depth=3
	v_and_b32_e32 v0, 0x7f, v43
	v_cmp_ne_u32_e32 vcc, s81, v0
	v_mov_b32_e32 v5, 0x7f800001
	s_and_saveexec_b64 s[50:51], vcc
	s_cbranch_execz .LBB4_5942
; %bb.5941:                             ;   in Loop: Header=BB4_5629 Depth=3
	v_and_b32_e32 v5, 7, v2
	v_lshrrev_b32_e32 v16, 3, v0
	v_cmp_gt_u32_e32 vcc, 8, v0
	v_ffbh_u32_e32 v0, v5
	v_min_u32_e32 v17, 32, v0
	v_subrev_u32_e32 v0, 28, v17
	v_lshlrev_b64 v[0:1], v0, v[2:3]
	v_sub_u32_e32 v1, 29, v17
	v_and_b32_e32 v0, 7, v0
	v_cndmask_b32_e32 v1, v16, v1, vcc
	v_cndmask_b32_e32 v0, v5, v0, vcc
	v_lshlrev_b32_e32 v2, 24, v43
	v_lshlrev_b32_e32 v0, 20, v0
	v_and_b32_e32 v2, 0x80000000, v2
	v_lshl_add_u32 v1, v1, 23, v54
	v_or3_b32 v5, v2, v1, v0
.LBB4_5942:                             ;   in Loop: Header=BB4_5629 Depth=3
	s_or_b64 exec, exec, s[50:51]
.LBB4_5943:                             ;   in Loop: Header=BB4_5629 Depth=3
	s_or_b64 exec, exec, s[48:49]
.LBB4_5944:                             ;   in Loop: Header=BB4_5629 Depth=3
	s_or_b64 exec, exec, s[40:41]
	v_max_f32_e32 v0, v5, v5
	v_max_f32_e32 v1, v4, v4
	v_min_f32_e32 v4, v1, v0
.LBB4_5945:                             ;   in Loop: Header=BB4_5629 Depth=3
	v_and_b32_e32 v2, 0x7f800000, v4
	v_cmp_ne_u64_e32 vcc, s[76:77], v[2:3]
                                        ; implicit-def: $vgpr47
	s_and_saveexec_b64 s[40:41], vcc
	s_xor_b64 s[48:49], exec, s[40:41]
	s_cbranch_execz .LBB4_5963
; %bb.5946:                             ;   in Loop: Header=BB4_5629 Depth=3
	v_and_b32_e32 v2, 0x7fffffff, v4
	v_cmp_gt_u64_e32 vcc, s[78:79], v[2:3]
	v_and_b32_sdwa v19, v4, s80 dst_sel:DWORD dst_unused:UNUSED_PAD src0_sel:BYTE_3 src1_sel:DWORD
                                        ; implicit-def: $vgpr47
	s_and_saveexec_b64 s[40:41], vcc
	s_xor_b64 s[50:51], exec, s[40:41]
	s_cbranch_execz .LBB4_5960
; %bb.5947:                             ;   in Loop: Header=BB4_5629 Depth=3
	v_cmp_ne_u32_e32 vcc, 0, v4
	v_mov_b32_e32 v47, 0
	s_and_saveexec_b64 s[52:53], vcc
	s_cbranch_execz .LBB4_5959
; %bb.5948:                             ;   in Loop: Header=BB4_5629 Depth=3
	v_bfe_u32 v21, v4, 23, 8
	v_cmp_gt_u32_e64 s[40:41], s83, v21
	v_sub_u32_e32 v1, 0x79, v21
	v_and_b32_e32 v0, 0x7fffff, v4
	v_cmp_eq_u32_e32 vcc, 0, v21
	v_cndmask_b32_e64 v1, 0, v1, s[40:41]
	v_mov_b32_e32 v4, 0x78
	v_or_b32_e32 v2, 0x800000, v0
	v_cndmask_b32_e32 v1, v1, v4, vcc
	v_cndmask_b32_e32 v2, v2, v0, vcc
	v_add_u32_e32 v0, 20, v1
	v_lshlrev_b64 v[4:5], v0, -1
	v_add_u32_e32 v0, 19, v1
	v_lshlrev_b64 v[16:17], v0, 1
	v_bfi_b32 v5, v5, 0, 0
	v_bfi_b32 v4, v4, 0, v2
	v_cmp_eq_u64_e64 s[40:41], v[4:5], v[16:17]
	v_lshrrev_b64 v[16:17], v1, v[2:3]
	v_mov_b32_e32 v4, v16
	v_mov_b32_e32 v5, v17
	s_and_saveexec_b64 s[54:55], s[40:41]
; %bb.5949:                             ;   in Loop: Header=BB4_5629 Depth=3
	v_bfe_u32 v0, v16, 20, 1
	v_add_co_u32_e64 v0, s[40:41], v16, v0
	v_add_co_u32_e64 v4, s[40:41], -1, v0
; %bb.5950:                             ;   in Loop: Header=BB4_5629 Depth=3
	s_or_b64 exec, exec, s[54:55]
	v_add_u32_e32 v0, 0xffffff81, v21
	v_mov_b32_e32 v2, 0xffffff82
	v_cndmask_b32_e32 v0, v0, v2, vcc
	v_lshrrev_b32_e32 v2, 23, v16
	v_add3_u32 v1, v1, v0, v2
	v_add_u32_e32 v0, 6, v1
	v_and_b32_e32 v2, 0xfffff, v4
	v_add_u32_e32 v2, v2, v16
	v_cmp_ne_u32_e32 vcc, 0, v0
                                        ; implicit-def: $vgpr16_vgpr17
                                        ; implicit-def: $vgpr4
	s_and_saveexec_b64 s[40:41], vcc
	s_xor_b64 s[40:41], exec, s[40:41]
; %bb.5951:                             ;   in Loop: Header=BB4_5629 Depth=3
	v_cmp_lt_u64_e32 vcc, s[88:89], v[2:3]
	v_add_u32_e32 v1, 7, v1
	v_cndmask_b32_e32 v4, v0, v1, vcc
	v_cndmask_b32_e64 v0, 0, 1, vcc
	v_lshrrev_b64 v[16:17], v0, v[2:3]
; %bb.5952:                             ;   in Loop: Header=BB4_5629 Depth=3
	s_andn2_saveexec_b64 s[40:41], s[40:41]
; %bb.5953:                             ;   in Loop: Header=BB4_5629 Depth=3
	v_mov_b32_e32 v17, v3
	v_bfe_u32 v4, v2, 23, 1
	v_mov_b32_e32 v16, v2
; %bb.5954:                             ;   in Loop: Header=BB4_5629 Depth=3
	s_or_b64 exec, exec, s[40:41]
	v_lshrrev_b64 v[0:1], 20, v[16:17]
	v_cmp_gt_i32_e32 vcc, 16, v4
	v_cndmask_b32_e32 v17, 0, v1, vcc
	v_cndmask_b32_e32 v16, 7, v0, vcc
	v_cmp_ne_u64_e32 vcc, 0, v[16:17]
	v_cmp_ne_u32_e64 s[40:41], 0, v4
	s_or_b64 s[40:41], s[40:41], vcc
                                        ; implicit-def: $vgpr47
	s_and_saveexec_b64 vcc, s[40:41]
	s_xor_b64 s[40:41], exec, vcc
; %bb.5955:                             ;   in Loop: Header=BB4_5629 Depth=3
	v_min_i32_e32 v0, 15, v4
	v_lshl_or_b32 v0, v0, 3, v19
	v_and_or_b32 v47, v16, 7, v0
                                        ; implicit-def: $vgpr19
; %bb.5956:                             ;   in Loop: Header=BB4_5629 Depth=3
	s_andn2_saveexec_b64 s[40:41], s[40:41]
; %bb.5957:                             ;   in Loop: Header=BB4_5629 Depth=3
	v_mov_b32_e32 v47, v19
; %bb.5958:                             ;   in Loop: Header=BB4_5629 Depth=3
	s_or_b64 exec, exec, s[40:41]
.LBB4_5959:                             ;   in Loop: Header=BB4_5629 Depth=3
	s_or_b64 exec, exec, s[52:53]
                                        ; implicit-def: $vgpr19
.LBB4_5960:                             ;   in Loop: Header=BB4_5629 Depth=3
	s_andn2_saveexec_b64 s[40:41], s[50:51]
; %bb.5961:                             ;   in Loop: Header=BB4_5629 Depth=3
	v_or_b32_e32 v47, 0x7e, v19
; %bb.5962:                             ;   in Loop: Header=BB4_5629 Depth=3
	s_or_b64 exec, exec, s[40:41]
                                        ; implicit-def: $vgpr4
.LBB4_5963:                             ;   in Loop: Header=BB4_5629 Depth=3
	s_andn2_saveexec_b64 s[40:41], s[48:49]
; %bb.5964:                             ;   in Loop: Header=BB4_5629 Depth=3
	v_or_b32_sdwa v47, v4, s81 dst_sel:DWORD dst_unused:UNUSED_PAD src0_sel:BYTE_3 src1_sel:DWORD
; %bb.5965:                             ;   in Loop: Header=BB4_5629 Depth=3
	s_or_b64 exec, exec, s[40:41]
	v_and_b32_e32 v2, 0xff, v60
	v_cmp_ne_u16_e64 s[40:41], 0, v2
	s_and_b64 vcc, exec, s[28:29]
	s_mov_b64 s[48:49], -1
                                        ; implicit-def: $vgpr4
	s_cbranch_vccnz .LBB4_5979
; %bb.5966:                             ;   in Loop: Header=BB4_5629 Depth=3
	v_mov_b32_e32 v5, 0
	v_mov_b32_e32 v4, 0
	s_and_saveexec_b64 s[48:49], s[40:41]
	s_cbranch_execz .LBB4_5972
; %bb.5967:                             ;   in Loop: Header=BB4_5629 Depth=3
	v_cmp_ne_u16_e32 vcc, s80, v2
	v_bfrev_b32_e32 v4, 1
	s_and_saveexec_b64 s[50:51], vcc
	s_cbranch_execz .LBB4_5971
; %bb.5968:                             ;   in Loop: Header=BB4_5629 Depth=3
	v_and_b32_e32 v0, 0x7f, v60
	v_cmp_ne_u32_e32 vcc, s81, v0
	v_mov_b32_e32 v4, 0x7f800001
	s_and_saveexec_b64 s[52:53], vcc
	s_cbranch_execz .LBB4_5970
; %bb.5969:                             ;   in Loop: Header=BB4_5629 Depth=3
	v_and_b32_e32 v4, 7, v2
	v_lshrrev_b32_e32 v16, 3, v0
	v_cmp_gt_u32_e32 vcc, 8, v0
	v_ffbh_u32_e32 v0, v4
	v_min_u32_e32 v17, 32, v0
	v_subrev_u32_e32 v0, 28, v17
	v_lshlrev_b64 v[0:1], v0, v[2:3]
	v_sub_u32_e32 v1, 29, v17
	v_and_b32_e32 v0, 7, v0
	v_cndmask_b32_e32 v1, v16, v1, vcc
	v_cndmask_b32_e32 v0, v4, v0, vcc
	v_lshlrev_b32_e32 v4, 24, v60
	v_lshlrev_b32_e32 v0, 20, v0
	v_and_b32_e32 v4, 0x80000000, v4
	v_lshl_add_u32 v1, v1, 23, v54
	v_or3_b32 v4, v4, v1, v0
.LBB4_5970:                             ;   in Loop: Header=BB4_5629 Depth=3
	s_or_b64 exec, exec, s[52:53]
.LBB4_5971:                             ;   in Loop: Header=BB4_5629 Depth=3
	s_or_b64 exec, exec, s[50:51]
.LBB4_5972:                             ;   in Loop: Header=BB4_5629 Depth=3
	s_or_b64 exec, exec, s[48:49]
	v_and_b32_e32 v16, 0xff, v59
	v_cmp_ne_u16_e32 vcc, 0, v16
	s_and_saveexec_b64 s[48:49], vcc
	s_cbranch_execz .LBB4_5978
; %bb.5973:                             ;   in Loop: Header=BB4_5629 Depth=3
	v_cmp_ne_u16_e32 vcc, s80, v16
	v_bfrev_b32_e32 v5, 1
	s_and_saveexec_b64 s[50:51], vcc
	s_cbranch_execz .LBB4_5977
; %bb.5974:                             ;   in Loop: Header=BB4_5629 Depth=3
	v_and_b32_e32 v0, 0x7f, v59
	v_cmp_ne_u32_e32 vcc, s81, v0
	v_mov_b32_e32 v5, 0x7f800001
	s_and_saveexec_b64 s[52:53], vcc
	s_cbranch_execz .LBB4_5976
; %bb.5975:                             ;   in Loop: Header=BB4_5629 Depth=3
	v_and_b32_e32 v5, 7, v16
	v_lshrrev_b32_e32 v17, 3, v0
	v_cmp_gt_u32_e32 vcc, 8, v0
	v_ffbh_u32_e32 v0, v5
	v_min_u32_e32 v19, 32, v0
	v_subrev_u32_e32 v0, 28, v19
	v_lshlrev_b64 v[0:1], v0, v[16:17]
	v_sub_u32_e32 v1, 29, v19
	v_and_b32_e32 v0, 7, v0
	v_cndmask_b32_e32 v1, v17, v1, vcc
	v_cndmask_b32_e32 v0, v5, v0, vcc
	v_lshlrev_b32_e32 v5, 24, v59
	v_lshlrev_b32_e32 v0, 20, v0
	v_and_b32_e32 v5, 0x80000000, v5
	v_lshl_add_u32 v1, v1, 23, v54
	v_or3_b32 v5, v5, v1, v0
.LBB4_5976:                             ;   in Loop: Header=BB4_5629 Depth=3
	s_or_b64 exec, exec, s[52:53]
.LBB4_5977:                             ;   in Loop: Header=BB4_5629 Depth=3
	s_or_b64 exec, exec, s[50:51]
.LBB4_5978:                             ;   in Loop: Header=BB4_5629 Depth=3
	s_or_b64 exec, exec, s[48:49]
	v_max_f32_e32 v0, v5, v5
	v_max_f32_e32 v1, v4, v4
	;; [unrolled: 1-line block ×3, first 2 shown]
	s_mov_b64 s[48:49], 0
.LBB4_5979:                             ;   in Loop: Header=BB4_5629 Depth=3
	s_and_b64 vcc, exec, s[48:49]
	s_cbranch_vccz .LBB4_5993
; %bb.5980:                             ;   in Loop: Header=BB4_5629 Depth=3
	v_mov_b32_e32 v5, 0
	v_mov_b32_e32 v4, 0
	s_and_saveexec_b64 s[48:49], s[40:41]
	s_cbranch_execz .LBB4_5986
; %bb.5981:                             ;   in Loop: Header=BB4_5629 Depth=3
	v_cmp_ne_u16_e32 vcc, s80, v2
	v_bfrev_b32_e32 v4, 1
	s_and_saveexec_b64 s[40:41], vcc
	s_cbranch_execz .LBB4_5985
; %bb.5982:                             ;   in Loop: Header=BB4_5629 Depth=3
	v_and_b32_e32 v0, 0x7f, v60
	v_cmp_ne_u32_e32 vcc, s81, v0
	v_mov_b32_e32 v4, 0x7f800001
	s_and_saveexec_b64 s[50:51], vcc
	s_cbranch_execz .LBB4_5984
; %bb.5983:                             ;   in Loop: Header=BB4_5629 Depth=3
	v_and_b32_e32 v4, 7, v2
	v_lshrrev_b32_e32 v16, 3, v0
	v_cmp_gt_u32_e32 vcc, 8, v0
	v_ffbh_u32_e32 v0, v4
	v_min_u32_e32 v17, 32, v0
	v_subrev_u32_e32 v0, 28, v17
	v_lshlrev_b64 v[0:1], v0, v[2:3]
	v_sub_u32_e32 v1, 29, v17
	v_and_b32_e32 v0, 7, v0
	v_cndmask_b32_e32 v1, v16, v1, vcc
	v_cndmask_b32_e32 v0, v4, v0, vcc
	v_lshlrev_b32_e32 v2, 24, v60
	v_lshlrev_b32_e32 v0, 20, v0
	v_and_b32_e32 v2, 0x80000000, v2
	v_lshl_add_u32 v1, v1, 23, v54
	v_or3_b32 v4, v2, v1, v0
.LBB4_5984:                             ;   in Loop: Header=BB4_5629 Depth=3
	s_or_b64 exec, exec, s[50:51]
.LBB4_5985:                             ;   in Loop: Header=BB4_5629 Depth=3
	s_or_b64 exec, exec, s[40:41]
.LBB4_5986:                             ;   in Loop: Header=BB4_5629 Depth=3
	s_or_b64 exec, exec, s[48:49]
	v_and_b32_e32 v2, 0xff, v59
	v_cmp_ne_u16_e32 vcc, 0, v2
	s_and_saveexec_b64 s[40:41], vcc
	s_cbranch_execz .LBB4_5992
; %bb.5987:                             ;   in Loop: Header=BB4_5629 Depth=3
	v_cmp_ne_u16_e32 vcc, s80, v2
	v_bfrev_b32_e32 v5, 1
	s_and_saveexec_b64 s[48:49], vcc
	s_cbranch_execz .LBB4_5991
; %bb.5988:                             ;   in Loop: Header=BB4_5629 Depth=3
	v_and_b32_e32 v0, 0x7f, v59
	v_cmp_ne_u32_e32 vcc, s81, v0
	v_mov_b32_e32 v5, 0x7f800001
	s_and_saveexec_b64 s[50:51], vcc
	s_cbranch_execz .LBB4_5990
; %bb.5989:                             ;   in Loop: Header=BB4_5629 Depth=3
	v_and_b32_e32 v5, 7, v2
	v_lshrrev_b32_e32 v16, 3, v0
	v_cmp_gt_u32_e32 vcc, 8, v0
	v_ffbh_u32_e32 v0, v5
	v_min_u32_e32 v17, 32, v0
	v_subrev_u32_e32 v0, 28, v17
	v_lshlrev_b64 v[0:1], v0, v[2:3]
	v_sub_u32_e32 v1, 29, v17
	v_and_b32_e32 v0, 7, v0
	v_cndmask_b32_e32 v1, v16, v1, vcc
	v_cndmask_b32_e32 v0, v5, v0, vcc
	v_lshlrev_b32_e32 v2, 24, v59
	v_lshlrev_b32_e32 v0, 20, v0
	v_and_b32_e32 v2, 0x80000000, v2
	v_lshl_add_u32 v1, v1, 23, v54
	v_or3_b32 v5, v2, v1, v0
.LBB4_5990:                             ;   in Loop: Header=BB4_5629 Depth=3
	s_or_b64 exec, exec, s[50:51]
.LBB4_5991:                             ;   in Loop: Header=BB4_5629 Depth=3
	s_or_b64 exec, exec, s[48:49]
.LBB4_5992:                             ;   in Loop: Header=BB4_5629 Depth=3
	s_or_b64 exec, exec, s[40:41]
	v_max_f32_e32 v0, v5, v5
	v_max_f32_e32 v1, v4, v4
	v_min_f32_e32 v4, v1, v0
.LBB4_5993:                             ;   in Loop: Header=BB4_5629 Depth=3
	v_and_b32_e32 v2, 0x7f800000, v4
	v_cmp_ne_u64_e32 vcc, s[76:77], v[2:3]
                                        ; implicit-def: $vgpr59
	s_and_saveexec_b64 s[40:41], vcc
	s_xor_b64 s[48:49], exec, s[40:41]
	s_cbranch_execz .LBB4_6011
; %bb.5994:                             ;   in Loop: Header=BB4_5629 Depth=3
	v_and_b32_e32 v2, 0x7fffffff, v4
	v_cmp_gt_u64_e32 vcc, s[78:79], v[2:3]
	v_and_b32_sdwa v19, v4, s80 dst_sel:DWORD dst_unused:UNUSED_PAD src0_sel:BYTE_3 src1_sel:DWORD
                                        ; implicit-def: $vgpr59
	s_and_saveexec_b64 s[40:41], vcc
	s_xor_b64 s[50:51], exec, s[40:41]
	s_cbranch_execz .LBB4_6008
; %bb.5995:                             ;   in Loop: Header=BB4_5629 Depth=3
	v_cmp_ne_u32_e32 vcc, 0, v4
	v_mov_b32_e32 v59, 0
	s_and_saveexec_b64 s[52:53], vcc
	s_cbranch_execz .LBB4_6007
; %bb.5996:                             ;   in Loop: Header=BB4_5629 Depth=3
	v_bfe_u32 v21, v4, 23, 8
	v_cmp_gt_u32_e64 s[40:41], s83, v21
	v_sub_u32_e32 v1, 0x79, v21
	v_and_b32_e32 v0, 0x7fffff, v4
	v_cmp_eq_u32_e32 vcc, 0, v21
	v_cndmask_b32_e64 v1, 0, v1, s[40:41]
	v_mov_b32_e32 v4, 0x78
	v_or_b32_e32 v2, 0x800000, v0
	v_cndmask_b32_e32 v1, v1, v4, vcc
	v_cndmask_b32_e32 v2, v2, v0, vcc
	v_add_u32_e32 v0, 20, v1
	v_lshlrev_b64 v[4:5], v0, -1
	v_add_u32_e32 v0, 19, v1
	v_lshlrev_b64 v[16:17], v0, 1
	v_bfi_b32 v5, v5, 0, 0
	v_bfi_b32 v4, v4, 0, v2
	v_cmp_eq_u64_e64 s[40:41], v[4:5], v[16:17]
	v_lshrrev_b64 v[16:17], v1, v[2:3]
	v_mov_b32_e32 v4, v16
	v_mov_b32_e32 v5, v17
	s_and_saveexec_b64 s[54:55], s[40:41]
; %bb.5997:                             ;   in Loop: Header=BB4_5629 Depth=3
	v_bfe_u32 v0, v16, 20, 1
	v_add_co_u32_e64 v0, s[40:41], v16, v0
	v_add_co_u32_e64 v4, s[40:41], -1, v0
; %bb.5998:                             ;   in Loop: Header=BB4_5629 Depth=3
	s_or_b64 exec, exec, s[54:55]
	v_add_u32_e32 v0, 0xffffff81, v21
	v_mov_b32_e32 v2, 0xffffff82
	v_cndmask_b32_e32 v0, v0, v2, vcc
	v_lshrrev_b32_e32 v2, 23, v16
	v_add3_u32 v1, v1, v0, v2
	v_add_u32_e32 v0, 6, v1
	v_and_b32_e32 v2, 0xfffff, v4
	v_add_u32_e32 v2, v2, v16
	v_cmp_ne_u32_e32 vcc, 0, v0
                                        ; implicit-def: $vgpr16_vgpr17
                                        ; implicit-def: $vgpr4
	s_and_saveexec_b64 s[40:41], vcc
	s_xor_b64 s[40:41], exec, s[40:41]
; %bb.5999:                             ;   in Loop: Header=BB4_5629 Depth=3
	v_cmp_lt_u64_e32 vcc, s[88:89], v[2:3]
	v_add_u32_e32 v1, 7, v1
	v_cndmask_b32_e32 v4, v0, v1, vcc
	v_cndmask_b32_e64 v0, 0, 1, vcc
	v_lshrrev_b64 v[16:17], v0, v[2:3]
; %bb.6000:                             ;   in Loop: Header=BB4_5629 Depth=3
	s_andn2_saveexec_b64 s[40:41], s[40:41]
; %bb.6001:                             ;   in Loop: Header=BB4_5629 Depth=3
	v_mov_b32_e32 v17, v3
	v_bfe_u32 v4, v2, 23, 1
	v_mov_b32_e32 v16, v2
; %bb.6002:                             ;   in Loop: Header=BB4_5629 Depth=3
	s_or_b64 exec, exec, s[40:41]
	v_lshrrev_b64 v[0:1], 20, v[16:17]
	v_cmp_gt_i32_e32 vcc, 16, v4
	v_cndmask_b32_e32 v17, 0, v1, vcc
	v_cndmask_b32_e32 v16, 7, v0, vcc
	v_cmp_ne_u64_e32 vcc, 0, v[16:17]
	v_cmp_ne_u32_e64 s[40:41], 0, v4
	s_or_b64 s[40:41], s[40:41], vcc
                                        ; implicit-def: $vgpr59
	s_and_saveexec_b64 vcc, s[40:41]
	s_xor_b64 s[40:41], exec, vcc
; %bb.6003:                             ;   in Loop: Header=BB4_5629 Depth=3
	v_min_i32_e32 v0, 15, v4
	v_lshl_or_b32 v0, v0, 3, v19
	v_and_or_b32 v59, v16, 7, v0
                                        ; implicit-def: $vgpr19
; %bb.6004:                             ;   in Loop: Header=BB4_5629 Depth=3
	s_andn2_saveexec_b64 s[40:41], s[40:41]
; %bb.6005:                             ;   in Loop: Header=BB4_5629 Depth=3
	v_mov_b32_e32 v59, v19
; %bb.6006:                             ;   in Loop: Header=BB4_5629 Depth=3
	s_or_b64 exec, exec, s[40:41]
.LBB4_6007:                             ;   in Loop: Header=BB4_5629 Depth=3
	s_or_b64 exec, exec, s[52:53]
                                        ; implicit-def: $vgpr19
.LBB4_6008:                             ;   in Loop: Header=BB4_5629 Depth=3
	s_andn2_saveexec_b64 s[40:41], s[50:51]
; %bb.6009:                             ;   in Loop: Header=BB4_5629 Depth=3
	v_or_b32_e32 v59, 0x7e, v19
; %bb.6010:                             ;   in Loop: Header=BB4_5629 Depth=3
	s_or_b64 exec, exec, s[40:41]
                                        ; implicit-def: $vgpr4
.LBB4_6011:                             ;   in Loop: Header=BB4_5629 Depth=3
	s_andn2_saveexec_b64 s[40:41], s[48:49]
; %bb.6012:                             ;   in Loop: Header=BB4_5629 Depth=3
	v_or_b32_sdwa v59, v4, s81 dst_sel:DWORD dst_unused:UNUSED_PAD src0_sel:BYTE_3 src1_sel:DWORD
; %bb.6013:                             ;   in Loop: Header=BB4_5629 Depth=3
	s_or_b64 exec, exec, s[40:41]
	v_and_b32_e32 v2, 0xff, v58
	v_cmp_ne_u16_e64 s[40:41], 0, v2
	s_and_b64 vcc, exec, s[28:29]
	s_mov_b64 s[48:49], -1
                                        ; implicit-def: $vgpr4
	s_cbranch_vccnz .LBB4_6027
; %bb.6014:                             ;   in Loop: Header=BB4_5629 Depth=3
	v_mov_b32_e32 v5, 0
	v_mov_b32_e32 v4, 0
	s_and_saveexec_b64 s[48:49], s[40:41]
	s_cbranch_execz .LBB4_6020
; %bb.6015:                             ;   in Loop: Header=BB4_5629 Depth=3
	v_cmp_ne_u16_e32 vcc, s80, v2
	v_bfrev_b32_e32 v4, 1
	s_and_saveexec_b64 s[50:51], vcc
	s_cbranch_execz .LBB4_6019
; %bb.6016:                             ;   in Loop: Header=BB4_5629 Depth=3
	v_and_b32_e32 v0, 0x7f, v58
	v_cmp_ne_u32_e32 vcc, s81, v0
	v_mov_b32_e32 v4, 0x7f800001
	s_and_saveexec_b64 s[52:53], vcc
	s_cbranch_execz .LBB4_6018
; %bb.6017:                             ;   in Loop: Header=BB4_5629 Depth=3
	v_and_b32_e32 v4, 7, v2
	v_lshrrev_b32_e32 v16, 3, v0
	v_cmp_gt_u32_e32 vcc, 8, v0
	v_ffbh_u32_e32 v0, v4
	v_min_u32_e32 v17, 32, v0
	v_subrev_u32_e32 v0, 28, v17
	v_lshlrev_b64 v[0:1], v0, v[2:3]
	v_sub_u32_e32 v1, 29, v17
	v_and_b32_e32 v0, 7, v0
	v_cndmask_b32_e32 v1, v16, v1, vcc
	v_cndmask_b32_e32 v0, v4, v0, vcc
	v_lshlrev_b32_e32 v4, 24, v58
	v_lshlrev_b32_e32 v0, 20, v0
	v_and_b32_e32 v4, 0x80000000, v4
	v_lshl_add_u32 v1, v1, 23, v54
	v_or3_b32 v4, v4, v1, v0
.LBB4_6018:                             ;   in Loop: Header=BB4_5629 Depth=3
	s_or_b64 exec, exec, s[52:53]
.LBB4_6019:                             ;   in Loop: Header=BB4_5629 Depth=3
	s_or_b64 exec, exec, s[50:51]
.LBB4_6020:                             ;   in Loop: Header=BB4_5629 Depth=3
	s_or_b64 exec, exec, s[48:49]
	v_and_b32_e32 v16, 0xff, v57
	v_cmp_ne_u16_e32 vcc, 0, v16
	s_and_saveexec_b64 s[48:49], vcc
	s_cbranch_execz .LBB4_6026
; %bb.6021:                             ;   in Loop: Header=BB4_5629 Depth=3
	v_cmp_ne_u16_e32 vcc, s80, v16
	v_bfrev_b32_e32 v5, 1
	s_and_saveexec_b64 s[50:51], vcc
	s_cbranch_execz .LBB4_6025
; %bb.6022:                             ;   in Loop: Header=BB4_5629 Depth=3
	v_and_b32_e32 v0, 0x7f, v57
	v_cmp_ne_u32_e32 vcc, s81, v0
	v_mov_b32_e32 v5, 0x7f800001
	s_and_saveexec_b64 s[52:53], vcc
	s_cbranch_execz .LBB4_6024
; %bb.6023:                             ;   in Loop: Header=BB4_5629 Depth=3
	v_and_b32_e32 v5, 7, v16
	v_lshrrev_b32_e32 v17, 3, v0
	v_cmp_gt_u32_e32 vcc, 8, v0
	v_ffbh_u32_e32 v0, v5
	v_min_u32_e32 v19, 32, v0
	v_subrev_u32_e32 v0, 28, v19
	v_lshlrev_b64 v[0:1], v0, v[16:17]
	v_sub_u32_e32 v1, 29, v19
	v_and_b32_e32 v0, 7, v0
	v_cndmask_b32_e32 v1, v17, v1, vcc
	v_cndmask_b32_e32 v0, v5, v0, vcc
	v_lshlrev_b32_e32 v5, 24, v57
	v_lshlrev_b32_e32 v0, 20, v0
	v_and_b32_e32 v5, 0x80000000, v5
	v_lshl_add_u32 v1, v1, 23, v54
	v_or3_b32 v5, v5, v1, v0
.LBB4_6024:                             ;   in Loop: Header=BB4_5629 Depth=3
	s_or_b64 exec, exec, s[52:53]
.LBB4_6025:                             ;   in Loop: Header=BB4_5629 Depth=3
	s_or_b64 exec, exec, s[50:51]
.LBB4_6026:                             ;   in Loop: Header=BB4_5629 Depth=3
	s_or_b64 exec, exec, s[48:49]
	v_max_f32_e32 v0, v5, v5
	v_max_f32_e32 v1, v4, v4
	;; [unrolled: 1-line block ×3, first 2 shown]
	s_mov_b64 s[48:49], 0
.LBB4_6027:                             ;   in Loop: Header=BB4_5629 Depth=3
	s_and_b64 vcc, exec, s[48:49]
	s_cbranch_vccz .LBB4_6041
; %bb.6028:                             ;   in Loop: Header=BB4_5629 Depth=3
	v_mov_b32_e32 v5, 0
	v_mov_b32_e32 v4, 0
	s_and_saveexec_b64 s[48:49], s[40:41]
	s_cbranch_execz .LBB4_6034
; %bb.6029:                             ;   in Loop: Header=BB4_5629 Depth=3
	v_cmp_ne_u16_e32 vcc, s80, v2
	v_bfrev_b32_e32 v4, 1
	s_and_saveexec_b64 s[40:41], vcc
	s_cbranch_execz .LBB4_6033
; %bb.6030:                             ;   in Loop: Header=BB4_5629 Depth=3
	v_and_b32_e32 v0, 0x7f, v58
	v_cmp_ne_u32_e32 vcc, s81, v0
	v_mov_b32_e32 v4, 0x7f800001
	s_and_saveexec_b64 s[50:51], vcc
	s_cbranch_execz .LBB4_6032
; %bb.6031:                             ;   in Loop: Header=BB4_5629 Depth=3
	v_and_b32_e32 v4, 7, v2
	v_lshrrev_b32_e32 v16, 3, v0
	v_cmp_gt_u32_e32 vcc, 8, v0
	v_ffbh_u32_e32 v0, v4
	v_min_u32_e32 v17, 32, v0
	v_subrev_u32_e32 v0, 28, v17
	v_lshlrev_b64 v[0:1], v0, v[2:3]
	v_sub_u32_e32 v1, 29, v17
	v_and_b32_e32 v0, 7, v0
	v_cndmask_b32_e32 v1, v16, v1, vcc
	v_cndmask_b32_e32 v0, v4, v0, vcc
	v_lshlrev_b32_e32 v2, 24, v58
	v_lshlrev_b32_e32 v0, 20, v0
	v_and_b32_e32 v2, 0x80000000, v2
	v_lshl_add_u32 v1, v1, 23, v54
	v_or3_b32 v4, v2, v1, v0
.LBB4_6032:                             ;   in Loop: Header=BB4_5629 Depth=3
	s_or_b64 exec, exec, s[50:51]
.LBB4_6033:                             ;   in Loop: Header=BB4_5629 Depth=3
	s_or_b64 exec, exec, s[40:41]
.LBB4_6034:                             ;   in Loop: Header=BB4_5629 Depth=3
	s_or_b64 exec, exec, s[48:49]
	v_and_b32_e32 v2, 0xff, v57
	v_cmp_ne_u16_e32 vcc, 0, v2
	s_and_saveexec_b64 s[40:41], vcc
	s_cbranch_execz .LBB4_6040
; %bb.6035:                             ;   in Loop: Header=BB4_5629 Depth=3
	v_cmp_ne_u16_e32 vcc, s80, v2
	v_bfrev_b32_e32 v5, 1
	s_and_saveexec_b64 s[48:49], vcc
	s_cbranch_execz .LBB4_6039
; %bb.6036:                             ;   in Loop: Header=BB4_5629 Depth=3
	v_and_b32_e32 v0, 0x7f, v57
	v_cmp_ne_u32_e32 vcc, s81, v0
	v_mov_b32_e32 v5, 0x7f800001
	s_and_saveexec_b64 s[50:51], vcc
	s_cbranch_execz .LBB4_6038
; %bb.6037:                             ;   in Loop: Header=BB4_5629 Depth=3
	v_and_b32_e32 v5, 7, v2
	v_lshrrev_b32_e32 v16, 3, v0
	v_cmp_gt_u32_e32 vcc, 8, v0
	v_ffbh_u32_e32 v0, v5
	v_min_u32_e32 v17, 32, v0
	v_subrev_u32_e32 v0, 28, v17
	v_lshlrev_b64 v[0:1], v0, v[2:3]
	v_sub_u32_e32 v1, 29, v17
	v_and_b32_e32 v0, 7, v0
	v_cndmask_b32_e32 v1, v16, v1, vcc
	v_cndmask_b32_e32 v0, v5, v0, vcc
	v_lshlrev_b32_e32 v2, 24, v57
	v_lshlrev_b32_e32 v0, 20, v0
	v_and_b32_e32 v2, 0x80000000, v2
	v_lshl_add_u32 v1, v1, 23, v54
	v_or3_b32 v5, v2, v1, v0
.LBB4_6038:                             ;   in Loop: Header=BB4_5629 Depth=3
	s_or_b64 exec, exec, s[50:51]
.LBB4_6039:                             ;   in Loop: Header=BB4_5629 Depth=3
	s_or_b64 exec, exec, s[48:49]
.LBB4_6040:                             ;   in Loop: Header=BB4_5629 Depth=3
	s_or_b64 exec, exec, s[40:41]
	v_max_f32_e32 v0, v5, v5
	v_max_f32_e32 v1, v4, v4
	v_min_f32_e32 v4, v1, v0
.LBB4_6041:                             ;   in Loop: Header=BB4_5629 Depth=3
	v_and_b32_e32 v2, 0x7f800000, v4
	v_cmp_ne_u64_e32 vcc, s[76:77], v[2:3]
                                        ; implicit-def: $vgpr57
	s_and_saveexec_b64 s[40:41], vcc
	s_xor_b64 s[48:49], exec, s[40:41]
	s_cbranch_execz .LBB4_6059
; %bb.6042:                             ;   in Loop: Header=BB4_5629 Depth=3
	v_and_b32_e32 v2, 0x7fffffff, v4
	v_cmp_gt_u64_e32 vcc, s[78:79], v[2:3]
	v_and_b32_sdwa v19, v4, s80 dst_sel:DWORD dst_unused:UNUSED_PAD src0_sel:BYTE_3 src1_sel:DWORD
                                        ; implicit-def: $vgpr57
	s_and_saveexec_b64 s[40:41], vcc
	s_xor_b64 s[50:51], exec, s[40:41]
	s_cbranch_execz .LBB4_6056
; %bb.6043:                             ;   in Loop: Header=BB4_5629 Depth=3
	v_cmp_ne_u32_e32 vcc, 0, v4
	v_mov_b32_e32 v57, 0
	s_and_saveexec_b64 s[52:53], vcc
	s_cbranch_execz .LBB4_6055
; %bb.6044:                             ;   in Loop: Header=BB4_5629 Depth=3
	v_bfe_u32 v21, v4, 23, 8
	v_cmp_gt_u32_e64 s[40:41], s83, v21
	v_sub_u32_e32 v1, 0x79, v21
	v_and_b32_e32 v0, 0x7fffff, v4
	v_cmp_eq_u32_e32 vcc, 0, v21
	v_cndmask_b32_e64 v1, 0, v1, s[40:41]
	v_mov_b32_e32 v4, 0x78
	v_or_b32_e32 v2, 0x800000, v0
	v_cndmask_b32_e32 v1, v1, v4, vcc
	v_cndmask_b32_e32 v2, v2, v0, vcc
	v_add_u32_e32 v0, 20, v1
	v_lshlrev_b64 v[4:5], v0, -1
	v_add_u32_e32 v0, 19, v1
	v_lshlrev_b64 v[16:17], v0, 1
	v_bfi_b32 v5, v5, 0, 0
	v_bfi_b32 v4, v4, 0, v2
	v_cmp_eq_u64_e64 s[40:41], v[4:5], v[16:17]
	v_lshrrev_b64 v[16:17], v1, v[2:3]
	v_mov_b32_e32 v4, v16
	v_mov_b32_e32 v5, v17
	s_and_saveexec_b64 s[54:55], s[40:41]
; %bb.6045:                             ;   in Loop: Header=BB4_5629 Depth=3
	v_bfe_u32 v0, v16, 20, 1
	v_add_co_u32_e64 v0, s[40:41], v16, v0
	v_add_co_u32_e64 v4, s[40:41], -1, v0
; %bb.6046:                             ;   in Loop: Header=BB4_5629 Depth=3
	s_or_b64 exec, exec, s[54:55]
	v_add_u32_e32 v0, 0xffffff81, v21
	v_mov_b32_e32 v2, 0xffffff82
	v_cndmask_b32_e32 v0, v0, v2, vcc
	v_lshrrev_b32_e32 v2, 23, v16
	v_add3_u32 v1, v1, v0, v2
	v_add_u32_e32 v0, 6, v1
	v_and_b32_e32 v2, 0xfffff, v4
	v_add_u32_e32 v2, v2, v16
	v_cmp_ne_u32_e32 vcc, 0, v0
                                        ; implicit-def: $vgpr16_vgpr17
                                        ; implicit-def: $vgpr4
	s_and_saveexec_b64 s[40:41], vcc
	s_xor_b64 s[40:41], exec, s[40:41]
; %bb.6047:                             ;   in Loop: Header=BB4_5629 Depth=3
	v_cmp_lt_u64_e32 vcc, s[88:89], v[2:3]
	v_add_u32_e32 v1, 7, v1
	v_cndmask_b32_e32 v4, v0, v1, vcc
	v_cndmask_b32_e64 v0, 0, 1, vcc
	v_lshrrev_b64 v[16:17], v0, v[2:3]
; %bb.6048:                             ;   in Loop: Header=BB4_5629 Depth=3
	s_andn2_saveexec_b64 s[40:41], s[40:41]
; %bb.6049:                             ;   in Loop: Header=BB4_5629 Depth=3
	v_mov_b32_e32 v17, v3
	v_bfe_u32 v4, v2, 23, 1
	v_mov_b32_e32 v16, v2
; %bb.6050:                             ;   in Loop: Header=BB4_5629 Depth=3
	s_or_b64 exec, exec, s[40:41]
	v_lshrrev_b64 v[0:1], 20, v[16:17]
	v_cmp_gt_i32_e32 vcc, 16, v4
	v_cndmask_b32_e32 v17, 0, v1, vcc
	v_cndmask_b32_e32 v16, 7, v0, vcc
	v_cmp_ne_u64_e32 vcc, 0, v[16:17]
	v_cmp_ne_u32_e64 s[40:41], 0, v4
	s_or_b64 s[40:41], s[40:41], vcc
                                        ; implicit-def: $vgpr57
	s_and_saveexec_b64 vcc, s[40:41]
	s_xor_b64 s[40:41], exec, vcc
; %bb.6051:                             ;   in Loop: Header=BB4_5629 Depth=3
	v_min_i32_e32 v0, 15, v4
	v_lshl_or_b32 v0, v0, 3, v19
	v_and_or_b32 v57, v16, 7, v0
                                        ; implicit-def: $vgpr19
; %bb.6052:                             ;   in Loop: Header=BB4_5629 Depth=3
	s_andn2_saveexec_b64 s[40:41], s[40:41]
; %bb.6053:                             ;   in Loop: Header=BB4_5629 Depth=3
	v_mov_b32_e32 v57, v19
; %bb.6054:                             ;   in Loop: Header=BB4_5629 Depth=3
	s_or_b64 exec, exec, s[40:41]
.LBB4_6055:                             ;   in Loop: Header=BB4_5629 Depth=3
	s_or_b64 exec, exec, s[52:53]
                                        ; implicit-def: $vgpr19
.LBB4_6056:                             ;   in Loop: Header=BB4_5629 Depth=3
	s_andn2_saveexec_b64 s[40:41], s[50:51]
; %bb.6057:                             ;   in Loop: Header=BB4_5629 Depth=3
	v_or_b32_e32 v57, 0x7e, v19
; %bb.6058:                             ;   in Loop: Header=BB4_5629 Depth=3
	s_or_b64 exec, exec, s[40:41]
                                        ; implicit-def: $vgpr4
.LBB4_6059:                             ;   in Loop: Header=BB4_5629 Depth=3
	s_andn2_saveexec_b64 s[40:41], s[48:49]
; %bb.6060:                             ;   in Loop: Header=BB4_5629 Depth=3
	v_or_b32_sdwa v57, v4, s81 dst_sel:DWORD dst_unused:UNUSED_PAD src0_sel:BYTE_3 src1_sel:DWORD
; %bb.6061:                             ;   in Loop: Header=BB4_5629 Depth=3
	s_or_b64 exec, exec, s[40:41]
	v_and_b32_e32 v2, 0xff, v46
	v_cmp_ne_u16_e64 s[40:41], 0, v2
	s_and_b64 vcc, exec, s[28:29]
	s_mov_b64 s[48:49], -1
                                        ; implicit-def: $vgpr4
	s_cbranch_vccnz .LBB4_6075
; %bb.6062:                             ;   in Loop: Header=BB4_5629 Depth=3
	v_mov_b32_e32 v5, 0
	v_mov_b32_e32 v4, 0
	s_and_saveexec_b64 s[48:49], s[40:41]
	s_cbranch_execz .LBB4_6068
; %bb.6063:                             ;   in Loop: Header=BB4_5629 Depth=3
	v_cmp_ne_u16_e32 vcc, s80, v2
	v_bfrev_b32_e32 v4, 1
	s_and_saveexec_b64 s[50:51], vcc
	s_cbranch_execz .LBB4_6067
; %bb.6064:                             ;   in Loop: Header=BB4_5629 Depth=3
	v_and_b32_e32 v0, 0x7f, v46
	v_cmp_ne_u32_e32 vcc, s81, v0
	v_mov_b32_e32 v4, 0x7f800001
	s_and_saveexec_b64 s[52:53], vcc
	s_cbranch_execz .LBB4_6066
; %bb.6065:                             ;   in Loop: Header=BB4_5629 Depth=3
	v_and_b32_e32 v4, 7, v2
	v_lshrrev_b32_e32 v16, 3, v0
	v_cmp_gt_u32_e32 vcc, 8, v0
	v_ffbh_u32_e32 v0, v4
	v_min_u32_e32 v17, 32, v0
	v_subrev_u32_e32 v0, 28, v17
	v_lshlrev_b64 v[0:1], v0, v[2:3]
	v_sub_u32_e32 v1, 29, v17
	v_and_b32_e32 v0, 7, v0
	v_cndmask_b32_e32 v1, v16, v1, vcc
	v_cndmask_b32_e32 v0, v4, v0, vcc
	v_lshlrev_b32_e32 v4, 24, v46
	v_lshlrev_b32_e32 v0, 20, v0
	v_and_b32_e32 v4, 0x80000000, v4
	v_lshl_add_u32 v1, v1, 23, v54
	v_or3_b32 v4, v4, v1, v0
.LBB4_6066:                             ;   in Loop: Header=BB4_5629 Depth=3
	s_or_b64 exec, exec, s[52:53]
.LBB4_6067:                             ;   in Loop: Header=BB4_5629 Depth=3
	s_or_b64 exec, exec, s[50:51]
.LBB4_6068:                             ;   in Loop: Header=BB4_5629 Depth=3
	s_or_b64 exec, exec, s[48:49]
	v_and_b32_e32 v16, 0xff, v45
	v_cmp_ne_u16_e32 vcc, 0, v16
	s_and_saveexec_b64 s[48:49], vcc
	s_cbranch_execz .LBB4_6074
; %bb.6069:                             ;   in Loop: Header=BB4_5629 Depth=3
	v_cmp_ne_u16_e32 vcc, s80, v16
	v_bfrev_b32_e32 v5, 1
	s_and_saveexec_b64 s[50:51], vcc
	s_cbranch_execz .LBB4_6073
; %bb.6070:                             ;   in Loop: Header=BB4_5629 Depth=3
	v_and_b32_e32 v0, 0x7f, v45
	v_cmp_ne_u32_e32 vcc, s81, v0
	v_mov_b32_e32 v5, 0x7f800001
	s_and_saveexec_b64 s[52:53], vcc
	s_cbranch_execz .LBB4_6072
; %bb.6071:                             ;   in Loop: Header=BB4_5629 Depth=3
	v_and_b32_e32 v5, 7, v16
	v_lshrrev_b32_e32 v17, 3, v0
	v_cmp_gt_u32_e32 vcc, 8, v0
	v_ffbh_u32_e32 v0, v5
	v_min_u32_e32 v19, 32, v0
	v_subrev_u32_e32 v0, 28, v19
	v_lshlrev_b64 v[0:1], v0, v[16:17]
	v_sub_u32_e32 v1, 29, v19
	v_and_b32_e32 v0, 7, v0
	v_cndmask_b32_e32 v1, v17, v1, vcc
	v_cndmask_b32_e32 v0, v5, v0, vcc
	v_lshlrev_b32_e32 v5, 24, v45
	v_lshlrev_b32_e32 v0, 20, v0
	v_and_b32_e32 v5, 0x80000000, v5
	v_lshl_add_u32 v1, v1, 23, v54
	v_or3_b32 v5, v5, v1, v0
.LBB4_6072:                             ;   in Loop: Header=BB4_5629 Depth=3
	s_or_b64 exec, exec, s[52:53]
.LBB4_6073:                             ;   in Loop: Header=BB4_5629 Depth=3
	s_or_b64 exec, exec, s[50:51]
.LBB4_6074:                             ;   in Loop: Header=BB4_5629 Depth=3
	s_or_b64 exec, exec, s[48:49]
	v_max_f32_e32 v0, v5, v5
	v_max_f32_e32 v1, v4, v4
	;; [unrolled: 1-line block ×3, first 2 shown]
	s_mov_b64 s[48:49], 0
.LBB4_6075:                             ;   in Loop: Header=BB4_5629 Depth=3
	s_and_b64 vcc, exec, s[48:49]
	s_cbranch_vccz .LBB4_6089
; %bb.6076:                             ;   in Loop: Header=BB4_5629 Depth=3
	v_mov_b32_e32 v5, 0
	v_mov_b32_e32 v4, 0
	s_and_saveexec_b64 s[48:49], s[40:41]
	s_cbranch_execz .LBB4_6082
; %bb.6077:                             ;   in Loop: Header=BB4_5629 Depth=3
	v_cmp_ne_u16_e32 vcc, s80, v2
	v_bfrev_b32_e32 v4, 1
	s_and_saveexec_b64 s[40:41], vcc
	s_cbranch_execz .LBB4_6081
; %bb.6078:                             ;   in Loop: Header=BB4_5629 Depth=3
	v_and_b32_e32 v0, 0x7f, v46
	v_cmp_ne_u32_e32 vcc, s81, v0
	v_mov_b32_e32 v4, 0x7f800001
	s_and_saveexec_b64 s[50:51], vcc
	s_cbranch_execz .LBB4_6080
; %bb.6079:                             ;   in Loop: Header=BB4_5629 Depth=3
	v_and_b32_e32 v4, 7, v2
	v_lshrrev_b32_e32 v16, 3, v0
	v_cmp_gt_u32_e32 vcc, 8, v0
	v_ffbh_u32_e32 v0, v4
	v_min_u32_e32 v17, 32, v0
	v_subrev_u32_e32 v0, 28, v17
	v_lshlrev_b64 v[0:1], v0, v[2:3]
	v_sub_u32_e32 v1, 29, v17
	v_and_b32_e32 v0, 7, v0
	v_cndmask_b32_e32 v1, v16, v1, vcc
	v_cndmask_b32_e32 v0, v4, v0, vcc
	v_lshlrev_b32_e32 v2, 24, v46
	v_lshlrev_b32_e32 v0, 20, v0
	v_and_b32_e32 v2, 0x80000000, v2
	v_lshl_add_u32 v1, v1, 23, v54
	v_or3_b32 v4, v2, v1, v0
.LBB4_6080:                             ;   in Loop: Header=BB4_5629 Depth=3
	s_or_b64 exec, exec, s[50:51]
.LBB4_6081:                             ;   in Loop: Header=BB4_5629 Depth=3
	s_or_b64 exec, exec, s[40:41]
.LBB4_6082:                             ;   in Loop: Header=BB4_5629 Depth=3
	s_or_b64 exec, exec, s[48:49]
	v_and_b32_e32 v2, 0xff, v45
	v_cmp_ne_u16_e32 vcc, 0, v2
	s_and_saveexec_b64 s[40:41], vcc
	s_cbranch_execz .LBB4_6088
; %bb.6083:                             ;   in Loop: Header=BB4_5629 Depth=3
	v_cmp_ne_u16_e32 vcc, s80, v2
	v_bfrev_b32_e32 v5, 1
	s_and_saveexec_b64 s[48:49], vcc
	s_cbranch_execz .LBB4_6087
; %bb.6084:                             ;   in Loop: Header=BB4_5629 Depth=3
	v_and_b32_e32 v0, 0x7f, v45
	v_cmp_ne_u32_e32 vcc, s81, v0
	v_mov_b32_e32 v5, 0x7f800001
	s_and_saveexec_b64 s[50:51], vcc
	s_cbranch_execz .LBB4_6086
; %bb.6085:                             ;   in Loop: Header=BB4_5629 Depth=3
	v_and_b32_e32 v5, 7, v2
	v_lshrrev_b32_e32 v16, 3, v0
	v_cmp_gt_u32_e32 vcc, 8, v0
	v_ffbh_u32_e32 v0, v5
	v_min_u32_e32 v17, 32, v0
	v_subrev_u32_e32 v0, 28, v17
	v_lshlrev_b64 v[0:1], v0, v[2:3]
	v_sub_u32_e32 v1, 29, v17
	v_and_b32_e32 v0, 7, v0
	v_cndmask_b32_e32 v1, v16, v1, vcc
	v_cndmask_b32_e32 v0, v5, v0, vcc
	v_lshlrev_b32_e32 v2, 24, v45
	v_lshlrev_b32_e32 v0, 20, v0
	v_and_b32_e32 v2, 0x80000000, v2
	v_lshl_add_u32 v1, v1, 23, v54
	v_or3_b32 v5, v2, v1, v0
.LBB4_6086:                             ;   in Loop: Header=BB4_5629 Depth=3
	s_or_b64 exec, exec, s[50:51]
.LBB4_6087:                             ;   in Loop: Header=BB4_5629 Depth=3
	s_or_b64 exec, exec, s[48:49]
.LBB4_6088:                             ;   in Loop: Header=BB4_5629 Depth=3
	s_or_b64 exec, exec, s[40:41]
	v_max_f32_e32 v0, v5, v5
	v_max_f32_e32 v1, v4, v4
	v_min_f32_e32 v4, v1, v0
.LBB4_6089:                             ;   in Loop: Header=BB4_5629 Depth=3
	v_and_b32_e32 v2, 0x7f800000, v4
	v_cmp_ne_u64_e32 vcc, s[76:77], v[2:3]
                                        ; implicit-def: $vgpr43
	s_and_saveexec_b64 s[40:41], vcc
	s_xor_b64 s[48:49], exec, s[40:41]
	s_cbranch_execz .LBB4_6107
; %bb.6090:                             ;   in Loop: Header=BB4_5629 Depth=3
	v_and_b32_e32 v2, 0x7fffffff, v4
	v_cmp_gt_u64_e32 vcc, s[78:79], v[2:3]
	v_and_b32_sdwa v19, v4, s80 dst_sel:DWORD dst_unused:UNUSED_PAD src0_sel:BYTE_3 src1_sel:DWORD
                                        ; implicit-def: $vgpr43
	s_and_saveexec_b64 s[40:41], vcc
	s_xor_b64 s[50:51], exec, s[40:41]
	s_cbranch_execz .LBB4_6104
; %bb.6091:                             ;   in Loop: Header=BB4_5629 Depth=3
	v_cmp_ne_u32_e32 vcc, 0, v4
	v_mov_b32_e32 v43, 0
	s_and_saveexec_b64 s[52:53], vcc
	s_cbranch_execz .LBB4_6103
; %bb.6092:                             ;   in Loop: Header=BB4_5629 Depth=3
	v_bfe_u32 v21, v4, 23, 8
	v_cmp_gt_u32_e64 s[40:41], s83, v21
	v_sub_u32_e32 v1, 0x79, v21
	v_and_b32_e32 v0, 0x7fffff, v4
	v_cmp_eq_u32_e32 vcc, 0, v21
	v_cndmask_b32_e64 v1, 0, v1, s[40:41]
	v_mov_b32_e32 v4, 0x78
	v_or_b32_e32 v2, 0x800000, v0
	v_cndmask_b32_e32 v1, v1, v4, vcc
	v_cndmask_b32_e32 v2, v2, v0, vcc
	v_add_u32_e32 v0, 20, v1
	v_lshlrev_b64 v[4:5], v0, -1
	v_add_u32_e32 v0, 19, v1
	v_lshlrev_b64 v[16:17], v0, 1
	v_bfi_b32 v5, v5, 0, 0
	v_bfi_b32 v4, v4, 0, v2
	v_cmp_eq_u64_e64 s[40:41], v[4:5], v[16:17]
	v_lshrrev_b64 v[16:17], v1, v[2:3]
	v_mov_b32_e32 v4, v16
	v_mov_b32_e32 v5, v17
	s_and_saveexec_b64 s[54:55], s[40:41]
; %bb.6093:                             ;   in Loop: Header=BB4_5629 Depth=3
	v_bfe_u32 v0, v16, 20, 1
	v_add_co_u32_e64 v0, s[40:41], v16, v0
	v_add_co_u32_e64 v4, s[40:41], -1, v0
; %bb.6094:                             ;   in Loop: Header=BB4_5629 Depth=3
	s_or_b64 exec, exec, s[54:55]
	v_add_u32_e32 v0, 0xffffff81, v21
	v_mov_b32_e32 v2, 0xffffff82
	v_cndmask_b32_e32 v0, v0, v2, vcc
	v_lshrrev_b32_e32 v2, 23, v16
	v_add3_u32 v1, v1, v0, v2
	v_add_u32_e32 v0, 6, v1
	v_and_b32_e32 v2, 0xfffff, v4
	v_add_u32_e32 v2, v2, v16
	v_cmp_ne_u32_e32 vcc, 0, v0
                                        ; implicit-def: $vgpr16_vgpr17
                                        ; implicit-def: $vgpr4
	s_and_saveexec_b64 s[40:41], vcc
	s_xor_b64 s[40:41], exec, s[40:41]
; %bb.6095:                             ;   in Loop: Header=BB4_5629 Depth=3
	v_cmp_lt_u64_e32 vcc, s[88:89], v[2:3]
	v_add_u32_e32 v1, 7, v1
	v_cndmask_b32_e32 v4, v0, v1, vcc
	v_cndmask_b32_e64 v0, 0, 1, vcc
	v_lshrrev_b64 v[16:17], v0, v[2:3]
; %bb.6096:                             ;   in Loop: Header=BB4_5629 Depth=3
	s_andn2_saveexec_b64 s[40:41], s[40:41]
; %bb.6097:                             ;   in Loop: Header=BB4_5629 Depth=3
	v_mov_b32_e32 v17, v3
	v_bfe_u32 v4, v2, 23, 1
	v_mov_b32_e32 v16, v2
; %bb.6098:                             ;   in Loop: Header=BB4_5629 Depth=3
	s_or_b64 exec, exec, s[40:41]
	v_lshrrev_b64 v[0:1], 20, v[16:17]
	v_cmp_gt_i32_e32 vcc, 16, v4
	v_cndmask_b32_e32 v17, 0, v1, vcc
	v_cndmask_b32_e32 v16, 7, v0, vcc
	v_cmp_ne_u64_e32 vcc, 0, v[16:17]
	v_cmp_ne_u32_e64 s[40:41], 0, v4
	s_or_b64 s[40:41], s[40:41], vcc
                                        ; implicit-def: $vgpr43
	s_and_saveexec_b64 vcc, s[40:41]
	s_xor_b64 s[40:41], exec, vcc
; %bb.6099:                             ;   in Loop: Header=BB4_5629 Depth=3
	v_min_i32_e32 v0, 15, v4
	v_lshl_or_b32 v0, v0, 3, v19
	v_and_or_b32 v43, v16, 7, v0
                                        ; implicit-def: $vgpr19
; %bb.6100:                             ;   in Loop: Header=BB4_5629 Depth=3
	s_andn2_saveexec_b64 s[40:41], s[40:41]
; %bb.6101:                             ;   in Loop: Header=BB4_5629 Depth=3
	v_mov_b32_e32 v43, v19
; %bb.6102:                             ;   in Loop: Header=BB4_5629 Depth=3
	s_or_b64 exec, exec, s[40:41]
.LBB4_6103:                             ;   in Loop: Header=BB4_5629 Depth=3
	s_or_b64 exec, exec, s[52:53]
                                        ; implicit-def: $vgpr19
.LBB4_6104:                             ;   in Loop: Header=BB4_5629 Depth=3
	s_andn2_saveexec_b64 s[40:41], s[50:51]
; %bb.6105:                             ;   in Loop: Header=BB4_5629 Depth=3
	v_or_b32_e32 v43, 0x7e, v19
; %bb.6106:                             ;   in Loop: Header=BB4_5629 Depth=3
	s_or_b64 exec, exec, s[40:41]
                                        ; implicit-def: $vgpr4
.LBB4_6107:                             ;   in Loop: Header=BB4_5629 Depth=3
	s_andn2_saveexec_b64 s[40:41], s[48:49]
; %bb.6108:                             ;   in Loop: Header=BB4_5629 Depth=3
	v_or_b32_sdwa v43, v4, s81 dst_sel:DWORD dst_unused:UNUSED_PAD src0_sel:BYTE_3 src1_sel:DWORD
; %bb.6109:                             ;   in Loop: Header=BB4_5629 Depth=3
	s_or_b64 exec, exec, s[40:41]
	v_and_b32_e32 v2, 0xff, v51
	v_cmp_ne_u16_e64 s[40:41], 0, v2
	s_and_b64 vcc, exec, s[28:29]
	s_mov_b64 s[48:49], -1
                                        ; implicit-def: $vgpr4
	s_cbranch_vccnz .LBB4_6123
; %bb.6110:                             ;   in Loop: Header=BB4_5629 Depth=3
	v_mov_b32_e32 v5, 0
	v_mov_b32_e32 v4, 0
	s_and_saveexec_b64 s[48:49], s[40:41]
	s_cbranch_execz .LBB4_6116
; %bb.6111:                             ;   in Loop: Header=BB4_5629 Depth=3
	v_cmp_ne_u16_e32 vcc, s80, v2
	v_bfrev_b32_e32 v4, 1
	s_and_saveexec_b64 s[50:51], vcc
	s_cbranch_execz .LBB4_6115
; %bb.6112:                             ;   in Loop: Header=BB4_5629 Depth=3
	v_and_b32_e32 v0, 0x7f, v51
	v_cmp_ne_u32_e32 vcc, s81, v0
	v_mov_b32_e32 v4, 0x7f800001
	s_and_saveexec_b64 s[52:53], vcc
	s_cbranch_execz .LBB4_6114
; %bb.6113:                             ;   in Loop: Header=BB4_5629 Depth=3
	v_and_b32_e32 v4, 7, v2
	v_lshrrev_b32_e32 v16, 3, v0
	v_cmp_gt_u32_e32 vcc, 8, v0
	v_ffbh_u32_e32 v0, v4
	v_min_u32_e32 v17, 32, v0
	v_subrev_u32_e32 v0, 28, v17
	v_lshlrev_b64 v[0:1], v0, v[2:3]
	v_sub_u32_e32 v1, 29, v17
	v_and_b32_e32 v0, 7, v0
	v_cndmask_b32_e32 v1, v16, v1, vcc
	v_cndmask_b32_e32 v0, v4, v0, vcc
	v_lshlrev_b32_e32 v4, 24, v51
	v_lshlrev_b32_e32 v0, 20, v0
	v_and_b32_e32 v4, 0x80000000, v4
	v_lshl_add_u32 v1, v1, 23, v54
	v_or3_b32 v4, v4, v1, v0
.LBB4_6114:                             ;   in Loop: Header=BB4_5629 Depth=3
	s_or_b64 exec, exec, s[52:53]
.LBB4_6115:                             ;   in Loop: Header=BB4_5629 Depth=3
	s_or_b64 exec, exec, s[50:51]
.LBB4_6116:                             ;   in Loop: Header=BB4_5629 Depth=3
	s_or_b64 exec, exec, s[48:49]
	v_and_b32_e32 v16, 0xff, v50
	v_cmp_ne_u16_e32 vcc, 0, v16
	s_and_saveexec_b64 s[48:49], vcc
	s_cbranch_execz .LBB4_6122
; %bb.6117:                             ;   in Loop: Header=BB4_5629 Depth=3
	v_cmp_ne_u16_e32 vcc, s80, v16
	v_bfrev_b32_e32 v5, 1
	s_and_saveexec_b64 s[50:51], vcc
	s_cbranch_execz .LBB4_6121
; %bb.6118:                             ;   in Loop: Header=BB4_5629 Depth=3
	v_and_b32_e32 v0, 0x7f, v50
	v_cmp_ne_u32_e32 vcc, s81, v0
	v_mov_b32_e32 v5, 0x7f800001
	s_and_saveexec_b64 s[52:53], vcc
	s_cbranch_execz .LBB4_6120
; %bb.6119:                             ;   in Loop: Header=BB4_5629 Depth=3
	v_and_b32_e32 v5, 7, v16
	v_lshrrev_b32_e32 v17, 3, v0
	v_cmp_gt_u32_e32 vcc, 8, v0
	v_ffbh_u32_e32 v0, v5
	v_min_u32_e32 v19, 32, v0
	v_subrev_u32_e32 v0, 28, v19
	v_lshlrev_b64 v[0:1], v0, v[16:17]
	v_sub_u32_e32 v1, 29, v19
	v_and_b32_e32 v0, 7, v0
	v_cndmask_b32_e32 v1, v17, v1, vcc
	v_cndmask_b32_e32 v0, v5, v0, vcc
	v_lshlrev_b32_e32 v5, 24, v50
	v_lshlrev_b32_e32 v0, 20, v0
	v_and_b32_e32 v5, 0x80000000, v5
	v_lshl_add_u32 v1, v1, 23, v54
	v_or3_b32 v5, v5, v1, v0
.LBB4_6120:                             ;   in Loop: Header=BB4_5629 Depth=3
	s_or_b64 exec, exec, s[52:53]
.LBB4_6121:                             ;   in Loop: Header=BB4_5629 Depth=3
	s_or_b64 exec, exec, s[50:51]
.LBB4_6122:                             ;   in Loop: Header=BB4_5629 Depth=3
	s_or_b64 exec, exec, s[48:49]
	v_max_f32_e32 v0, v5, v5
	v_max_f32_e32 v1, v4, v4
	;; [unrolled: 1-line block ×3, first 2 shown]
	s_mov_b64 s[48:49], 0
.LBB4_6123:                             ;   in Loop: Header=BB4_5629 Depth=3
	s_and_b64 vcc, exec, s[48:49]
	s_cbranch_vccz .LBB4_6137
; %bb.6124:                             ;   in Loop: Header=BB4_5629 Depth=3
	v_mov_b32_e32 v5, 0
	v_mov_b32_e32 v4, 0
	s_and_saveexec_b64 s[48:49], s[40:41]
	s_cbranch_execz .LBB4_6130
; %bb.6125:                             ;   in Loop: Header=BB4_5629 Depth=3
	v_cmp_ne_u16_e32 vcc, s80, v2
	v_bfrev_b32_e32 v4, 1
	s_and_saveexec_b64 s[40:41], vcc
	s_cbranch_execz .LBB4_6129
; %bb.6126:                             ;   in Loop: Header=BB4_5629 Depth=3
	v_and_b32_e32 v0, 0x7f, v51
	v_cmp_ne_u32_e32 vcc, s81, v0
	v_mov_b32_e32 v4, 0x7f800001
	s_and_saveexec_b64 s[50:51], vcc
	s_cbranch_execz .LBB4_6128
; %bb.6127:                             ;   in Loop: Header=BB4_5629 Depth=3
	v_and_b32_e32 v4, 7, v2
	v_lshrrev_b32_e32 v16, 3, v0
	v_cmp_gt_u32_e32 vcc, 8, v0
	v_ffbh_u32_e32 v0, v4
	v_min_u32_e32 v17, 32, v0
	v_subrev_u32_e32 v0, 28, v17
	v_lshlrev_b64 v[0:1], v0, v[2:3]
	v_sub_u32_e32 v1, 29, v17
	v_and_b32_e32 v0, 7, v0
	v_cndmask_b32_e32 v1, v16, v1, vcc
	v_cndmask_b32_e32 v0, v4, v0, vcc
	v_lshlrev_b32_e32 v2, 24, v51
	v_lshlrev_b32_e32 v0, 20, v0
	v_and_b32_e32 v2, 0x80000000, v2
	v_lshl_add_u32 v1, v1, 23, v54
	v_or3_b32 v4, v2, v1, v0
.LBB4_6128:                             ;   in Loop: Header=BB4_5629 Depth=3
	s_or_b64 exec, exec, s[50:51]
.LBB4_6129:                             ;   in Loop: Header=BB4_5629 Depth=3
	s_or_b64 exec, exec, s[40:41]
.LBB4_6130:                             ;   in Loop: Header=BB4_5629 Depth=3
	s_or_b64 exec, exec, s[48:49]
	v_and_b32_e32 v2, 0xff, v50
	v_cmp_ne_u16_e32 vcc, 0, v2
	s_and_saveexec_b64 s[40:41], vcc
	s_cbranch_execz .LBB4_6136
; %bb.6131:                             ;   in Loop: Header=BB4_5629 Depth=3
	v_cmp_ne_u16_e32 vcc, s80, v2
	v_bfrev_b32_e32 v5, 1
	s_and_saveexec_b64 s[48:49], vcc
	s_cbranch_execz .LBB4_6135
; %bb.6132:                             ;   in Loop: Header=BB4_5629 Depth=3
	v_and_b32_e32 v0, 0x7f, v50
	v_cmp_ne_u32_e32 vcc, s81, v0
	v_mov_b32_e32 v5, 0x7f800001
	s_and_saveexec_b64 s[50:51], vcc
	s_cbranch_execz .LBB4_6134
; %bb.6133:                             ;   in Loop: Header=BB4_5629 Depth=3
	v_and_b32_e32 v5, 7, v2
	v_lshrrev_b32_e32 v16, 3, v0
	v_cmp_gt_u32_e32 vcc, 8, v0
	v_ffbh_u32_e32 v0, v5
	v_min_u32_e32 v17, 32, v0
	v_subrev_u32_e32 v0, 28, v17
	v_lshlrev_b64 v[0:1], v0, v[2:3]
	v_sub_u32_e32 v1, 29, v17
	v_and_b32_e32 v0, 7, v0
	v_cndmask_b32_e32 v1, v16, v1, vcc
	v_cndmask_b32_e32 v0, v5, v0, vcc
	v_lshlrev_b32_e32 v2, 24, v50
	v_lshlrev_b32_e32 v0, 20, v0
	v_and_b32_e32 v2, 0x80000000, v2
	v_lshl_add_u32 v1, v1, 23, v54
	v_or3_b32 v5, v2, v1, v0
.LBB4_6134:                             ;   in Loop: Header=BB4_5629 Depth=3
	s_or_b64 exec, exec, s[50:51]
.LBB4_6135:                             ;   in Loop: Header=BB4_5629 Depth=3
	s_or_b64 exec, exec, s[48:49]
.LBB4_6136:                             ;   in Loop: Header=BB4_5629 Depth=3
	s_or_b64 exec, exec, s[40:41]
	v_max_f32_e32 v0, v5, v5
	v_max_f32_e32 v1, v4, v4
	v_min_f32_e32 v4, v1, v0
.LBB4_6137:                             ;   in Loop: Header=BB4_5629 Depth=3
	v_and_b32_e32 v2, 0x7f800000, v4
	v_cmp_ne_u64_e32 vcc, s[76:77], v[2:3]
                                        ; implicit-def: $vgpr50
	s_and_saveexec_b64 s[40:41], vcc
	s_xor_b64 s[48:49], exec, s[40:41]
	s_cbranch_execz .LBB4_6155
; %bb.6138:                             ;   in Loop: Header=BB4_5629 Depth=3
	v_and_b32_e32 v2, 0x7fffffff, v4
	v_cmp_gt_u64_e32 vcc, s[78:79], v[2:3]
	v_and_b32_sdwa v19, v4, s80 dst_sel:DWORD dst_unused:UNUSED_PAD src0_sel:BYTE_3 src1_sel:DWORD
                                        ; implicit-def: $vgpr50
	s_and_saveexec_b64 s[40:41], vcc
	s_xor_b64 s[50:51], exec, s[40:41]
	s_cbranch_execz .LBB4_6152
; %bb.6139:                             ;   in Loop: Header=BB4_5629 Depth=3
	v_cmp_ne_u32_e32 vcc, 0, v4
	v_mov_b32_e32 v50, 0
	s_and_saveexec_b64 s[52:53], vcc
	s_cbranch_execz .LBB4_6151
; %bb.6140:                             ;   in Loop: Header=BB4_5629 Depth=3
	v_bfe_u32 v21, v4, 23, 8
	v_cmp_gt_u32_e64 s[40:41], s83, v21
	v_sub_u32_e32 v1, 0x79, v21
	v_and_b32_e32 v0, 0x7fffff, v4
	v_cmp_eq_u32_e32 vcc, 0, v21
	v_cndmask_b32_e64 v1, 0, v1, s[40:41]
	v_mov_b32_e32 v4, 0x78
	v_or_b32_e32 v2, 0x800000, v0
	v_cndmask_b32_e32 v1, v1, v4, vcc
	v_cndmask_b32_e32 v2, v2, v0, vcc
	v_add_u32_e32 v0, 20, v1
	v_lshlrev_b64 v[4:5], v0, -1
	v_add_u32_e32 v0, 19, v1
	v_lshlrev_b64 v[16:17], v0, 1
	v_bfi_b32 v5, v5, 0, 0
	v_bfi_b32 v4, v4, 0, v2
	v_cmp_eq_u64_e64 s[40:41], v[4:5], v[16:17]
	v_lshrrev_b64 v[16:17], v1, v[2:3]
	v_mov_b32_e32 v4, v16
	v_mov_b32_e32 v5, v17
	s_and_saveexec_b64 s[54:55], s[40:41]
; %bb.6141:                             ;   in Loop: Header=BB4_5629 Depth=3
	v_bfe_u32 v0, v16, 20, 1
	v_add_co_u32_e64 v0, s[40:41], v16, v0
	v_add_co_u32_e64 v4, s[40:41], -1, v0
; %bb.6142:                             ;   in Loop: Header=BB4_5629 Depth=3
	s_or_b64 exec, exec, s[54:55]
	v_add_u32_e32 v0, 0xffffff81, v21
	v_mov_b32_e32 v2, 0xffffff82
	v_cndmask_b32_e32 v0, v0, v2, vcc
	v_lshrrev_b32_e32 v2, 23, v16
	v_add3_u32 v1, v1, v0, v2
	v_add_u32_e32 v0, 6, v1
	v_and_b32_e32 v2, 0xfffff, v4
	v_add_u32_e32 v2, v2, v16
	v_cmp_ne_u32_e32 vcc, 0, v0
                                        ; implicit-def: $vgpr16_vgpr17
                                        ; implicit-def: $vgpr4
	s_and_saveexec_b64 s[40:41], vcc
	s_xor_b64 s[40:41], exec, s[40:41]
; %bb.6143:                             ;   in Loop: Header=BB4_5629 Depth=3
	v_cmp_lt_u64_e32 vcc, s[88:89], v[2:3]
	v_add_u32_e32 v1, 7, v1
	v_cndmask_b32_e32 v4, v0, v1, vcc
	v_cndmask_b32_e64 v0, 0, 1, vcc
	v_lshrrev_b64 v[16:17], v0, v[2:3]
; %bb.6144:                             ;   in Loop: Header=BB4_5629 Depth=3
	s_andn2_saveexec_b64 s[40:41], s[40:41]
; %bb.6145:                             ;   in Loop: Header=BB4_5629 Depth=3
	v_mov_b32_e32 v17, v3
	v_bfe_u32 v4, v2, 23, 1
	v_mov_b32_e32 v16, v2
; %bb.6146:                             ;   in Loop: Header=BB4_5629 Depth=3
	s_or_b64 exec, exec, s[40:41]
	v_lshrrev_b64 v[0:1], 20, v[16:17]
	v_cmp_gt_i32_e32 vcc, 16, v4
	v_cndmask_b32_e32 v17, 0, v1, vcc
	v_cndmask_b32_e32 v16, 7, v0, vcc
	v_cmp_ne_u64_e32 vcc, 0, v[16:17]
	v_cmp_ne_u32_e64 s[40:41], 0, v4
	s_or_b64 s[40:41], s[40:41], vcc
                                        ; implicit-def: $vgpr50
	s_and_saveexec_b64 vcc, s[40:41]
	s_xor_b64 s[40:41], exec, vcc
; %bb.6147:                             ;   in Loop: Header=BB4_5629 Depth=3
	v_min_i32_e32 v0, 15, v4
	v_lshl_or_b32 v0, v0, 3, v19
	v_and_or_b32 v50, v16, 7, v0
                                        ; implicit-def: $vgpr19
; %bb.6148:                             ;   in Loop: Header=BB4_5629 Depth=3
	s_andn2_saveexec_b64 s[40:41], s[40:41]
; %bb.6149:                             ;   in Loop: Header=BB4_5629 Depth=3
	v_mov_b32_e32 v50, v19
; %bb.6150:                             ;   in Loop: Header=BB4_5629 Depth=3
	s_or_b64 exec, exec, s[40:41]
.LBB4_6151:                             ;   in Loop: Header=BB4_5629 Depth=3
	s_or_b64 exec, exec, s[52:53]
                                        ; implicit-def: $vgpr19
.LBB4_6152:                             ;   in Loop: Header=BB4_5629 Depth=3
	s_andn2_saveexec_b64 s[40:41], s[50:51]
; %bb.6153:                             ;   in Loop: Header=BB4_5629 Depth=3
	v_or_b32_e32 v50, 0x7e, v19
; %bb.6154:                             ;   in Loop: Header=BB4_5629 Depth=3
	s_or_b64 exec, exec, s[40:41]
                                        ; implicit-def: $vgpr4
.LBB4_6155:                             ;   in Loop: Header=BB4_5629 Depth=3
	s_andn2_saveexec_b64 s[40:41], s[48:49]
; %bb.6156:                             ;   in Loop: Header=BB4_5629 Depth=3
	v_or_b32_sdwa v50, v4, s81 dst_sel:DWORD dst_unused:UNUSED_PAD src0_sel:BYTE_3 src1_sel:DWORD
; %bb.6157:                             ;   in Loop: Header=BB4_5629 Depth=3
	s_or_b64 exec, exec, s[40:41]
	v_and_b32_e32 v2, 0xff, v36
	v_cmp_ne_u16_e64 s[40:41], 0, v2
	s_and_b64 vcc, exec, s[28:29]
	s_mov_b64 s[48:49], -1
                                        ; implicit-def: $vgpr4
	s_cbranch_vccnz .LBB4_6171
; %bb.6158:                             ;   in Loop: Header=BB4_5629 Depth=3
	v_mov_b32_e32 v5, 0
	v_mov_b32_e32 v4, 0
	s_and_saveexec_b64 s[48:49], s[40:41]
	s_cbranch_execz .LBB4_6164
; %bb.6159:                             ;   in Loop: Header=BB4_5629 Depth=3
	v_cmp_ne_u16_e32 vcc, s80, v2
	v_bfrev_b32_e32 v4, 1
	s_and_saveexec_b64 s[50:51], vcc
	s_cbranch_execz .LBB4_6163
; %bb.6160:                             ;   in Loop: Header=BB4_5629 Depth=3
	v_and_b32_e32 v0, 0x7f, v36
	v_cmp_ne_u32_e32 vcc, s81, v0
	v_mov_b32_e32 v4, 0x7f800001
	s_and_saveexec_b64 s[52:53], vcc
	s_cbranch_execz .LBB4_6162
; %bb.6161:                             ;   in Loop: Header=BB4_5629 Depth=3
	v_and_b32_e32 v4, 7, v2
	v_lshrrev_b32_e32 v16, 3, v0
	v_cmp_gt_u32_e32 vcc, 8, v0
	v_ffbh_u32_e32 v0, v4
	v_min_u32_e32 v17, 32, v0
	v_subrev_u32_e32 v0, 28, v17
	v_lshlrev_b64 v[0:1], v0, v[2:3]
	v_sub_u32_e32 v1, 29, v17
	v_and_b32_e32 v0, 7, v0
	v_cndmask_b32_e32 v1, v16, v1, vcc
	v_cndmask_b32_e32 v0, v4, v0, vcc
	v_lshlrev_b32_e32 v4, 24, v36
	v_lshlrev_b32_e32 v0, 20, v0
	v_and_b32_e32 v4, 0x80000000, v4
	v_lshl_add_u32 v1, v1, 23, v54
	v_or3_b32 v4, v4, v1, v0
.LBB4_6162:                             ;   in Loop: Header=BB4_5629 Depth=3
	s_or_b64 exec, exec, s[52:53]
.LBB4_6163:                             ;   in Loop: Header=BB4_5629 Depth=3
	s_or_b64 exec, exec, s[50:51]
.LBB4_6164:                             ;   in Loop: Header=BB4_5629 Depth=3
	s_or_b64 exec, exec, s[48:49]
	v_and_b32_e32 v16, 0xff, v35
	v_cmp_ne_u16_e32 vcc, 0, v16
	s_and_saveexec_b64 s[48:49], vcc
	s_cbranch_execz .LBB4_6170
; %bb.6165:                             ;   in Loop: Header=BB4_5629 Depth=3
	v_cmp_ne_u16_e32 vcc, s80, v16
	v_bfrev_b32_e32 v5, 1
	s_and_saveexec_b64 s[50:51], vcc
	s_cbranch_execz .LBB4_6169
; %bb.6166:                             ;   in Loop: Header=BB4_5629 Depth=3
	v_and_b32_e32 v0, 0x7f, v35
	v_cmp_ne_u32_e32 vcc, s81, v0
	v_mov_b32_e32 v5, 0x7f800001
	s_and_saveexec_b64 s[52:53], vcc
	s_cbranch_execz .LBB4_6168
; %bb.6167:                             ;   in Loop: Header=BB4_5629 Depth=3
	v_and_b32_e32 v5, 7, v16
	v_lshrrev_b32_e32 v17, 3, v0
	v_cmp_gt_u32_e32 vcc, 8, v0
	v_ffbh_u32_e32 v0, v5
	v_min_u32_e32 v19, 32, v0
	v_subrev_u32_e32 v0, 28, v19
	v_lshlrev_b64 v[0:1], v0, v[16:17]
	v_sub_u32_e32 v1, 29, v19
	v_and_b32_e32 v0, 7, v0
	v_cndmask_b32_e32 v1, v17, v1, vcc
	v_cndmask_b32_e32 v0, v5, v0, vcc
	v_lshlrev_b32_e32 v5, 24, v35
	v_lshlrev_b32_e32 v0, 20, v0
	v_and_b32_e32 v5, 0x80000000, v5
	v_lshl_add_u32 v1, v1, 23, v54
	v_or3_b32 v5, v5, v1, v0
.LBB4_6168:                             ;   in Loop: Header=BB4_5629 Depth=3
	s_or_b64 exec, exec, s[52:53]
.LBB4_6169:                             ;   in Loop: Header=BB4_5629 Depth=3
	s_or_b64 exec, exec, s[50:51]
.LBB4_6170:                             ;   in Loop: Header=BB4_5629 Depth=3
	s_or_b64 exec, exec, s[48:49]
	v_max_f32_e32 v0, v5, v5
	v_max_f32_e32 v1, v4, v4
	;; [unrolled: 1-line block ×3, first 2 shown]
	s_mov_b64 s[48:49], 0
.LBB4_6171:                             ;   in Loop: Header=BB4_5629 Depth=3
	s_and_b64 vcc, exec, s[48:49]
	s_cbranch_vccz .LBB4_6185
; %bb.6172:                             ;   in Loop: Header=BB4_5629 Depth=3
	v_mov_b32_e32 v5, 0
	v_mov_b32_e32 v4, 0
	s_and_saveexec_b64 s[48:49], s[40:41]
	s_cbranch_execz .LBB4_6178
; %bb.6173:                             ;   in Loop: Header=BB4_5629 Depth=3
	v_cmp_ne_u16_e32 vcc, s80, v2
	v_bfrev_b32_e32 v4, 1
	s_and_saveexec_b64 s[40:41], vcc
	s_cbranch_execz .LBB4_6177
; %bb.6174:                             ;   in Loop: Header=BB4_5629 Depth=3
	v_and_b32_e32 v0, 0x7f, v36
	v_cmp_ne_u32_e32 vcc, s81, v0
	v_mov_b32_e32 v4, 0x7f800001
	s_and_saveexec_b64 s[50:51], vcc
	s_cbranch_execz .LBB4_6176
; %bb.6175:                             ;   in Loop: Header=BB4_5629 Depth=3
	v_and_b32_e32 v4, 7, v2
	v_lshrrev_b32_e32 v16, 3, v0
	v_cmp_gt_u32_e32 vcc, 8, v0
	v_ffbh_u32_e32 v0, v4
	v_min_u32_e32 v17, 32, v0
	v_subrev_u32_e32 v0, 28, v17
	v_lshlrev_b64 v[0:1], v0, v[2:3]
	v_sub_u32_e32 v1, 29, v17
	v_and_b32_e32 v0, 7, v0
	v_cndmask_b32_e32 v1, v16, v1, vcc
	v_cndmask_b32_e32 v0, v4, v0, vcc
	v_lshlrev_b32_e32 v2, 24, v36
	v_lshlrev_b32_e32 v0, 20, v0
	v_and_b32_e32 v2, 0x80000000, v2
	v_lshl_add_u32 v1, v1, 23, v54
	v_or3_b32 v4, v2, v1, v0
.LBB4_6176:                             ;   in Loop: Header=BB4_5629 Depth=3
	s_or_b64 exec, exec, s[50:51]
.LBB4_6177:                             ;   in Loop: Header=BB4_5629 Depth=3
	s_or_b64 exec, exec, s[40:41]
.LBB4_6178:                             ;   in Loop: Header=BB4_5629 Depth=3
	s_or_b64 exec, exec, s[48:49]
	v_and_b32_e32 v2, 0xff, v35
	v_cmp_ne_u16_e32 vcc, 0, v2
	s_and_saveexec_b64 s[40:41], vcc
	s_cbranch_execz .LBB4_6184
; %bb.6179:                             ;   in Loop: Header=BB4_5629 Depth=3
	v_cmp_ne_u16_e32 vcc, s80, v2
	v_bfrev_b32_e32 v5, 1
	s_and_saveexec_b64 s[48:49], vcc
	s_cbranch_execz .LBB4_6183
; %bb.6180:                             ;   in Loop: Header=BB4_5629 Depth=3
	v_and_b32_e32 v0, 0x7f, v35
	v_cmp_ne_u32_e32 vcc, s81, v0
	v_mov_b32_e32 v5, 0x7f800001
	s_and_saveexec_b64 s[50:51], vcc
	s_cbranch_execz .LBB4_6182
; %bb.6181:                             ;   in Loop: Header=BB4_5629 Depth=3
	v_and_b32_e32 v5, 7, v2
	v_lshrrev_b32_e32 v16, 3, v0
	v_cmp_gt_u32_e32 vcc, 8, v0
	v_ffbh_u32_e32 v0, v5
	v_min_u32_e32 v17, 32, v0
	v_subrev_u32_e32 v0, 28, v17
	v_lshlrev_b64 v[0:1], v0, v[2:3]
	v_sub_u32_e32 v1, 29, v17
	v_and_b32_e32 v0, 7, v0
	v_cndmask_b32_e32 v1, v16, v1, vcc
	v_cndmask_b32_e32 v0, v5, v0, vcc
	v_lshlrev_b32_e32 v2, 24, v35
	v_lshlrev_b32_e32 v0, 20, v0
	v_and_b32_e32 v2, 0x80000000, v2
	v_lshl_add_u32 v1, v1, 23, v54
	v_or3_b32 v5, v2, v1, v0
.LBB4_6182:                             ;   in Loop: Header=BB4_5629 Depth=3
	s_or_b64 exec, exec, s[50:51]
.LBB4_6183:                             ;   in Loop: Header=BB4_5629 Depth=3
	s_or_b64 exec, exec, s[48:49]
.LBB4_6184:                             ;   in Loop: Header=BB4_5629 Depth=3
	s_or_b64 exec, exec, s[40:41]
	v_max_f32_e32 v0, v5, v5
	v_max_f32_e32 v1, v4, v4
	v_min_f32_e32 v4, v1, v0
.LBB4_6185:                             ;   in Loop: Header=BB4_5629 Depth=3
	v_and_b32_e32 v2, 0x7f800000, v4
	v_cmp_ne_u64_e32 vcc, s[76:77], v[2:3]
                                        ; implicit-def: $vgpr35
	s_and_saveexec_b64 s[40:41], vcc
	s_xor_b64 s[48:49], exec, s[40:41]
	s_cbranch_execz .LBB4_6203
; %bb.6186:                             ;   in Loop: Header=BB4_5629 Depth=3
	v_and_b32_e32 v2, 0x7fffffff, v4
	v_cmp_gt_u64_e32 vcc, s[78:79], v[2:3]
	v_and_b32_sdwa v19, v4, s80 dst_sel:DWORD dst_unused:UNUSED_PAD src0_sel:BYTE_3 src1_sel:DWORD
                                        ; implicit-def: $vgpr35
	s_and_saveexec_b64 s[40:41], vcc
	s_xor_b64 s[50:51], exec, s[40:41]
	s_cbranch_execz .LBB4_6200
; %bb.6187:                             ;   in Loop: Header=BB4_5629 Depth=3
	v_cmp_ne_u32_e32 vcc, 0, v4
	v_mov_b32_e32 v35, 0
	s_and_saveexec_b64 s[52:53], vcc
	s_cbranch_execz .LBB4_6199
; %bb.6188:                             ;   in Loop: Header=BB4_5629 Depth=3
	v_bfe_u32 v21, v4, 23, 8
	v_cmp_gt_u32_e64 s[40:41], s83, v21
	v_sub_u32_e32 v1, 0x79, v21
	v_and_b32_e32 v0, 0x7fffff, v4
	v_cmp_eq_u32_e32 vcc, 0, v21
	v_cndmask_b32_e64 v1, 0, v1, s[40:41]
	v_mov_b32_e32 v4, 0x78
	v_or_b32_e32 v2, 0x800000, v0
	v_cndmask_b32_e32 v1, v1, v4, vcc
	v_cndmask_b32_e32 v2, v2, v0, vcc
	v_add_u32_e32 v0, 20, v1
	v_lshlrev_b64 v[4:5], v0, -1
	v_add_u32_e32 v0, 19, v1
	v_lshlrev_b64 v[16:17], v0, 1
	v_bfi_b32 v5, v5, 0, 0
	v_bfi_b32 v4, v4, 0, v2
	v_cmp_eq_u64_e64 s[40:41], v[4:5], v[16:17]
	v_lshrrev_b64 v[16:17], v1, v[2:3]
	v_mov_b32_e32 v4, v16
	v_mov_b32_e32 v5, v17
	s_and_saveexec_b64 s[54:55], s[40:41]
; %bb.6189:                             ;   in Loop: Header=BB4_5629 Depth=3
	v_bfe_u32 v0, v16, 20, 1
	v_add_co_u32_e64 v0, s[40:41], v16, v0
	v_add_co_u32_e64 v4, s[40:41], -1, v0
; %bb.6190:                             ;   in Loop: Header=BB4_5629 Depth=3
	s_or_b64 exec, exec, s[54:55]
	v_add_u32_e32 v0, 0xffffff81, v21
	v_mov_b32_e32 v2, 0xffffff82
	v_cndmask_b32_e32 v0, v0, v2, vcc
	v_lshrrev_b32_e32 v2, 23, v16
	v_add3_u32 v1, v1, v0, v2
	v_add_u32_e32 v0, 6, v1
	v_and_b32_e32 v2, 0xfffff, v4
	v_add_u32_e32 v2, v2, v16
	v_cmp_ne_u32_e32 vcc, 0, v0
                                        ; implicit-def: $vgpr16_vgpr17
                                        ; implicit-def: $vgpr4
	s_and_saveexec_b64 s[40:41], vcc
	s_xor_b64 s[40:41], exec, s[40:41]
; %bb.6191:                             ;   in Loop: Header=BB4_5629 Depth=3
	v_cmp_lt_u64_e32 vcc, s[88:89], v[2:3]
	v_add_u32_e32 v1, 7, v1
	v_cndmask_b32_e32 v4, v0, v1, vcc
	v_cndmask_b32_e64 v0, 0, 1, vcc
	v_lshrrev_b64 v[16:17], v0, v[2:3]
; %bb.6192:                             ;   in Loop: Header=BB4_5629 Depth=3
	s_andn2_saveexec_b64 s[40:41], s[40:41]
; %bb.6193:                             ;   in Loop: Header=BB4_5629 Depth=3
	v_mov_b32_e32 v17, v3
	v_bfe_u32 v4, v2, 23, 1
	v_mov_b32_e32 v16, v2
; %bb.6194:                             ;   in Loop: Header=BB4_5629 Depth=3
	s_or_b64 exec, exec, s[40:41]
	v_lshrrev_b64 v[0:1], 20, v[16:17]
	v_cmp_gt_i32_e32 vcc, 16, v4
	v_cndmask_b32_e32 v17, 0, v1, vcc
	v_cndmask_b32_e32 v16, 7, v0, vcc
	v_cmp_ne_u64_e32 vcc, 0, v[16:17]
	v_cmp_ne_u32_e64 s[40:41], 0, v4
	s_or_b64 s[40:41], s[40:41], vcc
                                        ; implicit-def: $vgpr35
	s_and_saveexec_b64 vcc, s[40:41]
	s_xor_b64 s[40:41], exec, vcc
; %bb.6195:                             ;   in Loop: Header=BB4_5629 Depth=3
	v_min_i32_e32 v0, 15, v4
	v_lshl_or_b32 v0, v0, 3, v19
	v_and_or_b32 v35, v16, 7, v0
                                        ; implicit-def: $vgpr19
; %bb.6196:                             ;   in Loop: Header=BB4_5629 Depth=3
	s_andn2_saveexec_b64 s[40:41], s[40:41]
; %bb.6197:                             ;   in Loop: Header=BB4_5629 Depth=3
	v_mov_b32_e32 v35, v19
; %bb.6198:                             ;   in Loop: Header=BB4_5629 Depth=3
	s_or_b64 exec, exec, s[40:41]
.LBB4_6199:                             ;   in Loop: Header=BB4_5629 Depth=3
	s_or_b64 exec, exec, s[52:53]
                                        ; implicit-def: $vgpr19
.LBB4_6200:                             ;   in Loop: Header=BB4_5629 Depth=3
	s_andn2_saveexec_b64 s[40:41], s[50:51]
; %bb.6201:                             ;   in Loop: Header=BB4_5629 Depth=3
	v_or_b32_e32 v35, 0x7e, v19
; %bb.6202:                             ;   in Loop: Header=BB4_5629 Depth=3
	s_or_b64 exec, exec, s[40:41]
                                        ; implicit-def: $vgpr4
.LBB4_6203:                             ;   in Loop: Header=BB4_5629 Depth=3
	s_andn2_saveexec_b64 s[40:41], s[48:49]
; %bb.6204:                             ;   in Loop: Header=BB4_5629 Depth=3
	v_or_b32_sdwa v35, v4, s81 dst_sel:DWORD dst_unused:UNUSED_PAD src0_sel:BYTE_3 src1_sel:DWORD
; %bb.6205:                             ;   in Loop: Header=BB4_5629 Depth=3
	s_or_b64 exec, exec, s[40:41]
	v_and_b32_e32 v2, 0xff, v31
	v_cmp_ne_u16_e64 s[40:41], 0, v2
	s_and_b64 vcc, exec, s[28:29]
	s_mov_b64 s[48:49], -1
                                        ; implicit-def: $vgpr4
	s_cbranch_vccnz .LBB4_6219
; %bb.6206:                             ;   in Loop: Header=BB4_5629 Depth=3
	v_mov_b32_e32 v5, 0
	v_mov_b32_e32 v4, 0
	s_and_saveexec_b64 s[48:49], s[40:41]
	s_cbranch_execz .LBB4_6212
; %bb.6207:                             ;   in Loop: Header=BB4_5629 Depth=3
	v_cmp_ne_u16_e32 vcc, s80, v2
	v_bfrev_b32_e32 v4, 1
	s_and_saveexec_b64 s[50:51], vcc
	s_cbranch_execz .LBB4_6211
; %bb.6208:                             ;   in Loop: Header=BB4_5629 Depth=3
	v_and_b32_e32 v0, 0x7f, v31
	v_cmp_ne_u32_e32 vcc, s81, v0
	v_mov_b32_e32 v4, 0x7f800001
	s_and_saveexec_b64 s[52:53], vcc
	s_cbranch_execz .LBB4_6210
; %bb.6209:                             ;   in Loop: Header=BB4_5629 Depth=3
	v_and_b32_e32 v4, 7, v2
	v_lshrrev_b32_e32 v16, 3, v0
	v_cmp_gt_u32_e32 vcc, 8, v0
	v_ffbh_u32_e32 v0, v4
	v_min_u32_e32 v17, 32, v0
	v_subrev_u32_e32 v0, 28, v17
	v_lshlrev_b64 v[0:1], v0, v[2:3]
	v_sub_u32_e32 v1, 29, v17
	v_and_b32_e32 v0, 7, v0
	v_cndmask_b32_e32 v1, v16, v1, vcc
	v_cndmask_b32_e32 v0, v4, v0, vcc
	v_lshlrev_b32_e32 v4, 24, v31
	v_lshlrev_b32_e32 v0, 20, v0
	v_and_b32_e32 v4, 0x80000000, v4
	v_lshl_add_u32 v1, v1, 23, v54
	v_or3_b32 v4, v4, v1, v0
.LBB4_6210:                             ;   in Loop: Header=BB4_5629 Depth=3
	s_or_b64 exec, exec, s[52:53]
.LBB4_6211:                             ;   in Loop: Header=BB4_5629 Depth=3
	s_or_b64 exec, exec, s[50:51]
.LBB4_6212:                             ;   in Loop: Header=BB4_5629 Depth=3
	s_or_b64 exec, exec, s[48:49]
	v_and_b32_e32 v16, 0xff, v6
	v_cmp_ne_u16_e32 vcc, 0, v16
	s_and_saveexec_b64 s[48:49], vcc
	s_cbranch_execz .LBB4_6218
; %bb.6213:                             ;   in Loop: Header=BB4_5629 Depth=3
	v_cmp_ne_u16_e32 vcc, s80, v16
	v_bfrev_b32_e32 v5, 1
	s_and_saveexec_b64 s[50:51], vcc
	s_cbranch_execz .LBB4_6217
; %bb.6214:                             ;   in Loop: Header=BB4_5629 Depth=3
	v_and_b32_e32 v0, 0x7f, v6
	v_cmp_ne_u32_e32 vcc, s81, v0
	v_mov_b32_e32 v5, 0x7f800001
	s_and_saveexec_b64 s[52:53], vcc
	s_cbranch_execz .LBB4_6216
; %bb.6215:                             ;   in Loop: Header=BB4_5629 Depth=3
	v_and_b32_e32 v5, 7, v16
	v_lshrrev_b32_e32 v17, 3, v0
	v_cmp_gt_u32_e32 vcc, 8, v0
	v_ffbh_u32_e32 v0, v5
	v_min_u32_e32 v19, 32, v0
	v_subrev_u32_e32 v0, 28, v19
	v_lshlrev_b64 v[0:1], v0, v[16:17]
	v_sub_u32_e32 v1, 29, v19
	v_and_b32_e32 v0, 7, v0
	v_cndmask_b32_e32 v1, v17, v1, vcc
	v_cndmask_b32_e32 v0, v5, v0, vcc
	v_lshlrev_b32_e32 v5, 24, v6
	v_lshlrev_b32_e32 v0, 20, v0
	v_and_b32_e32 v5, 0x80000000, v5
	v_lshl_add_u32 v1, v1, 23, v54
	v_or3_b32 v5, v5, v1, v0
.LBB4_6216:                             ;   in Loop: Header=BB4_5629 Depth=3
	s_or_b64 exec, exec, s[52:53]
.LBB4_6217:                             ;   in Loop: Header=BB4_5629 Depth=3
	s_or_b64 exec, exec, s[50:51]
.LBB4_6218:                             ;   in Loop: Header=BB4_5629 Depth=3
	s_or_b64 exec, exec, s[48:49]
	v_max_f32_e32 v0, v5, v5
	v_max_f32_e32 v1, v4, v4
	;; [unrolled: 1-line block ×3, first 2 shown]
	s_mov_b64 s[48:49], 0
.LBB4_6219:                             ;   in Loop: Header=BB4_5629 Depth=3
	s_and_b64 vcc, exec, s[48:49]
	s_cbranch_vccz .LBB4_6233
; %bb.6220:                             ;   in Loop: Header=BB4_5629 Depth=3
	v_mov_b32_e32 v5, 0
	v_mov_b32_e32 v4, 0
	s_and_saveexec_b64 s[48:49], s[40:41]
	s_cbranch_execz .LBB4_6226
; %bb.6221:                             ;   in Loop: Header=BB4_5629 Depth=3
	v_cmp_ne_u16_e32 vcc, s80, v2
	v_bfrev_b32_e32 v4, 1
	s_and_saveexec_b64 s[40:41], vcc
	s_cbranch_execz .LBB4_6225
; %bb.6222:                             ;   in Loop: Header=BB4_5629 Depth=3
	v_and_b32_e32 v0, 0x7f, v31
	v_cmp_ne_u32_e32 vcc, s81, v0
	v_mov_b32_e32 v4, 0x7f800001
	s_and_saveexec_b64 s[50:51], vcc
	s_cbranch_execz .LBB4_6224
; %bb.6223:                             ;   in Loop: Header=BB4_5629 Depth=3
	v_and_b32_e32 v4, 7, v2
	v_lshrrev_b32_e32 v16, 3, v0
	v_cmp_gt_u32_e32 vcc, 8, v0
	v_ffbh_u32_e32 v0, v4
	v_min_u32_e32 v17, 32, v0
	v_subrev_u32_e32 v0, 28, v17
	v_lshlrev_b64 v[0:1], v0, v[2:3]
	v_sub_u32_e32 v1, 29, v17
	v_and_b32_e32 v0, 7, v0
	v_cndmask_b32_e32 v1, v16, v1, vcc
	v_cndmask_b32_e32 v0, v4, v0, vcc
	v_lshlrev_b32_e32 v2, 24, v31
	v_lshlrev_b32_e32 v0, 20, v0
	v_and_b32_e32 v2, 0x80000000, v2
	v_lshl_add_u32 v1, v1, 23, v54
	v_or3_b32 v4, v2, v1, v0
.LBB4_6224:                             ;   in Loop: Header=BB4_5629 Depth=3
	s_or_b64 exec, exec, s[50:51]
.LBB4_6225:                             ;   in Loop: Header=BB4_5629 Depth=3
	s_or_b64 exec, exec, s[40:41]
.LBB4_6226:                             ;   in Loop: Header=BB4_5629 Depth=3
	s_or_b64 exec, exec, s[48:49]
	v_and_b32_e32 v2, 0xff, v6
	v_cmp_ne_u16_e32 vcc, 0, v2
	s_and_saveexec_b64 s[40:41], vcc
	s_cbranch_execz .LBB4_6232
; %bb.6227:                             ;   in Loop: Header=BB4_5629 Depth=3
	v_cmp_ne_u16_e32 vcc, s80, v2
	v_bfrev_b32_e32 v5, 1
	s_and_saveexec_b64 s[48:49], vcc
	s_cbranch_execz .LBB4_6231
; %bb.6228:                             ;   in Loop: Header=BB4_5629 Depth=3
	v_and_b32_e32 v0, 0x7f, v6
	v_cmp_ne_u32_e32 vcc, s81, v0
	v_mov_b32_e32 v5, 0x7f800001
	s_and_saveexec_b64 s[50:51], vcc
	s_cbranch_execz .LBB4_6230
; %bb.6229:                             ;   in Loop: Header=BB4_5629 Depth=3
	v_and_b32_e32 v5, 7, v2
	v_lshrrev_b32_e32 v16, 3, v0
	v_cmp_gt_u32_e32 vcc, 8, v0
	v_ffbh_u32_e32 v0, v5
	v_min_u32_e32 v17, 32, v0
	v_subrev_u32_e32 v0, 28, v17
	v_lshlrev_b64 v[0:1], v0, v[2:3]
	v_sub_u32_e32 v1, 29, v17
	v_and_b32_e32 v0, 7, v0
	v_cndmask_b32_e32 v1, v16, v1, vcc
	v_cndmask_b32_e32 v0, v5, v0, vcc
	v_lshlrev_b32_e32 v2, 24, v6
	v_lshlrev_b32_e32 v0, 20, v0
	v_and_b32_e32 v2, 0x80000000, v2
	v_lshl_add_u32 v1, v1, 23, v54
	v_or3_b32 v5, v2, v1, v0
.LBB4_6230:                             ;   in Loop: Header=BB4_5629 Depth=3
	s_or_b64 exec, exec, s[50:51]
.LBB4_6231:                             ;   in Loop: Header=BB4_5629 Depth=3
	s_or_b64 exec, exec, s[48:49]
.LBB4_6232:                             ;   in Loop: Header=BB4_5629 Depth=3
	s_or_b64 exec, exec, s[40:41]
	v_max_f32_e32 v0, v5, v5
	v_max_f32_e32 v1, v4, v4
	v_min_f32_e32 v4, v1, v0
.LBB4_6233:                             ;   in Loop: Header=BB4_5629 Depth=3
	v_and_b32_e32 v2, 0x7f800000, v4
	v_cmp_ne_u64_e32 vcc, s[76:77], v[2:3]
                                        ; implicit-def: $vgpr6
	s_and_saveexec_b64 s[40:41], vcc
	s_xor_b64 s[48:49], exec, s[40:41]
	s_cbranch_execz .LBB4_6251
; %bb.6234:                             ;   in Loop: Header=BB4_5629 Depth=3
	v_and_b32_e32 v2, 0x7fffffff, v4
	v_cmp_gt_u64_e32 vcc, s[78:79], v[2:3]
	v_and_b32_sdwa v19, v4, s80 dst_sel:DWORD dst_unused:UNUSED_PAD src0_sel:BYTE_3 src1_sel:DWORD
                                        ; implicit-def: $vgpr6
	s_and_saveexec_b64 s[40:41], vcc
	s_xor_b64 s[50:51], exec, s[40:41]
	s_cbranch_execz .LBB4_6248
; %bb.6235:                             ;   in Loop: Header=BB4_5629 Depth=3
	v_cmp_ne_u32_e32 vcc, 0, v4
	v_mov_b32_e32 v6, 0
	s_and_saveexec_b64 s[52:53], vcc
	s_cbranch_execz .LBB4_6247
; %bb.6236:                             ;   in Loop: Header=BB4_5629 Depth=3
	v_bfe_u32 v6, v4, 23, 8
	v_cmp_gt_u32_e64 s[40:41], s83, v6
	v_sub_u32_e32 v1, 0x79, v6
	v_and_b32_e32 v0, 0x7fffff, v4
	v_cmp_eq_u32_e32 vcc, 0, v6
	v_cndmask_b32_e64 v1, 0, v1, s[40:41]
	v_mov_b32_e32 v4, 0x78
	v_or_b32_e32 v2, 0x800000, v0
	v_cndmask_b32_e32 v1, v1, v4, vcc
	v_cndmask_b32_e32 v2, v2, v0, vcc
	v_add_u32_e32 v0, 20, v1
	v_lshlrev_b64 v[4:5], v0, -1
	v_add_u32_e32 v0, 19, v1
	v_lshlrev_b64 v[16:17], v0, 1
	v_bfi_b32 v5, v5, 0, 0
	v_bfi_b32 v4, v4, 0, v2
	v_cmp_eq_u64_e64 s[40:41], v[4:5], v[16:17]
	v_lshrrev_b64 v[16:17], v1, v[2:3]
	v_mov_b32_e32 v4, v16
	v_mov_b32_e32 v5, v17
	s_and_saveexec_b64 s[54:55], s[40:41]
; %bb.6237:                             ;   in Loop: Header=BB4_5629 Depth=3
	v_bfe_u32 v0, v16, 20, 1
	v_add_co_u32_e64 v0, s[40:41], v16, v0
	v_add_co_u32_e64 v4, s[40:41], -1, v0
; %bb.6238:                             ;   in Loop: Header=BB4_5629 Depth=3
	s_or_b64 exec, exec, s[54:55]
	v_add_u32_e32 v0, 0xffffff81, v6
	v_mov_b32_e32 v2, 0xffffff82
	v_cndmask_b32_e32 v0, v0, v2, vcc
	v_lshrrev_b32_e32 v2, 23, v16
	v_add3_u32 v1, v1, v0, v2
	v_add_u32_e32 v0, 6, v1
	v_and_b32_e32 v2, 0xfffff, v4
	v_add_u32_e32 v2, v2, v16
	v_cmp_ne_u32_e32 vcc, 0, v0
                                        ; implicit-def: $vgpr16_vgpr17
                                        ; implicit-def: $vgpr4
	s_and_saveexec_b64 s[40:41], vcc
	s_xor_b64 s[40:41], exec, s[40:41]
; %bb.6239:                             ;   in Loop: Header=BB4_5629 Depth=3
	v_cmp_lt_u64_e32 vcc, s[88:89], v[2:3]
	v_add_u32_e32 v1, 7, v1
	v_cndmask_b32_e32 v4, v0, v1, vcc
	v_cndmask_b32_e64 v0, 0, 1, vcc
	v_lshrrev_b64 v[16:17], v0, v[2:3]
; %bb.6240:                             ;   in Loop: Header=BB4_5629 Depth=3
	s_andn2_saveexec_b64 s[40:41], s[40:41]
; %bb.6241:                             ;   in Loop: Header=BB4_5629 Depth=3
	v_mov_b32_e32 v17, v3
	v_bfe_u32 v4, v2, 23, 1
	v_mov_b32_e32 v16, v2
; %bb.6242:                             ;   in Loop: Header=BB4_5629 Depth=3
	s_or_b64 exec, exec, s[40:41]
	v_lshrrev_b64 v[0:1], 20, v[16:17]
	v_cmp_gt_i32_e32 vcc, 16, v4
	v_cndmask_b32_e32 v17, 0, v1, vcc
	v_cndmask_b32_e32 v16, 7, v0, vcc
	v_cmp_ne_u64_e32 vcc, 0, v[16:17]
	v_cmp_ne_u32_e64 s[40:41], 0, v4
	s_or_b64 s[40:41], s[40:41], vcc
                                        ; implicit-def: $vgpr6
	s_and_saveexec_b64 vcc, s[40:41]
	s_xor_b64 s[40:41], exec, vcc
; %bb.6243:                             ;   in Loop: Header=BB4_5629 Depth=3
	v_min_i32_e32 v0, 15, v4
	v_lshl_or_b32 v0, v0, 3, v19
	v_and_or_b32 v6, v16, 7, v0
                                        ; implicit-def: $vgpr19
; %bb.6244:                             ;   in Loop: Header=BB4_5629 Depth=3
	s_andn2_saveexec_b64 s[40:41], s[40:41]
; %bb.6245:                             ;   in Loop: Header=BB4_5629 Depth=3
	v_mov_b32_e32 v6, v19
; %bb.6246:                             ;   in Loop: Header=BB4_5629 Depth=3
	s_or_b64 exec, exec, s[40:41]
.LBB4_6247:                             ;   in Loop: Header=BB4_5629 Depth=3
	s_or_b64 exec, exec, s[52:53]
                                        ; implicit-def: $vgpr19
.LBB4_6248:                             ;   in Loop: Header=BB4_5629 Depth=3
	s_andn2_saveexec_b64 s[40:41], s[50:51]
; %bb.6249:                             ;   in Loop: Header=BB4_5629 Depth=3
	v_or_b32_e32 v6, 0x7e, v19
; %bb.6250:                             ;   in Loop: Header=BB4_5629 Depth=3
	s_or_b64 exec, exec, s[40:41]
                                        ; implicit-def: $vgpr4
.LBB4_6251:                             ;   in Loop: Header=BB4_5629 Depth=3
	s_andn2_saveexec_b64 s[40:41], s[48:49]
; %bb.6252:                             ;   in Loop: Header=BB4_5629 Depth=3
	v_or_b32_sdwa v6, v4, s81 dst_sel:DWORD dst_unused:UNUSED_PAD src0_sel:BYTE_3 src1_sel:DWORD
; %bb.6253:                             ;   in Loop: Header=BB4_5629 Depth=3
	s_or_b64 exec, exec, s[40:41]
	v_and_b32_e32 v2, 0xff, v29
	v_cmp_ne_u16_e64 s[40:41], 0, v2
	s_and_b64 vcc, exec, s[28:29]
	s_mov_b64 s[48:49], -1
                                        ; implicit-def: $vgpr4
	s_cbranch_vccnz .LBB4_6267
; %bb.6254:                             ;   in Loop: Header=BB4_5629 Depth=3
	v_mov_b32_e32 v5, 0
	v_mov_b32_e32 v4, 0
	s_and_saveexec_b64 s[48:49], s[40:41]
	s_cbranch_execz .LBB4_6260
; %bb.6255:                             ;   in Loop: Header=BB4_5629 Depth=3
	v_cmp_ne_u16_e32 vcc, s80, v2
	v_bfrev_b32_e32 v4, 1
	s_and_saveexec_b64 s[50:51], vcc
	s_cbranch_execz .LBB4_6259
; %bb.6256:                             ;   in Loop: Header=BB4_5629 Depth=3
	v_and_b32_e32 v0, 0x7f, v29
	v_cmp_ne_u32_e32 vcc, s81, v0
	v_mov_b32_e32 v4, 0x7f800001
	s_and_saveexec_b64 s[52:53], vcc
	s_cbranch_execz .LBB4_6258
; %bb.6257:                             ;   in Loop: Header=BB4_5629 Depth=3
	v_and_b32_e32 v4, 7, v2
	v_lshrrev_b32_e32 v16, 3, v0
	v_cmp_gt_u32_e32 vcc, 8, v0
	v_ffbh_u32_e32 v0, v4
	v_min_u32_e32 v17, 32, v0
	v_subrev_u32_e32 v0, 28, v17
	v_lshlrev_b64 v[0:1], v0, v[2:3]
	v_sub_u32_e32 v1, 29, v17
	v_and_b32_e32 v0, 7, v0
	v_cndmask_b32_e32 v1, v16, v1, vcc
	v_cndmask_b32_e32 v0, v4, v0, vcc
	v_lshlrev_b32_e32 v4, 24, v29
	v_lshlrev_b32_e32 v0, 20, v0
	v_and_b32_e32 v4, 0x80000000, v4
	v_lshl_add_u32 v1, v1, 23, v54
	v_or3_b32 v4, v4, v1, v0
.LBB4_6258:                             ;   in Loop: Header=BB4_5629 Depth=3
	s_or_b64 exec, exec, s[52:53]
.LBB4_6259:                             ;   in Loop: Header=BB4_5629 Depth=3
	s_or_b64 exec, exec, s[50:51]
.LBB4_6260:                             ;   in Loop: Header=BB4_5629 Depth=3
	s_or_b64 exec, exec, s[48:49]
	v_and_b32_e32 v16, 0xff, v28
	v_cmp_ne_u16_e32 vcc, 0, v16
	s_and_saveexec_b64 s[48:49], vcc
	s_cbranch_execz .LBB4_6266
; %bb.6261:                             ;   in Loop: Header=BB4_5629 Depth=3
	v_cmp_ne_u16_e32 vcc, s80, v16
	v_bfrev_b32_e32 v5, 1
	s_and_saveexec_b64 s[50:51], vcc
	s_cbranch_execz .LBB4_6265
; %bb.6262:                             ;   in Loop: Header=BB4_5629 Depth=3
	v_and_b32_e32 v0, 0x7f, v28
	v_cmp_ne_u32_e32 vcc, s81, v0
	v_mov_b32_e32 v5, 0x7f800001
	s_and_saveexec_b64 s[52:53], vcc
	s_cbranch_execz .LBB4_6264
; %bb.6263:                             ;   in Loop: Header=BB4_5629 Depth=3
	v_and_b32_e32 v5, 7, v16
	v_lshrrev_b32_e32 v17, 3, v0
	v_cmp_gt_u32_e32 vcc, 8, v0
	v_ffbh_u32_e32 v0, v5
	v_min_u32_e32 v19, 32, v0
	v_subrev_u32_e32 v0, 28, v19
	v_lshlrev_b64 v[0:1], v0, v[16:17]
	v_sub_u32_e32 v1, 29, v19
	v_and_b32_e32 v0, 7, v0
	v_cndmask_b32_e32 v1, v17, v1, vcc
	v_cndmask_b32_e32 v0, v5, v0, vcc
	v_lshlrev_b32_e32 v5, 24, v28
	v_lshlrev_b32_e32 v0, 20, v0
	v_and_b32_e32 v5, 0x80000000, v5
	v_lshl_add_u32 v1, v1, 23, v54
	v_or3_b32 v5, v5, v1, v0
.LBB4_6264:                             ;   in Loop: Header=BB4_5629 Depth=3
	s_or_b64 exec, exec, s[52:53]
.LBB4_6265:                             ;   in Loop: Header=BB4_5629 Depth=3
	s_or_b64 exec, exec, s[50:51]
.LBB4_6266:                             ;   in Loop: Header=BB4_5629 Depth=3
	s_or_b64 exec, exec, s[48:49]
	v_max_f32_e32 v0, v5, v5
	v_max_f32_e32 v1, v4, v4
	;; [unrolled: 1-line block ×3, first 2 shown]
	s_mov_b64 s[48:49], 0
.LBB4_6267:                             ;   in Loop: Header=BB4_5629 Depth=3
	s_and_b64 vcc, exec, s[48:49]
	s_cbranch_vccz .LBB4_6281
; %bb.6268:                             ;   in Loop: Header=BB4_5629 Depth=3
	v_mov_b32_e32 v5, 0
	v_mov_b32_e32 v4, 0
	s_and_saveexec_b64 s[48:49], s[40:41]
	s_cbranch_execz .LBB4_6274
; %bb.6269:                             ;   in Loop: Header=BB4_5629 Depth=3
	v_cmp_ne_u16_e32 vcc, s80, v2
	v_bfrev_b32_e32 v4, 1
	s_and_saveexec_b64 s[40:41], vcc
	s_cbranch_execz .LBB4_6273
; %bb.6270:                             ;   in Loop: Header=BB4_5629 Depth=3
	v_and_b32_e32 v0, 0x7f, v29
	v_cmp_ne_u32_e32 vcc, s81, v0
	v_mov_b32_e32 v4, 0x7f800001
	s_and_saveexec_b64 s[50:51], vcc
	s_cbranch_execz .LBB4_6272
; %bb.6271:                             ;   in Loop: Header=BB4_5629 Depth=3
	v_and_b32_e32 v4, 7, v2
	v_lshrrev_b32_e32 v16, 3, v0
	v_cmp_gt_u32_e32 vcc, 8, v0
	v_ffbh_u32_e32 v0, v4
	v_min_u32_e32 v17, 32, v0
	v_subrev_u32_e32 v0, 28, v17
	v_lshlrev_b64 v[0:1], v0, v[2:3]
	v_sub_u32_e32 v1, 29, v17
	v_and_b32_e32 v0, 7, v0
	v_cndmask_b32_e32 v1, v16, v1, vcc
	v_cndmask_b32_e32 v0, v4, v0, vcc
	v_lshlrev_b32_e32 v2, 24, v29
	v_lshlrev_b32_e32 v0, 20, v0
	v_and_b32_e32 v2, 0x80000000, v2
	v_lshl_add_u32 v1, v1, 23, v54
	v_or3_b32 v4, v2, v1, v0
.LBB4_6272:                             ;   in Loop: Header=BB4_5629 Depth=3
	s_or_b64 exec, exec, s[50:51]
.LBB4_6273:                             ;   in Loop: Header=BB4_5629 Depth=3
	s_or_b64 exec, exec, s[40:41]
.LBB4_6274:                             ;   in Loop: Header=BB4_5629 Depth=3
	s_or_b64 exec, exec, s[48:49]
	v_and_b32_e32 v2, 0xff, v28
	v_cmp_ne_u16_e32 vcc, 0, v2
	s_and_saveexec_b64 s[40:41], vcc
	s_cbranch_execz .LBB4_6280
; %bb.6275:                             ;   in Loop: Header=BB4_5629 Depth=3
	v_cmp_ne_u16_e32 vcc, s80, v2
	v_bfrev_b32_e32 v5, 1
	s_and_saveexec_b64 s[48:49], vcc
	s_cbranch_execz .LBB4_6279
; %bb.6276:                             ;   in Loop: Header=BB4_5629 Depth=3
	v_and_b32_e32 v0, 0x7f, v28
	v_cmp_ne_u32_e32 vcc, s81, v0
	v_mov_b32_e32 v5, 0x7f800001
	s_and_saveexec_b64 s[50:51], vcc
	s_cbranch_execz .LBB4_6278
; %bb.6277:                             ;   in Loop: Header=BB4_5629 Depth=3
	v_and_b32_e32 v5, 7, v2
	v_lshrrev_b32_e32 v16, 3, v0
	v_cmp_gt_u32_e32 vcc, 8, v0
	v_ffbh_u32_e32 v0, v5
	v_min_u32_e32 v17, 32, v0
	v_subrev_u32_e32 v0, 28, v17
	v_lshlrev_b64 v[0:1], v0, v[2:3]
	v_sub_u32_e32 v1, 29, v17
	v_and_b32_e32 v0, 7, v0
	v_cndmask_b32_e32 v1, v16, v1, vcc
	v_cndmask_b32_e32 v0, v5, v0, vcc
	v_lshlrev_b32_e32 v2, 24, v28
	v_lshlrev_b32_e32 v0, 20, v0
	v_and_b32_e32 v2, 0x80000000, v2
	v_lshl_add_u32 v1, v1, 23, v54
	v_or3_b32 v5, v2, v1, v0
.LBB4_6278:                             ;   in Loop: Header=BB4_5629 Depth=3
	s_or_b64 exec, exec, s[50:51]
.LBB4_6279:                             ;   in Loop: Header=BB4_5629 Depth=3
	s_or_b64 exec, exec, s[48:49]
.LBB4_6280:                             ;   in Loop: Header=BB4_5629 Depth=3
	s_or_b64 exec, exec, s[40:41]
	v_max_f32_e32 v0, v5, v5
	v_max_f32_e32 v1, v4, v4
	v_min_f32_e32 v4, v1, v0
.LBB4_6281:                             ;   in Loop: Header=BB4_5629 Depth=3
	v_and_b32_e32 v2, 0x7f800000, v4
	v_cmp_ne_u64_e32 vcc, s[76:77], v[2:3]
                                        ; implicit-def: $vgpr19
	s_and_saveexec_b64 s[40:41], vcc
	s_xor_b64 s[48:49], exec, s[40:41]
	s_cbranch_execz .LBB4_6299
; %bb.6282:                             ;   in Loop: Header=BB4_5629 Depth=3
	v_and_b32_e32 v2, 0x7fffffff, v4
	v_cmp_gt_u64_e32 vcc, s[78:79], v[2:3]
	v_and_b32_sdwa v21, v4, s80 dst_sel:DWORD dst_unused:UNUSED_PAD src0_sel:BYTE_3 src1_sel:DWORD
                                        ; implicit-def: $vgpr19
	s_and_saveexec_b64 s[40:41], vcc
	s_xor_b64 s[50:51], exec, s[40:41]
	s_cbranch_execz .LBB4_6296
; %bb.6283:                             ;   in Loop: Header=BB4_5629 Depth=3
	v_cmp_ne_u32_e32 vcc, 0, v4
	v_mov_b32_e32 v19, 0
	s_and_saveexec_b64 s[52:53], vcc
	s_cbranch_execz .LBB4_6295
; %bb.6284:                             ;   in Loop: Header=BB4_5629 Depth=3
	v_bfe_u32 v19, v4, 23, 8
	v_cmp_gt_u32_e64 s[40:41], s83, v19
	v_sub_u32_e32 v1, 0x79, v19
	v_and_b32_e32 v0, 0x7fffff, v4
	v_cmp_eq_u32_e32 vcc, 0, v19
	v_cndmask_b32_e64 v1, 0, v1, s[40:41]
	v_mov_b32_e32 v4, 0x78
	v_or_b32_e32 v2, 0x800000, v0
	v_cndmask_b32_e32 v1, v1, v4, vcc
	v_cndmask_b32_e32 v2, v2, v0, vcc
	v_add_u32_e32 v0, 20, v1
	v_lshlrev_b64 v[4:5], v0, -1
	v_add_u32_e32 v0, 19, v1
	v_lshlrev_b64 v[16:17], v0, 1
	v_bfi_b32 v5, v5, 0, 0
	v_bfi_b32 v4, v4, 0, v2
	v_cmp_eq_u64_e64 s[40:41], v[4:5], v[16:17]
	v_lshrrev_b64 v[16:17], v1, v[2:3]
	v_mov_b32_e32 v4, v16
	v_mov_b32_e32 v5, v17
	s_and_saveexec_b64 s[54:55], s[40:41]
; %bb.6285:                             ;   in Loop: Header=BB4_5629 Depth=3
	v_bfe_u32 v0, v16, 20, 1
	v_add_co_u32_e64 v0, s[40:41], v16, v0
	v_add_co_u32_e64 v4, s[40:41], -1, v0
; %bb.6286:                             ;   in Loop: Header=BB4_5629 Depth=3
	s_or_b64 exec, exec, s[54:55]
	v_add_u32_e32 v0, 0xffffff81, v19
	v_mov_b32_e32 v2, 0xffffff82
	v_cndmask_b32_e32 v0, v0, v2, vcc
	v_lshrrev_b32_e32 v2, 23, v16
	v_add3_u32 v1, v1, v0, v2
	v_add_u32_e32 v0, 6, v1
	v_and_b32_e32 v2, 0xfffff, v4
	v_add_u32_e32 v2, v2, v16
	v_cmp_ne_u32_e32 vcc, 0, v0
                                        ; implicit-def: $vgpr16_vgpr17
                                        ; implicit-def: $vgpr4
	s_and_saveexec_b64 s[40:41], vcc
	s_xor_b64 s[40:41], exec, s[40:41]
; %bb.6287:                             ;   in Loop: Header=BB4_5629 Depth=3
	v_cmp_lt_u64_e32 vcc, s[88:89], v[2:3]
	v_add_u32_e32 v1, 7, v1
	v_cndmask_b32_e32 v4, v0, v1, vcc
	v_cndmask_b32_e64 v0, 0, 1, vcc
	v_lshrrev_b64 v[16:17], v0, v[2:3]
; %bb.6288:                             ;   in Loop: Header=BB4_5629 Depth=3
	s_andn2_saveexec_b64 s[40:41], s[40:41]
; %bb.6289:                             ;   in Loop: Header=BB4_5629 Depth=3
	v_mov_b32_e32 v17, v3
	v_bfe_u32 v4, v2, 23, 1
	v_mov_b32_e32 v16, v2
; %bb.6290:                             ;   in Loop: Header=BB4_5629 Depth=3
	s_or_b64 exec, exec, s[40:41]
	v_lshrrev_b64 v[0:1], 20, v[16:17]
	v_cmp_gt_i32_e32 vcc, 16, v4
	v_cndmask_b32_e32 v17, 0, v1, vcc
	v_cndmask_b32_e32 v16, 7, v0, vcc
	v_cmp_ne_u64_e32 vcc, 0, v[16:17]
	v_cmp_ne_u32_e64 s[40:41], 0, v4
	s_or_b64 s[40:41], s[40:41], vcc
                                        ; implicit-def: $vgpr19
	s_and_saveexec_b64 vcc, s[40:41]
	s_xor_b64 s[40:41], exec, vcc
; %bb.6291:                             ;   in Loop: Header=BB4_5629 Depth=3
	v_min_i32_e32 v0, 15, v4
	v_lshl_or_b32 v0, v0, 3, v21
	v_and_or_b32 v19, v16, 7, v0
                                        ; implicit-def: $vgpr21
; %bb.6292:                             ;   in Loop: Header=BB4_5629 Depth=3
	s_andn2_saveexec_b64 s[40:41], s[40:41]
; %bb.6293:                             ;   in Loop: Header=BB4_5629 Depth=3
	v_mov_b32_e32 v19, v21
; %bb.6294:                             ;   in Loop: Header=BB4_5629 Depth=3
	s_or_b64 exec, exec, s[40:41]
.LBB4_6295:                             ;   in Loop: Header=BB4_5629 Depth=3
	s_or_b64 exec, exec, s[52:53]
                                        ; implicit-def: $vgpr21
.LBB4_6296:                             ;   in Loop: Header=BB4_5629 Depth=3
	s_andn2_saveexec_b64 s[40:41], s[50:51]
; %bb.6297:                             ;   in Loop: Header=BB4_5629 Depth=3
	v_or_b32_e32 v19, 0x7e, v21
; %bb.6298:                             ;   in Loop: Header=BB4_5629 Depth=3
	s_or_b64 exec, exec, s[40:41]
                                        ; implicit-def: $vgpr4
.LBB4_6299:                             ;   in Loop: Header=BB4_5629 Depth=3
	s_andn2_saveexec_b64 s[40:41], s[48:49]
; %bb.6300:                             ;   in Loop: Header=BB4_5629 Depth=3
	v_or_b32_sdwa v19, v4, s81 dst_sel:DWORD dst_unused:UNUSED_PAD src0_sel:BYTE_3 src1_sel:DWORD
; %bb.6301:                             ;   in Loop: Header=BB4_5629 Depth=3
	s_or_b64 exec, exec, s[40:41]
	v_and_b32_e32 v2, 0xff, v26
	v_cmp_ne_u16_e64 s[40:41], 0, v2
	s_and_b64 vcc, exec, s[28:29]
	s_mov_b64 s[48:49], -1
                                        ; implicit-def: $vgpr4
	s_cbranch_vccnz .LBB4_6315
; %bb.6302:                             ;   in Loop: Header=BB4_5629 Depth=3
	v_mov_b32_e32 v5, 0
	v_mov_b32_e32 v4, 0
	s_and_saveexec_b64 s[48:49], s[40:41]
	s_cbranch_execz .LBB4_6308
; %bb.6303:                             ;   in Loop: Header=BB4_5629 Depth=3
	v_cmp_ne_u16_e32 vcc, s80, v2
	v_bfrev_b32_e32 v4, 1
	s_and_saveexec_b64 s[50:51], vcc
	s_cbranch_execz .LBB4_6307
; %bb.6304:                             ;   in Loop: Header=BB4_5629 Depth=3
	v_and_b32_e32 v0, 0x7f, v26
	v_cmp_ne_u32_e32 vcc, s81, v0
	v_mov_b32_e32 v4, 0x7f800001
	s_and_saveexec_b64 s[52:53], vcc
	s_cbranch_execz .LBB4_6306
; %bb.6305:                             ;   in Loop: Header=BB4_5629 Depth=3
	v_and_b32_e32 v4, 7, v2
	v_lshrrev_b32_e32 v16, 3, v0
	v_cmp_gt_u32_e32 vcc, 8, v0
	v_ffbh_u32_e32 v0, v4
	v_min_u32_e32 v17, 32, v0
	v_subrev_u32_e32 v0, 28, v17
	v_lshlrev_b64 v[0:1], v0, v[2:3]
	v_sub_u32_e32 v1, 29, v17
	v_and_b32_e32 v0, 7, v0
	v_cndmask_b32_e32 v1, v16, v1, vcc
	v_cndmask_b32_e32 v0, v4, v0, vcc
	v_lshlrev_b32_e32 v4, 24, v26
	v_lshlrev_b32_e32 v0, 20, v0
	v_and_b32_e32 v4, 0x80000000, v4
	v_lshl_add_u32 v1, v1, 23, v54
	v_or3_b32 v4, v4, v1, v0
.LBB4_6306:                             ;   in Loop: Header=BB4_5629 Depth=3
	s_or_b64 exec, exec, s[52:53]
.LBB4_6307:                             ;   in Loop: Header=BB4_5629 Depth=3
	s_or_b64 exec, exec, s[50:51]
.LBB4_6308:                             ;   in Loop: Header=BB4_5629 Depth=3
	s_or_b64 exec, exec, s[48:49]
	v_and_b32_e32 v16, 0xff, v25
	v_cmp_ne_u16_e32 vcc, 0, v16
	s_and_saveexec_b64 s[48:49], vcc
	s_cbranch_execz .LBB4_6314
; %bb.6309:                             ;   in Loop: Header=BB4_5629 Depth=3
	v_cmp_ne_u16_e32 vcc, s80, v16
	v_bfrev_b32_e32 v5, 1
	s_and_saveexec_b64 s[50:51], vcc
	s_cbranch_execz .LBB4_6313
; %bb.6310:                             ;   in Loop: Header=BB4_5629 Depth=3
	v_and_b32_e32 v0, 0x7f, v25
	v_cmp_ne_u32_e32 vcc, s81, v0
	v_mov_b32_e32 v5, 0x7f800001
	s_and_saveexec_b64 s[52:53], vcc
	s_cbranch_execz .LBB4_6312
; %bb.6311:                             ;   in Loop: Header=BB4_5629 Depth=3
	v_and_b32_e32 v5, 7, v16
	v_lshrrev_b32_e32 v17, 3, v0
	v_cmp_gt_u32_e32 vcc, 8, v0
	v_ffbh_u32_e32 v0, v5
	v_min_u32_e32 v21, 32, v0
	v_subrev_u32_e32 v0, 28, v21
	v_lshlrev_b64 v[0:1], v0, v[16:17]
	v_sub_u32_e32 v1, 29, v21
	v_and_b32_e32 v0, 7, v0
	v_cndmask_b32_e32 v1, v17, v1, vcc
	v_cndmask_b32_e32 v0, v5, v0, vcc
	v_lshlrev_b32_e32 v5, 24, v25
	v_lshlrev_b32_e32 v0, 20, v0
	v_and_b32_e32 v5, 0x80000000, v5
	v_lshl_add_u32 v1, v1, 23, v54
	v_or3_b32 v5, v5, v1, v0
.LBB4_6312:                             ;   in Loop: Header=BB4_5629 Depth=3
	s_or_b64 exec, exec, s[52:53]
.LBB4_6313:                             ;   in Loop: Header=BB4_5629 Depth=3
	s_or_b64 exec, exec, s[50:51]
.LBB4_6314:                             ;   in Loop: Header=BB4_5629 Depth=3
	s_or_b64 exec, exec, s[48:49]
	v_max_f32_e32 v0, v5, v5
	v_max_f32_e32 v1, v4, v4
	;; [unrolled: 1-line block ×3, first 2 shown]
	s_mov_b64 s[48:49], 0
.LBB4_6315:                             ;   in Loop: Header=BB4_5629 Depth=3
	s_and_b64 vcc, exec, s[48:49]
	s_cbranch_vccz .LBB4_6329
; %bb.6316:                             ;   in Loop: Header=BB4_5629 Depth=3
	v_mov_b32_e32 v5, 0
	v_mov_b32_e32 v4, 0
	s_and_saveexec_b64 s[48:49], s[40:41]
	s_cbranch_execz .LBB4_6322
; %bb.6317:                             ;   in Loop: Header=BB4_5629 Depth=3
	v_cmp_ne_u16_e32 vcc, s80, v2
	v_bfrev_b32_e32 v4, 1
	s_and_saveexec_b64 s[40:41], vcc
	s_cbranch_execz .LBB4_6321
; %bb.6318:                             ;   in Loop: Header=BB4_5629 Depth=3
	v_and_b32_e32 v0, 0x7f, v26
	v_cmp_ne_u32_e32 vcc, s81, v0
	v_mov_b32_e32 v4, 0x7f800001
	s_and_saveexec_b64 s[50:51], vcc
	s_cbranch_execz .LBB4_6320
; %bb.6319:                             ;   in Loop: Header=BB4_5629 Depth=3
	v_and_b32_e32 v4, 7, v2
	v_lshrrev_b32_e32 v16, 3, v0
	v_cmp_gt_u32_e32 vcc, 8, v0
	v_ffbh_u32_e32 v0, v4
	v_min_u32_e32 v17, 32, v0
	v_subrev_u32_e32 v0, 28, v17
	v_lshlrev_b64 v[0:1], v0, v[2:3]
	v_sub_u32_e32 v1, 29, v17
	v_and_b32_e32 v0, 7, v0
	v_cndmask_b32_e32 v1, v16, v1, vcc
	v_cndmask_b32_e32 v0, v4, v0, vcc
	v_lshlrev_b32_e32 v2, 24, v26
	v_lshlrev_b32_e32 v0, 20, v0
	v_and_b32_e32 v2, 0x80000000, v2
	v_lshl_add_u32 v1, v1, 23, v54
	v_or3_b32 v4, v2, v1, v0
.LBB4_6320:                             ;   in Loop: Header=BB4_5629 Depth=3
	s_or_b64 exec, exec, s[50:51]
.LBB4_6321:                             ;   in Loop: Header=BB4_5629 Depth=3
	s_or_b64 exec, exec, s[40:41]
.LBB4_6322:                             ;   in Loop: Header=BB4_5629 Depth=3
	s_or_b64 exec, exec, s[48:49]
	v_and_b32_e32 v2, 0xff, v25
	v_cmp_ne_u16_e32 vcc, 0, v2
	s_and_saveexec_b64 s[40:41], vcc
	s_cbranch_execz .LBB4_6328
; %bb.6323:                             ;   in Loop: Header=BB4_5629 Depth=3
	v_cmp_ne_u16_e32 vcc, s80, v2
	v_bfrev_b32_e32 v5, 1
	s_and_saveexec_b64 s[48:49], vcc
	s_cbranch_execz .LBB4_6327
; %bb.6324:                             ;   in Loop: Header=BB4_5629 Depth=3
	v_and_b32_e32 v0, 0x7f, v25
	v_cmp_ne_u32_e32 vcc, s81, v0
	v_mov_b32_e32 v5, 0x7f800001
	s_and_saveexec_b64 s[50:51], vcc
	s_cbranch_execz .LBB4_6326
; %bb.6325:                             ;   in Loop: Header=BB4_5629 Depth=3
	v_and_b32_e32 v5, 7, v2
	v_lshrrev_b32_e32 v16, 3, v0
	v_cmp_gt_u32_e32 vcc, 8, v0
	v_ffbh_u32_e32 v0, v5
	v_min_u32_e32 v17, 32, v0
	v_subrev_u32_e32 v0, 28, v17
	v_lshlrev_b64 v[0:1], v0, v[2:3]
	v_sub_u32_e32 v1, 29, v17
	v_and_b32_e32 v0, 7, v0
	v_cndmask_b32_e32 v1, v16, v1, vcc
	v_cndmask_b32_e32 v0, v5, v0, vcc
	v_lshlrev_b32_e32 v2, 24, v25
	v_lshlrev_b32_e32 v0, 20, v0
	v_and_b32_e32 v2, 0x80000000, v2
	v_lshl_add_u32 v1, v1, 23, v54
	v_or3_b32 v5, v2, v1, v0
.LBB4_6326:                             ;   in Loop: Header=BB4_5629 Depth=3
	s_or_b64 exec, exec, s[50:51]
.LBB4_6327:                             ;   in Loop: Header=BB4_5629 Depth=3
	s_or_b64 exec, exec, s[48:49]
.LBB4_6328:                             ;   in Loop: Header=BB4_5629 Depth=3
	s_or_b64 exec, exec, s[40:41]
	v_max_f32_e32 v0, v5, v5
	v_max_f32_e32 v1, v4, v4
	v_min_f32_e32 v4, v1, v0
.LBB4_6329:                             ;   in Loop: Header=BB4_5629 Depth=3
	v_and_b32_e32 v2, 0x7f800000, v4
	v_cmp_ne_u64_e32 vcc, s[76:77], v[2:3]
                                        ; implicit-def: $vgpr21
	s_and_saveexec_b64 s[40:41], vcc
	s_xor_b64 s[48:49], exec, s[40:41]
	s_cbranch_execz .LBB4_6347
; %bb.6330:                             ;   in Loop: Header=BB4_5629 Depth=3
	v_and_b32_e32 v2, 0x7fffffff, v4
	v_cmp_gt_u64_e32 vcc, s[78:79], v[2:3]
	v_and_b32_sdwa v25, v4, s80 dst_sel:DWORD dst_unused:UNUSED_PAD src0_sel:BYTE_3 src1_sel:DWORD
                                        ; implicit-def: $vgpr21
	s_and_saveexec_b64 s[40:41], vcc
	s_xor_b64 s[50:51], exec, s[40:41]
	s_cbranch_execz .LBB4_6344
; %bb.6331:                             ;   in Loop: Header=BB4_5629 Depth=3
	v_cmp_ne_u32_e32 vcc, 0, v4
	v_mov_b32_e32 v21, 0
	s_and_saveexec_b64 s[52:53], vcc
	s_cbranch_execz .LBB4_6343
; %bb.6332:                             ;   in Loop: Header=BB4_5629 Depth=3
	v_bfe_u32 v21, v4, 23, 8
	v_cmp_gt_u32_e64 s[40:41], s83, v21
	v_sub_u32_e32 v1, 0x79, v21
	v_and_b32_e32 v0, 0x7fffff, v4
	v_cmp_eq_u32_e32 vcc, 0, v21
	v_cndmask_b32_e64 v1, 0, v1, s[40:41]
	v_mov_b32_e32 v4, 0x78
	v_or_b32_e32 v2, 0x800000, v0
	v_cndmask_b32_e32 v1, v1, v4, vcc
	v_cndmask_b32_e32 v2, v2, v0, vcc
	v_add_u32_e32 v0, 20, v1
	v_lshlrev_b64 v[4:5], v0, -1
	v_add_u32_e32 v0, 19, v1
	v_lshlrev_b64 v[16:17], v0, 1
	v_bfi_b32 v5, v5, 0, 0
	v_bfi_b32 v4, v4, 0, v2
	v_cmp_eq_u64_e64 s[40:41], v[4:5], v[16:17]
	v_lshrrev_b64 v[16:17], v1, v[2:3]
	v_mov_b32_e32 v4, v16
	v_mov_b32_e32 v5, v17
	s_and_saveexec_b64 s[54:55], s[40:41]
; %bb.6333:                             ;   in Loop: Header=BB4_5629 Depth=3
	v_bfe_u32 v0, v16, 20, 1
	v_add_co_u32_e64 v0, s[40:41], v16, v0
	v_add_co_u32_e64 v4, s[40:41], -1, v0
; %bb.6334:                             ;   in Loop: Header=BB4_5629 Depth=3
	s_or_b64 exec, exec, s[54:55]
	v_add_u32_e32 v0, 0xffffff81, v21
	v_mov_b32_e32 v2, 0xffffff82
	v_cndmask_b32_e32 v0, v0, v2, vcc
	v_lshrrev_b32_e32 v2, 23, v16
	v_add3_u32 v1, v1, v0, v2
	v_add_u32_e32 v0, 6, v1
	v_and_b32_e32 v2, 0xfffff, v4
	v_add_u32_e32 v2, v2, v16
	v_cmp_ne_u32_e32 vcc, 0, v0
                                        ; implicit-def: $vgpr16_vgpr17
                                        ; implicit-def: $vgpr4
	s_and_saveexec_b64 s[40:41], vcc
	s_xor_b64 s[40:41], exec, s[40:41]
; %bb.6335:                             ;   in Loop: Header=BB4_5629 Depth=3
	v_cmp_lt_u64_e32 vcc, s[88:89], v[2:3]
	v_add_u32_e32 v1, 7, v1
	v_cndmask_b32_e32 v4, v0, v1, vcc
	v_cndmask_b32_e64 v0, 0, 1, vcc
	v_lshrrev_b64 v[16:17], v0, v[2:3]
; %bb.6336:                             ;   in Loop: Header=BB4_5629 Depth=3
	s_andn2_saveexec_b64 s[40:41], s[40:41]
; %bb.6337:                             ;   in Loop: Header=BB4_5629 Depth=3
	v_mov_b32_e32 v17, v3
	v_bfe_u32 v4, v2, 23, 1
	v_mov_b32_e32 v16, v2
; %bb.6338:                             ;   in Loop: Header=BB4_5629 Depth=3
	s_or_b64 exec, exec, s[40:41]
	v_lshrrev_b64 v[0:1], 20, v[16:17]
	v_cmp_gt_i32_e32 vcc, 16, v4
	v_cndmask_b32_e32 v17, 0, v1, vcc
	v_cndmask_b32_e32 v16, 7, v0, vcc
	v_cmp_ne_u64_e32 vcc, 0, v[16:17]
	v_cmp_ne_u32_e64 s[40:41], 0, v4
	s_or_b64 s[40:41], s[40:41], vcc
                                        ; implicit-def: $vgpr21
	s_and_saveexec_b64 vcc, s[40:41]
	s_xor_b64 s[40:41], exec, vcc
; %bb.6339:                             ;   in Loop: Header=BB4_5629 Depth=3
	v_min_i32_e32 v0, 15, v4
	v_lshl_or_b32 v0, v0, 3, v25
	v_and_or_b32 v21, v16, 7, v0
                                        ; implicit-def: $vgpr25
; %bb.6340:                             ;   in Loop: Header=BB4_5629 Depth=3
	s_andn2_saveexec_b64 s[40:41], s[40:41]
; %bb.6341:                             ;   in Loop: Header=BB4_5629 Depth=3
	v_mov_b32_e32 v21, v25
; %bb.6342:                             ;   in Loop: Header=BB4_5629 Depth=3
	s_or_b64 exec, exec, s[40:41]
.LBB4_6343:                             ;   in Loop: Header=BB4_5629 Depth=3
	s_or_b64 exec, exec, s[52:53]
                                        ; implicit-def: $vgpr25
.LBB4_6344:                             ;   in Loop: Header=BB4_5629 Depth=3
	s_andn2_saveexec_b64 s[40:41], s[50:51]
; %bb.6345:                             ;   in Loop: Header=BB4_5629 Depth=3
	v_or_b32_e32 v21, 0x7e, v25
; %bb.6346:                             ;   in Loop: Header=BB4_5629 Depth=3
	s_or_b64 exec, exec, s[40:41]
                                        ; implicit-def: $vgpr4
.LBB4_6347:                             ;   in Loop: Header=BB4_5629 Depth=3
	s_andn2_saveexec_b64 s[40:41], s[48:49]
; %bb.6348:                             ;   in Loop: Header=BB4_5629 Depth=3
	v_or_b32_sdwa v21, v4, s81 dst_sel:DWORD dst_unused:UNUSED_PAD src0_sel:BYTE_3 src1_sel:DWORD
; %bb.6349:                             ;   in Loop: Header=BB4_5629 Depth=3
	s_or_b64 exec, exec, s[40:41]
	v_and_b32_e32 v2, 0xff, v23
	v_cmp_ne_u16_e64 s[40:41], 0, v2
	s_and_b64 vcc, exec, s[28:29]
	s_mov_b64 s[28:29], -1
                                        ; implicit-def: $vgpr4
	s_cbranch_vccnz .LBB4_6363
; %bb.6350:                             ;   in Loop: Header=BB4_5629 Depth=3
	v_mov_b32_e32 v5, 0
	v_mov_b32_e32 v4, 0
	s_and_saveexec_b64 s[28:29], s[40:41]
	s_cbranch_execz .LBB4_6356
; %bb.6351:                             ;   in Loop: Header=BB4_5629 Depth=3
	v_cmp_ne_u16_e32 vcc, s80, v2
	v_bfrev_b32_e32 v4, 1
	s_and_saveexec_b64 s[48:49], vcc
	s_cbranch_execz .LBB4_6355
; %bb.6352:                             ;   in Loop: Header=BB4_5629 Depth=3
	v_and_b32_e32 v0, 0x7f, v23
	v_cmp_ne_u32_e32 vcc, s81, v0
	v_mov_b32_e32 v4, 0x7f800001
	s_and_saveexec_b64 s[50:51], vcc
	s_cbranch_execz .LBB4_6354
; %bb.6353:                             ;   in Loop: Header=BB4_5629 Depth=3
	v_and_b32_e32 v4, 7, v2
	v_lshrrev_b32_e32 v16, 3, v0
	v_cmp_gt_u32_e32 vcc, 8, v0
	v_ffbh_u32_e32 v0, v4
	v_min_u32_e32 v17, 32, v0
	v_subrev_u32_e32 v0, 28, v17
	v_lshlrev_b64 v[0:1], v0, v[2:3]
	v_sub_u32_e32 v1, 29, v17
	v_and_b32_e32 v0, 7, v0
	v_cndmask_b32_e32 v1, v16, v1, vcc
	v_cndmask_b32_e32 v0, v4, v0, vcc
	v_lshlrev_b32_e32 v4, 24, v23
	v_lshlrev_b32_e32 v0, 20, v0
	v_and_b32_e32 v4, 0x80000000, v4
	v_lshl_add_u32 v1, v1, 23, v54
	v_or3_b32 v4, v4, v1, v0
.LBB4_6354:                             ;   in Loop: Header=BB4_5629 Depth=3
	s_or_b64 exec, exec, s[50:51]
.LBB4_6355:                             ;   in Loop: Header=BB4_5629 Depth=3
	s_or_b64 exec, exec, s[48:49]
.LBB4_6356:                             ;   in Loop: Header=BB4_5629 Depth=3
	s_or_b64 exec, exec, s[28:29]
	v_and_b32_e32 v16, 0xff, v22
	v_cmp_ne_u16_e32 vcc, 0, v16
	s_and_saveexec_b64 s[28:29], vcc
	s_cbranch_execz .LBB4_6362
; %bb.6357:                             ;   in Loop: Header=BB4_5629 Depth=3
	v_cmp_ne_u16_e32 vcc, s80, v16
	v_bfrev_b32_e32 v5, 1
	s_and_saveexec_b64 s[48:49], vcc
	s_cbranch_execz .LBB4_6361
; %bb.6358:                             ;   in Loop: Header=BB4_5629 Depth=3
	v_and_b32_e32 v0, 0x7f, v22
	v_cmp_ne_u32_e32 vcc, s81, v0
	v_mov_b32_e32 v5, 0x7f800001
	s_and_saveexec_b64 s[50:51], vcc
	s_cbranch_execz .LBB4_6360
; %bb.6359:                             ;   in Loop: Header=BB4_5629 Depth=3
	v_and_b32_e32 v5, 7, v16
	v_lshrrev_b32_e32 v17, 3, v0
	v_cmp_gt_u32_e32 vcc, 8, v0
	v_ffbh_u32_e32 v0, v5
	v_min_u32_e32 v25, 32, v0
	v_subrev_u32_e32 v0, 28, v25
	v_lshlrev_b64 v[0:1], v0, v[16:17]
	v_sub_u32_e32 v1, 29, v25
	v_and_b32_e32 v0, 7, v0
	v_cndmask_b32_e32 v1, v17, v1, vcc
	v_cndmask_b32_e32 v0, v5, v0, vcc
	v_lshlrev_b32_e32 v5, 24, v22
	v_lshlrev_b32_e32 v0, 20, v0
	v_and_b32_e32 v5, 0x80000000, v5
	v_lshl_add_u32 v1, v1, 23, v54
	v_or3_b32 v5, v5, v1, v0
.LBB4_6360:                             ;   in Loop: Header=BB4_5629 Depth=3
	s_or_b64 exec, exec, s[50:51]
.LBB4_6361:                             ;   in Loop: Header=BB4_5629 Depth=3
	s_or_b64 exec, exec, s[48:49]
.LBB4_6362:                             ;   in Loop: Header=BB4_5629 Depth=3
	s_or_b64 exec, exec, s[28:29]
	v_max_f32_e32 v0, v5, v5
	v_max_f32_e32 v1, v4, v4
	;; [unrolled: 1-line block ×3, first 2 shown]
	s_mov_b64 s[28:29], 0
.LBB4_6363:                             ;   in Loop: Header=BB4_5629 Depth=3
	s_and_b64 vcc, exec, s[28:29]
	s_cbranch_vccz .LBB4_6377
; %bb.6364:                             ;   in Loop: Header=BB4_5629 Depth=3
	v_mov_b32_e32 v5, 0
	v_mov_b32_e32 v4, 0
	s_and_saveexec_b64 s[28:29], s[40:41]
	s_cbranch_execz .LBB4_6370
; %bb.6365:                             ;   in Loop: Header=BB4_5629 Depth=3
	v_cmp_ne_u16_e32 vcc, s80, v2
	v_bfrev_b32_e32 v4, 1
	s_and_saveexec_b64 s[40:41], vcc
	s_cbranch_execz .LBB4_6369
; %bb.6366:                             ;   in Loop: Header=BB4_5629 Depth=3
	v_and_b32_e32 v0, 0x7f, v23
	v_cmp_ne_u32_e32 vcc, s81, v0
	v_mov_b32_e32 v4, 0x7f800001
	s_and_saveexec_b64 s[48:49], vcc
	s_cbranch_execz .LBB4_6368
; %bb.6367:                             ;   in Loop: Header=BB4_5629 Depth=3
	v_and_b32_e32 v4, 7, v2
	v_lshrrev_b32_e32 v16, 3, v0
	v_cmp_gt_u32_e32 vcc, 8, v0
	v_ffbh_u32_e32 v0, v4
	v_min_u32_e32 v17, 32, v0
	v_subrev_u32_e32 v0, 28, v17
	v_lshlrev_b64 v[0:1], v0, v[2:3]
	v_sub_u32_e32 v1, 29, v17
	v_and_b32_e32 v0, 7, v0
	v_cndmask_b32_e32 v1, v16, v1, vcc
	v_cndmask_b32_e32 v0, v4, v0, vcc
	v_lshlrev_b32_e32 v2, 24, v23
	v_lshlrev_b32_e32 v0, 20, v0
	v_and_b32_e32 v2, 0x80000000, v2
	v_lshl_add_u32 v1, v1, 23, v54
	v_or3_b32 v4, v2, v1, v0
.LBB4_6368:                             ;   in Loop: Header=BB4_5629 Depth=3
	s_or_b64 exec, exec, s[48:49]
.LBB4_6369:                             ;   in Loop: Header=BB4_5629 Depth=3
	s_or_b64 exec, exec, s[40:41]
.LBB4_6370:                             ;   in Loop: Header=BB4_5629 Depth=3
	s_or_b64 exec, exec, s[28:29]
	v_and_b32_e32 v2, 0xff, v22
	v_cmp_ne_u16_e32 vcc, 0, v2
	s_and_saveexec_b64 s[28:29], vcc
	s_cbranch_execz .LBB4_6376
; %bb.6371:                             ;   in Loop: Header=BB4_5629 Depth=3
	v_cmp_ne_u16_e32 vcc, s80, v2
	v_bfrev_b32_e32 v5, 1
	s_and_saveexec_b64 s[40:41], vcc
	s_cbranch_execz .LBB4_6375
; %bb.6372:                             ;   in Loop: Header=BB4_5629 Depth=3
	v_and_b32_e32 v0, 0x7f, v22
	v_cmp_ne_u32_e32 vcc, s81, v0
	v_mov_b32_e32 v5, 0x7f800001
	s_and_saveexec_b64 s[48:49], vcc
	s_cbranch_execz .LBB4_6374
; %bb.6373:                             ;   in Loop: Header=BB4_5629 Depth=3
	v_and_b32_e32 v5, 7, v2
	v_lshrrev_b32_e32 v16, 3, v0
	v_cmp_gt_u32_e32 vcc, 8, v0
	v_ffbh_u32_e32 v0, v5
	v_min_u32_e32 v17, 32, v0
	v_subrev_u32_e32 v0, 28, v17
	v_lshlrev_b64 v[0:1], v0, v[2:3]
	v_sub_u32_e32 v1, 29, v17
	v_and_b32_e32 v0, 7, v0
	v_cndmask_b32_e32 v1, v16, v1, vcc
	v_cndmask_b32_e32 v0, v5, v0, vcc
	v_lshlrev_b32_e32 v2, 24, v22
	v_lshlrev_b32_e32 v0, 20, v0
	v_and_b32_e32 v2, 0x80000000, v2
	v_lshl_add_u32 v1, v1, 23, v54
	v_or3_b32 v5, v2, v1, v0
.LBB4_6374:                             ;   in Loop: Header=BB4_5629 Depth=3
	s_or_b64 exec, exec, s[48:49]
.LBB4_6375:                             ;   in Loop: Header=BB4_5629 Depth=3
	s_or_b64 exec, exec, s[40:41]
.LBB4_6376:                             ;   in Loop: Header=BB4_5629 Depth=3
	s_or_b64 exec, exec, s[28:29]
	v_max_f32_e32 v0, v5, v5
	v_max_f32_e32 v1, v4, v4
	v_min_f32_e32 v4, v1, v0
.LBB4_6377:                             ;   in Loop: Header=BB4_5629 Depth=3
	v_and_b32_e32 v2, 0x7f800000, v4
	v_cmp_ne_u64_e32 vcc, s[76:77], v[2:3]
                                        ; implicit-def: $vgpr2
	s_and_saveexec_b64 s[28:29], vcc
	s_xor_b64 s[40:41], exec, s[28:29]
	s_cbranch_execz .LBB4_6395
; %bb.6378:                             ;   in Loop: Header=BB4_5629 Depth=3
	v_and_b32_e32 v2, 0x7fffffff, v4
	v_cmp_gt_u64_e32 vcc, s[78:79], v[2:3]
	v_and_b32_sdwa v22, v4, s80 dst_sel:DWORD dst_unused:UNUSED_PAD src0_sel:BYTE_3 src1_sel:DWORD
                                        ; implicit-def: $vgpr2
	s_and_saveexec_b64 s[28:29], vcc
	s_xor_b64 s[48:49], exec, s[28:29]
	s_cbranch_execz .LBB4_6392
; %bb.6379:                             ;   in Loop: Header=BB4_5629 Depth=3
	v_cmp_ne_u32_e32 vcc, 0, v4
	v_mov_b32_e32 v2, 0
	s_and_saveexec_b64 s[50:51], vcc
	s_cbranch_execz .LBB4_6391
; %bb.6380:                             ;   in Loop: Header=BB4_5629 Depth=3
	v_bfe_u32 v23, v4, 23, 8
	v_cmp_gt_u32_e64 s[28:29], s83, v23
	v_sub_u32_e32 v1, 0x79, v23
	v_and_b32_e32 v0, 0x7fffff, v4
	v_cmp_eq_u32_e32 vcc, 0, v23
	v_cndmask_b32_e64 v1, 0, v1, s[28:29]
	v_mov_b32_e32 v4, 0x78
	v_or_b32_e32 v2, 0x800000, v0
	v_cndmask_b32_e32 v1, v1, v4, vcc
	v_cndmask_b32_e32 v2, v2, v0, vcc
	v_add_u32_e32 v0, 20, v1
	v_lshlrev_b64 v[4:5], v0, -1
	v_add_u32_e32 v0, 19, v1
	v_lshlrev_b64 v[16:17], v0, 1
	v_bfi_b32 v5, v5, 0, 0
	v_bfi_b32 v4, v4, 0, v2
	v_cmp_eq_u64_e64 s[28:29], v[4:5], v[16:17]
	v_lshrrev_b64 v[16:17], v1, v[2:3]
	v_mov_b32_e32 v4, v16
	v_mov_b32_e32 v5, v17
	s_and_saveexec_b64 s[52:53], s[28:29]
; %bb.6381:                             ;   in Loop: Header=BB4_5629 Depth=3
	v_bfe_u32 v0, v16, 20, 1
	v_add_co_u32_e64 v0, s[28:29], v16, v0
	v_add_co_u32_e64 v4, s[28:29], -1, v0
; %bb.6382:                             ;   in Loop: Header=BB4_5629 Depth=3
	s_or_b64 exec, exec, s[52:53]
	v_add_u32_e32 v0, 0xffffff81, v23
	v_mov_b32_e32 v2, 0xffffff82
	v_cndmask_b32_e32 v0, v0, v2, vcc
	v_lshrrev_b32_e32 v2, 23, v16
	v_add3_u32 v1, v1, v0, v2
	v_add_u32_e32 v0, 6, v1
	v_and_b32_e32 v2, 0xfffff, v4
	v_add_u32_e32 v2, v2, v16
	v_cmp_ne_u32_e32 vcc, 0, v0
                                        ; implicit-def: $vgpr16_vgpr17
                                        ; implicit-def: $vgpr4
	s_and_saveexec_b64 s[28:29], vcc
	s_xor_b64 s[28:29], exec, s[28:29]
; %bb.6383:                             ;   in Loop: Header=BB4_5629 Depth=3
	v_cmp_lt_u64_e32 vcc, s[88:89], v[2:3]
	v_add_u32_e32 v1, 7, v1
	v_cndmask_b32_e32 v4, v0, v1, vcc
	v_cndmask_b32_e64 v0, 0, 1, vcc
	v_lshrrev_b64 v[16:17], v0, v[2:3]
; %bb.6384:                             ;   in Loop: Header=BB4_5629 Depth=3
	s_andn2_saveexec_b64 s[28:29], s[28:29]
; %bb.6385:                             ;   in Loop: Header=BB4_5629 Depth=3
	v_mov_b32_e32 v17, v3
	v_bfe_u32 v4, v2, 23, 1
	v_mov_b32_e32 v16, v2
; %bb.6386:                             ;   in Loop: Header=BB4_5629 Depth=3
	s_or_b64 exec, exec, s[28:29]
	v_lshrrev_b64 v[0:1], 20, v[16:17]
	v_cmp_gt_i32_e32 vcc, 16, v4
	v_cndmask_b32_e32 v17, 0, v1, vcc
	v_cndmask_b32_e32 v16, 7, v0, vcc
	v_cmp_ne_u64_e32 vcc, 0, v[16:17]
	v_cmp_ne_u32_e64 s[28:29], 0, v4
	s_or_b64 s[28:29], s[28:29], vcc
                                        ; implicit-def: $vgpr2
	s_and_saveexec_b64 vcc, s[28:29]
	s_xor_b64 s[28:29], exec, vcc
; %bb.6387:                             ;   in Loop: Header=BB4_5629 Depth=3
	v_min_i32_e32 v0, 15, v4
	v_lshl_or_b32 v0, v0, 3, v22
	v_and_or_b32 v2, v16, 7, v0
                                        ; implicit-def: $vgpr22
; %bb.6388:                             ;   in Loop: Header=BB4_5629 Depth=3
	s_andn2_saveexec_b64 s[28:29], s[28:29]
; %bb.6389:                             ;   in Loop: Header=BB4_5629 Depth=3
	v_mov_b32_e32 v2, v22
; %bb.6390:                             ;   in Loop: Header=BB4_5629 Depth=3
	s_or_b64 exec, exec, s[28:29]
.LBB4_6391:                             ;   in Loop: Header=BB4_5629 Depth=3
	s_or_b64 exec, exec, s[50:51]
                                        ; implicit-def: $vgpr22
.LBB4_6392:                             ;   in Loop: Header=BB4_5629 Depth=3
	s_andn2_saveexec_b64 s[28:29], s[48:49]
; %bb.6393:                             ;   in Loop: Header=BB4_5629 Depth=3
	v_or_b32_e32 v2, 0x7e, v22
; %bb.6394:                             ;   in Loop: Header=BB4_5629 Depth=3
	s_or_b64 exec, exec, s[28:29]
                                        ; implicit-def: $vgpr4
.LBB4_6395:                             ;   in Loop: Header=BB4_5629 Depth=3
	s_andn2_saveexec_b64 s[28:29], s[40:41]
	s_cbranch_execz .LBB4_5628
; %bb.6396:                             ;   in Loop: Header=BB4_5629 Depth=3
	v_or_b32_sdwa v2, v4, s81 dst_sel:DWORD dst_unused:UNUSED_PAD src0_sel:BYTE_3 src1_sel:DWORD
	s_branch .LBB4_5628
.LBB4_6397:                             ;   in Loop: Header=BB4_3419 Depth=2
	s_or_b64 exec, exec, s[46:47]
	buffer_load_dword v46, off, s[0:3], s33 offset:76 ; 4-byte Folded Reload
	buffer_load_dword v21, off, s[0:3], s33 offset:244 ; 4-byte Folded Reload
	;; [unrolled: 1-line block ×5, first 2 shown]
.LBB4_6398:                             ;   in Loop: Header=BB4_3419 Depth=2
	s_or_b64 exec, exec, s[42:43]
	s_waitcnt vmcnt(0)
	v_lshlrev_b32_e32 v0, 10, v1
	v_cmp_ne_u32_e32 vcc, v7, v0
	s_and_b64 exec, exec, vcc
	s_cbranch_execz .LBB4_6452
; %bb.6399:                             ;   in Loop: Header=BB4_3419 Depth=2
	v_lshlrev_b32_e32 v1, 6, v2
	v_sub_u32_e32 v1, v18, v1
	v_lshlrev_b32_e32 v2, 6, v20
	v_sub_u32_e32 v1, v1, v2
	v_add_u32_e32 v0, v0, v1
	v_sub_u32_e32 v6, v7, v0
	v_cmp_lt_i32_e32 vcc, 0, v6
	s_and_b64 exec, exec, vcc
	s_cbranch_execz .LBB4_6452
; %bb.6400:                             ;   in Loop: Header=BB4_3419 Depth=2
	s_trap 2
	ds_read_b128 v[8:11], v0
	v_add_u32_e32 v0, v0, v4
	v_ashrrev_i32_e32 v1, 31, v0
	s_bitcmp1_b32 s84, 0
	s_mov_b64 s[46:47], 0
	s_waitcnt lgkmcnt(0)
	v_add_co_u32_e32 v8, vcc, v8, v0
	v_addc_co_u32_e32 v9, vcc, v9, v1, vcc
	v_add_co_u32_e32 v10, vcc, v10, v0
	v_addc_co_u32_e32 v11, vcc, v11, v1, vcc
	v_mov_b32_e32 v13, v9
	v_mov_b32_e32 v15, v11
	s_cselect_b64 s[38:39], -1, 0
	v_mov_b32_e32 v12, v8
	v_mov_b32_e32 v14, v10
.LBB4_6401:                             ;   Parent Loop BB4_47 Depth=1
                                        ;     Parent Loop BB4_3419 Depth=2
                                        ; =>    This Loop Header: Depth=3
                                        ;         Child Loop BB4_6450 Depth 4
	flat_load_ubyte v4, v[14:15] glc slc
	flat_load_ubyte v5, v[12:13] glc slc
	s_mov_b64 s[48:49], -1
	s_and_b64 vcc, exec, s[38:39]
                                        ; implicit-def: $vgpr7
	s_waitcnt vmcnt(0) lgkmcnt(0)
	v_cmp_ne_u16_e64 s[40:41], 0, v4
	v_cmp_ne_u16_e64 s[28:29], s80, v4
	v_and_b32_sdwa v1, sext(v4), s82 dst_sel:DWORD dst_unused:UNUSED_PAD src0_sel:BYTE_0 src1_sel:DWORD
	v_cmp_ne_u16_e64 s[42:43], 0, v5
	s_cbranch_vccz .LBB4_6415
; %bb.6402:                             ;   in Loop: Header=BB4_6401 Depth=3
	v_mov_b32_e32 v7, 0
	v_mov_b32_e32 v16, 0
	s_and_saveexec_b64 s[48:49], s[42:43]
	s_cbranch_execz .LBB4_6408
; %bb.6403:                             ;   in Loop: Header=BB4_6401 Depth=3
	v_cmp_ne_u16_e32 vcc, s80, v5
	v_bfrev_b32_e32 v16, 1
	s_and_saveexec_b64 s[50:51], vcc
	s_cbranch_execz .LBB4_6407
; %bb.6404:                             ;   in Loop: Header=BB4_6401 Depth=3
	v_and_b32_e32 v2, 0xffff, v5
	v_and_b32_e32 v0, 0x7f, v2
	v_cmp_ne_u32_e32 vcc, s81, v0
	v_mov_b32_e32 v16, 0x7f800001
	s_and_saveexec_b64 s[52:53], vcc
	s_cbranch_execz .LBB4_6406
; %bb.6405:                             ;   in Loop: Header=BB4_6401 Depth=3
	v_and_b32_e32 v18, 7, v2
	v_lshrrev_b32_e32 v19, 3, v0
	v_cmp_gt_u32_e32 vcc, 8, v0
	v_ffbh_u32_e32 v0, v18
	v_min_u32_e32 v0, 32, v0
	v_subrev_u32_e32 v16, 28, v0
	v_lshlrev_b64 v[16:17], v16, v[2:3]
	v_sub_u32_e32 v0, 29, v0
	v_and_b32_e32 v2, 7, v16
	v_cndmask_b32_e32 v0, v19, v0, vcc
	v_cndmask_b32_e32 v2, v18, v2, vcc
	v_lshlrev_b32_e32 v16, 24, v5
	v_lshlrev_b32_e32 v2, 20, v2
	v_and_b32_e32 v16, 0x80000000, v16
	v_lshl_add_u32 v0, v0, 23, v54
	v_or3_b32 v16, v16, v0, v2
.LBB4_6406:                             ;   in Loop: Header=BB4_6401 Depth=3
	s_or_b64 exec, exec, s[52:53]
.LBB4_6407:                             ;   in Loop: Header=BB4_6401 Depth=3
	s_or_b64 exec, exec, s[50:51]
.LBB4_6408:                             ;   in Loop: Header=BB4_6401 Depth=3
	s_or_b64 exec, exec, s[48:49]
	s_and_saveexec_b64 s[48:49], s[40:41]
	s_cbranch_execz .LBB4_6414
; %bb.6409:                             ;   in Loop: Header=BB4_6401 Depth=3
	v_bfrev_b32_e32 v7, 1
	s_and_saveexec_b64 s[50:51], s[28:29]
	s_cbranch_execz .LBB4_6413
; %bb.6410:                             ;   in Loop: Header=BB4_6401 Depth=3
	v_and_b32_e32 v2, 0xffff, v4
	v_and_b32_e32 v0, 0x7f, v2
	v_cmp_ne_u32_e32 vcc, s81, v0
	v_mov_b32_e32 v7, 0x7f800001
	s_and_saveexec_b64 s[52:53], vcc
	s_cbranch_execz .LBB4_6412
; %bb.6411:                             ;   in Loop: Header=BB4_6401 Depth=3
	v_and_b32_e32 v7, 7, v2
	v_lshrrev_b32_e32 v19, 3, v0
	v_cmp_gt_u32_e32 vcc, 8, v0
	v_ffbh_u32_e32 v0, v7
	v_min_u32_e32 v0, 32, v0
	v_subrev_u32_e32 v17, 28, v0
	v_lshlrev_b64 v[17:18], v17, v[2:3]
	v_sub_u32_e32 v0, 29, v0
	v_and_b32_e32 v2, 7, v17
	v_cndmask_b32_e32 v2, v7, v2, vcc
	v_cndmask_b32_e32 v0, v19, v0, vcc
	v_lshlrev_b32_e32 v2, 20, v2
	v_lshl_or_b32 v0, v0, 23, v2
	v_add_u32_e32 v0, 0x3c000000, v0
	v_or_b32_e32 v7, v0, v1
.LBB4_6412:                             ;   in Loop: Header=BB4_6401 Depth=3
	s_or_b64 exec, exec, s[52:53]
.LBB4_6413:                             ;   in Loop: Header=BB4_6401 Depth=3
	s_or_b64 exec, exec, s[50:51]
.LBB4_6414:                             ;   in Loop: Header=BB4_6401 Depth=3
	s_or_b64 exec, exec, s[48:49]
	v_max_f32_e32 v0, v7, v7
	v_max_f32_e32 v2, v16, v16
	;; [unrolled: 1-line block ×3, first 2 shown]
	s_mov_b64 s[48:49], 0
.LBB4_6415:                             ;   in Loop: Header=BB4_6401 Depth=3
	s_and_b64 vcc, exec, s[48:49]
	s_cbranch_vccz .LBB4_6429
; %bb.6416:                             ;   in Loop: Header=BB4_6401 Depth=3
	v_mov_b32_e32 v7, 0
	v_mov_b32_e32 v16, 0
	s_and_saveexec_b64 s[48:49], s[42:43]
	s_cbranch_execz .LBB4_6422
; %bb.6417:                             ;   in Loop: Header=BB4_6401 Depth=3
	v_cmp_ne_u16_e32 vcc, s80, v5
	v_bfrev_b32_e32 v16, 1
	s_and_saveexec_b64 s[42:43], vcc
	s_cbranch_execz .LBB4_6421
; %bb.6418:                             ;   in Loop: Header=BB4_6401 Depth=3
	v_and_b32_e32 v2, 0xffff, v5
	v_and_b32_e32 v0, 0x7f, v2
	v_cmp_ne_u32_e32 vcc, s81, v0
	v_mov_b32_e32 v16, 0x7f800001
	s_and_saveexec_b64 s[50:51], vcc
	s_cbranch_execz .LBB4_6420
; %bb.6419:                             ;   in Loop: Header=BB4_6401 Depth=3
	v_and_b32_e32 v18, 7, v2
	v_lshrrev_b32_e32 v19, 3, v0
	v_cmp_gt_u32_e32 vcc, 8, v0
	v_ffbh_u32_e32 v0, v18
	v_min_u32_e32 v0, 32, v0
	v_subrev_u32_e32 v16, 28, v0
	v_lshlrev_b64 v[16:17], v16, v[2:3]
	v_sub_u32_e32 v0, 29, v0
	v_and_b32_e32 v2, 7, v16
	v_cndmask_b32_e32 v0, v19, v0, vcc
	v_cndmask_b32_e32 v2, v18, v2, vcc
	v_lshlrev_b32_e32 v5, 24, v5
	v_lshlrev_b32_e32 v2, 20, v2
	v_and_b32_e32 v5, 0x80000000, v5
	v_lshl_add_u32 v0, v0, 23, v54
	v_or3_b32 v16, v5, v0, v2
.LBB4_6420:                             ;   in Loop: Header=BB4_6401 Depth=3
	s_or_b64 exec, exec, s[50:51]
.LBB4_6421:                             ;   in Loop: Header=BB4_6401 Depth=3
	s_or_b64 exec, exec, s[42:43]
.LBB4_6422:                             ;   in Loop: Header=BB4_6401 Depth=3
	s_or_b64 exec, exec, s[48:49]
	s_and_saveexec_b64 s[42:43], s[40:41]
	s_cbranch_execz .LBB4_6428
; %bb.6423:                             ;   in Loop: Header=BB4_6401 Depth=3
	v_bfrev_b32_e32 v7, 1
	s_and_saveexec_b64 s[40:41], s[28:29]
	s_cbranch_execz .LBB4_6427
; %bb.6424:                             ;   in Loop: Header=BB4_6401 Depth=3
	v_and_b32_e32 v2, 0xffff, v4
	v_and_b32_e32 v0, 0x7f, v2
	v_cmp_ne_u32_e32 vcc, s81, v0
	v_mov_b32_e32 v7, 0x7f800001
	s_and_saveexec_b64 s[28:29], vcc
	s_cbranch_execz .LBB4_6426
; %bb.6425:                             ;   in Loop: Header=BB4_6401 Depth=3
	v_and_b32_e32 v7, 7, v2
	v_lshrrev_b32_e32 v17, 3, v0
	v_cmp_gt_u32_e32 vcc, 8, v0
	v_ffbh_u32_e32 v0, v7
	v_min_u32_e32 v0, 32, v0
	v_subrev_u32_e32 v4, 28, v0
	v_lshlrev_b64 v[4:5], v4, v[2:3]
	v_sub_u32_e32 v0, 29, v0
	v_and_b32_e32 v2, 7, v4
	v_cndmask_b32_e32 v2, v7, v2, vcc
	v_cndmask_b32_e32 v0, v17, v0, vcc
	v_lshlrev_b32_e32 v2, 20, v2
	v_lshl_or_b32 v0, v0, 23, v2
	v_add_u32_e32 v0, 0x3c000000, v0
	v_or_b32_e32 v7, v0, v1
.LBB4_6426:                             ;   in Loop: Header=BB4_6401 Depth=3
	s_or_b64 exec, exec, s[28:29]
.LBB4_6427:                             ;   in Loop: Header=BB4_6401 Depth=3
	s_or_b64 exec, exec, s[40:41]
.LBB4_6428:                             ;   in Loop: Header=BB4_6401 Depth=3
	s_or_b64 exec, exec, s[42:43]
	v_max_f32_e32 v0, v7, v7
	v_max_f32_e32 v1, v16, v16
	v_min_f32_e32 v7, v1, v0
.LBB4_6429:                             ;   in Loop: Header=BB4_6401 Depth=3
	v_and_b32_e32 v2, 0x7f800000, v7
	v_cmp_ne_u64_e32 vcc, s[76:77], v[2:3]
                                        ; implicit-def: $vgpr2
	s_and_saveexec_b64 s[28:29], vcc
	s_xor_b64 s[40:41], exec, s[28:29]
	s_cbranch_execz .LBB4_6447
; %bb.6430:                             ;   in Loop: Header=BB4_6401 Depth=3
	v_and_b32_e32 v2, 0x7fffffff, v7
	v_cmp_gt_u64_e32 vcc, s[78:79], v[2:3]
	v_and_b32_sdwa v1, v7, s80 dst_sel:DWORD dst_unused:UNUSED_PAD src0_sel:BYTE_3 src1_sel:DWORD
                                        ; implicit-def: $vgpr2
	s_and_saveexec_b64 s[28:29], vcc
	s_xor_b64 s[42:43], exec, s[28:29]
	s_cbranch_execz .LBB4_6444
; %bb.6431:                             ;   in Loop: Header=BB4_6401 Depth=3
	v_cmp_ne_u32_e32 vcc, 0, v7
	v_mov_b32_e32 v2, 0
	s_and_saveexec_b64 s[48:49], vcc
	s_cbranch_execz .LBB4_6443
; %bb.6432:                             ;   in Loop: Header=BB4_6401 Depth=3
	v_and_b32_e32 v0, 0x7fffff, v7
	v_bfe_u32 v7, v7, 23, 8
	v_cmp_gt_u32_e64 s[28:29], s83, v7
	v_sub_u32_e32 v2, 0x79, v7
	v_cmp_eq_u32_e32 vcc, 0, v7
	v_cndmask_b32_e64 v2, 0, v2, s[28:29]
	v_mov_b32_e32 v5, 0x78
	v_or_b32_e32 v4, 0x800000, v0
	v_cndmask_b32_e32 v18, v2, v5, vcc
	v_cndmask_b32_e32 v2, v4, v0, vcc
	v_add_u32_e32 v0, 20, v18
	v_lshlrev_b64 v[4:5], v0, -1
	v_add_u32_e32 v0, 19, v18
	v_lshlrev_b64 v[16:17], v0, 1
	v_bfi_b32 v5, v5, 0, 0
	v_bfi_b32 v4, v4, 0, v2
	v_cmp_eq_u64_e64 s[28:29], v[4:5], v[16:17]
	v_lshrrev_b64 v[16:17], v18, v[2:3]
	v_mov_b32_e32 v4, v16
	v_mov_b32_e32 v5, v17
	s_and_saveexec_b64 s[50:51], s[28:29]
; %bb.6433:                             ;   in Loop: Header=BB4_6401 Depth=3
	v_bfe_u32 v0, v16, 20, 1
	v_add_co_u32_e64 v0, s[28:29], v16, v0
	v_add_co_u32_e64 v4, s[28:29], -1, v0
; %bb.6434:                             ;   in Loop: Header=BB4_6401 Depth=3
	s_or_b64 exec, exec, s[50:51]
	v_add_u32_e32 v0, 0xffffff81, v7
	v_mov_b32_e32 v2, 0xffffff82
	v_cndmask_b32_e32 v0, v0, v2, vcc
	v_lshrrev_b32_e32 v2, 23, v16
	v_add3_u32 v5, v18, v0, v2
	v_add_u32_e32 v0, 6, v5
	v_and_b32_e32 v2, 0xfffff, v4
	v_add_u32_e32 v2, v2, v16
	v_cmp_ne_u32_e32 vcc, 0, v0
                                        ; implicit-def: $vgpr16_vgpr17
                                        ; implicit-def: $vgpr4
	s_and_saveexec_b64 s[28:29], vcc
	s_xor_b64 s[28:29], exec, s[28:29]
; %bb.6435:                             ;   in Loop: Header=BB4_6401 Depth=3
	v_cmp_lt_u64_e32 vcc, s[88:89], v[2:3]
	v_add_u32_e32 v4, 7, v5
	v_cndmask_b32_e32 v4, v0, v4, vcc
	v_cndmask_b32_e64 v0, 0, 1, vcc
	v_lshrrev_b64 v[16:17], v0, v[2:3]
; %bb.6436:                             ;   in Loop: Header=BB4_6401 Depth=3
	s_andn2_saveexec_b64 s[28:29], s[28:29]
; %bb.6437:                             ;   in Loop: Header=BB4_6401 Depth=3
	v_mov_b32_e32 v17, v3
	v_bfe_u32 v4, v2, 23, 1
	v_mov_b32_e32 v16, v2
; %bb.6438:                             ;   in Loop: Header=BB4_6401 Depth=3
	s_or_b64 exec, exec, s[28:29]
	v_lshrrev_b64 v[16:17], 20, v[16:17]
	v_cmp_gt_i32_e32 vcc, 16, v4
	v_cndmask_b32_e32 v17, 0, v17, vcc
	v_cndmask_b32_e32 v16, 7, v16, vcc
	v_cmp_ne_u64_e32 vcc, 0, v[16:17]
	v_cmp_ne_u32_e64 s[28:29], 0, v4
	s_or_b64 s[28:29], s[28:29], vcc
                                        ; implicit-def: $vgpr2
	s_and_saveexec_b64 vcc, s[28:29]
	s_xor_b64 s[28:29], exec, vcc
; %bb.6439:                             ;   in Loop: Header=BB4_6401 Depth=3
	v_min_i32_e32 v0, 15, v4
	v_lshl_or_b32 v0, v0, 3, v1
	v_and_or_b32 v2, v16, 7, v0
                                        ; implicit-def: $vgpr1
; %bb.6440:                             ;   in Loop: Header=BB4_6401 Depth=3
	s_andn2_saveexec_b64 s[28:29], s[28:29]
; %bb.6441:                             ;   in Loop: Header=BB4_6401 Depth=3
	v_mov_b32_e32 v2, v1
; %bb.6442:                             ;   in Loop: Header=BB4_6401 Depth=3
	s_or_b64 exec, exec, s[28:29]
.LBB4_6443:                             ;   in Loop: Header=BB4_6401 Depth=3
	s_or_b64 exec, exec, s[48:49]
                                        ; implicit-def: $vgpr1
.LBB4_6444:                             ;   in Loop: Header=BB4_6401 Depth=3
	s_andn2_saveexec_b64 s[28:29], s[42:43]
; %bb.6445:                             ;   in Loop: Header=BB4_6401 Depth=3
	v_or_b32_e32 v2, 0x7e, v1
; %bb.6446:                             ;   in Loop: Header=BB4_6401 Depth=3
	s_or_b64 exec, exec, s[28:29]
                                        ; implicit-def: $vgpr7
.LBB4_6447:                             ;   in Loop: Header=BB4_6401 Depth=3
	s_andn2_saveexec_b64 s[28:29], s[40:41]
; %bb.6448:                             ;   in Loop: Header=BB4_6401 Depth=3
	v_or_b32_sdwa v2, v7, s81 dst_sel:DWORD dst_unused:UNUSED_PAD src0_sel:BYTE_3 src1_sel:DWORD
; %bb.6449:                             ;   in Loop: Header=BB4_6401 Depth=3
	s_or_b64 exec, exec, s[28:29]
	s_mov_b64 s[48:49], 0
	s_mov_b64 s[42:43], -1
.LBB4_6450:                             ;   Parent Loop BB4_47 Depth=1
                                        ;     Parent Loop BB4_3419 Depth=2
                                        ;       Parent Loop BB4_6401 Depth=3
                                        ; =>      This Inner Loop Header: Depth=4
	s_cmp_eq_u32 s48, 1
	s_cselect_b64 vcc, -1, 0
	v_cndmask_b32_e32 v1, v9, v11, vcc
	v_cndmask_b32_e32 v0, v8, v10, vcc
	flat_store_byte v[0:1], v2 glc slc
	v_add_co_u32_e64 v0, s[28:29], 64, v0
	s_cmp_eq_u32 s48, 0
	v_addc_co_u32_e64 v1, s[28:29], 0, v1, s[28:29]
	s_cselect_b64 s[28:29], -1, 0
	s_and_b64 s[40:41], exec, s[42:43]
	s_mov_b64 s[48:49], 1
	s_mov_b64 s[42:43], 0
	v_cndmask_b32_e32 v11, v11, v1, vcc
	v_cndmask_b32_e32 v10, v10, v0, vcc
	v_cndmask_b32_e64 v9, v9, v1, s[28:29]
	v_cndmask_b32_e64 v8, v8, v0, s[28:29]
	s_mov_b64 vcc, s[40:41]
	s_cbranch_vccnz .LBB4_6450
; %bb.6451:                             ;   in Loop: Header=BB4_6401 Depth=3
	buffer_load_dword v0, off, s[0:3], s33 offset:124 ; 4-byte Folded Reload
	buffer_load_dword v1, off, s[0:3], s33 offset:128 ; 4-byte Folded Reload
	;; [unrolled: 1-line block ×3, first 2 shown]
	s_waitcnt vmcnt(0)
	v_add_co_u32_e32 v12, vcc, v12, v0
	v_addc_co_u32_e32 v13, vcc, v13, v1, vcc
	v_add_co_u32_e32 v14, vcc, v14, v0
	v_addc_co_u32_e32 v15, vcc, v15, v1, vcc
	buffer_load_dword v1, off, s[0:3], s33 offset:116 ; 4-byte Folded Reload
	buffer_load_dword v0, off, s[0:3], s33 offset:72 ; 4-byte Folded Reload
	s_waitcnt vmcnt(0)
	v_add_co_u32_e32 v8, vcc, v8, v1
	v_addc_co_u32_e32 v9, vcc, v9, v2, vcc
	v_sub_u32_e32 v6, v6, v0
	v_cmp_gt_i32_e32 vcc, 1, v6
	s_or_b64 s[46:47], vcc, s[46:47]
	v_add_co_u32_e32 v10, vcc, v10, v1
	v_addc_co_u32_e32 v11, vcc, v11, v2, vcc
	s_andn2_b64 exec, exec, s[46:47]
	s_cbranch_execnz .LBB4_6401
.LBB4_6452:                             ;   in Loop: Header=BB4_3419 Depth=2
	s_or_b64 exec, exec, s[44:45]
	s_branch .LBB4_4910
.LBB4_6453:                             ;   in Loop: Header=BB4_3419 Depth=2
	s_mov_b64 s[40:41], -1
	s_and_saveexec_b64 s[28:29], s[22:23]
	s_cbranch_execz .LBB4_6455
; %bb.6454:                             ;   in Loop: Header=BB4_3419 Depth=2
	ds_read_b32 v0, v0 offset:720
	s_waitcnt lgkmcnt(0)
	v_and_b32_e32 v0, 15, v0
	v_cmp_eq_u32_e32 vcc, 0, v0
	s_orn2_b64 s[40:41], vcc, exec
.LBB4_6455:                             ;   in Loop: Header=BB4_3419 Depth=2
	s_or_b64 exec, exec, s[28:29]
	s_and_saveexec_b64 s[28:29], s[18:19]
	s_cbranch_execz .LBB4_6457
; %bb.6456:                             ;   in Loop: Header=BB4_3419 Depth=2
	ds_read_b32 v0, v0 offset:784
	s_waitcnt lgkmcnt(0)
	v_and_b32_e32 v0, 15, v0
	v_cmp_eq_u32_e32 vcc, 0, v0
	s_and_b64 s[42:43], s[40:41], vcc
	s_andn2_b64 s[40:41], s[40:41], exec
	s_and_b64 s[42:43], s[42:43], exec
	s_or_b64 s[40:41], s[40:41], s[42:43]
.LBB4_6457:                             ;   in Loop: Header=BB4_3419 Depth=2
	s_or_b64 exec, exec, s[28:29]
	buffer_load_dword v7, off, s[0:3], s33 offset:136 ; 4-byte Folded Reload
	s_xor_b64 s[40:41], s[40:41], -1
	v_cndmask_b32_e64 v0, 0, 1, s[40:41]
	s_mov_b64 s[28:29], -1
	s_waitcnt vmcnt(0)
	v_mov_b32_e32 v18, 0
	v_cmp_ne_u32_e32 vcc, 0, v0
	v_mov_b32_e32 v5, v21
	s_cbranch_vccz .LBB4_6459
; %bb.6458:                             ;   in Loop: Header=BB4_3419 Depth=2
	s_and_saveexec_b64 s[44:45], s[28:29]
	s_cbranch_execnz .LBB4_8582
	s_branch .LBB4_9406
.LBB4_6459:                             ;   in Loop: Header=BB4_3419 Depth=2
	v_ashrrev_i32_e32 v0, 31, v21
	v_lshrrev_b32_e32 v0, 21, v0
	v_add_u32_e32 v0, v21, v0
	v_ashrrev_i32_e32 v1, 11, v0
	buffer_load_dword v0, off, s[0:3], s33 offset:184 ; 4-byte Folded Reload
	s_waitcnt vmcnt(0)
	v_sub_u32_e32 v4, v1, v0
	v_cmp_lt_i32_e32 vcc, 0, v4
	buffer_store_dword v21, off, s[0:3], s33 offset:244 ; 4-byte Folded Spill
	s_and_saveexec_b64 s[42:43], vcc
	s_cbranch_execz .LBB4_7871
; %bb.6460:                             ;   in Loop: Header=BB4_3419 Depth=2
	buffer_store_dword v1, off, s[0:3], s33 offset:172 ; 4-byte Folded Spill
	s_trap 2
	ds_read_b64 v[0:1], v0
	buffer_load_dword v2, off, s[0:3], s33 offset:232 ; 4-byte Folded Reload
	buffer_load_dword v5, off, s[0:3], s33 offset:188 ; 4-byte Folded Reload
	;; [unrolled: 1-line block ×3, first 2 shown]
	s_bitcmp1_b32 s84, 0
	s_mov_b64 s[44:45], 0
	s_cselect_b64 s[46:47], -1, 0
	s_waitcnt vmcnt(0)
	v_add_co_u32_e32 v26, vcc, v5, v2
	v_addc_co_u32_e32 v27, vcc, 0, v6, vcc
	s_waitcnt lgkmcnt(0)
	v_add_co_u32_e32 v28, vcc, v0, v2
	v_addc_co_u32_e32 v29, vcc, 0, v1, vcc
	buffer_load_dword v0, off, s[0:3], s33 offset:208 ; 4-byte Folded Reload
	buffer_load_dword v1, off, s[0:3], s33 offset:212 ; 4-byte Folded Reload
	s_waitcnt vmcnt(1)
	v_add_co_u32_e32 v30, vcc, v0, v2
	s_waitcnt vmcnt(0)
	v_addc_co_u32_e32 v31, vcc, 0, v1, vcc
	s_branch .LBB4_6462
.LBB4_6461:                             ;   in Loop: Header=BB4_6462 Depth=3
	s_or_b64 exec, exec, s[28:29]
	v_lshl_or_b32 v0, v47, 8, v7
	v_lshlrev_b32_e32 v5, 16, v37
	v_lshlrev_b32_e32 v7, 24, v53
	v_or3_b32 v8, v0, v5, v7
	v_lshl_or_b32 v0, v40, 8, v45
	v_lshlrev_b32_e32 v5, 16, v57
	v_lshlrev_b32_e32 v7, 24, v41
	v_or3_b32 v7, v0, v5, v7
	;; [unrolled: 4-line block ×3, first 2 shown]
	v_lshlrev_b32_e32 v0, 24, v21
	v_lshlrev_b32_e32 v1, 16, v20
	v_lshl_or_b32 v5, v25, 8, v24
	v_or3_b32 v10, v5, v1, v0
	v_lshl_or_b32 v0, v46, 8, v19
	v_lshlrev_b32_e32 v1, 16, v18
	v_lshlrev_b32_e32 v5, 24, v59
	v_or3_b32 v14, v0, v1, v5
	v_lshl_or_b32 v0, v23, 8, v22
	v_lshlrev_b32_e32 v1, 16, v36
	v_lshlrev_b32_e32 v5, 24, v6
	;; [unrolled: 4-line block ×3, first 2 shown]
	v_or3_b32 v15, v0, v1, v5
	v_lshlrev_b32_e32 v0, 24, v2
	v_lshlrev_b32_e32 v1, 16, v12
	v_lshl_or_b32 v2, v17, 8, v16
	v_or3_b32 v16, v2, v1, v0
	global_store_dwordx4 v[30:31], v[7:10], off glc slc
	global_store_dwordx4 v[30:31], v[13:16], off offset:1024 glc slc
	buffer_load_dword v46, off, s[0:3], s33 offset:76 ; 4-byte Folded Reload
	buffer_load_dword v57, off, s[0:3], s33 offset:68 ; 4-byte Folded Reload
	s_waitcnt vmcnt(1)
	v_add_co_u32_e32 v26, vcc, v26, v46
	v_addc_co_u32_e32 v27, vcc, 0, v27, vcc
	v_add_co_u32_e32 v28, vcc, v28, v46
	v_addc_co_u32_e32 v29, vcc, 0, v29, vcc
	s_waitcnt vmcnt(0)
	v_sub_u32_e32 v4, v4, v57
	v_cmp_gt_i32_e32 vcc, 1, v4
	s_or_b64 s[44:45], vcc, s[44:45]
	v_add_co_u32_e32 v30, vcc, v30, v46
	v_addc_co_u32_e32 v31, vcc, 0, v31, vcc
	s_andn2_b64 exec, exec, s[44:45]
	s_cbranch_execz .LBB4_7870
.LBB4_6462:                             ;   Parent Loop BB4_47 Depth=1
                                        ;     Parent Loop BB4_3419 Depth=2
                                        ; =>    This Inner Loop Header: Depth=3
	global_load_dwordx4 v[20:23], v[26:27], off glc slc
	global_load_dwordx4 v[12:15], v[26:27], off offset:1024 glc slc
	global_load_dwordx4 v[16:19], v[28:29], off glc slc
	global_load_dwordx4 v[8:11], v[28:29], off offset:1024 glc slc
	s_mov_b64 s[40:41], -1
	s_and_b64 vcc, exec, s[46:47]
                                        ; implicit-def: $vgpr6
	s_waitcnt vmcnt(3)
	v_cmp_ne_u16_sdwa s[28:29], v20, v3 src0_sel:BYTE_0 src1_sel:DWORD
	s_cbranch_vccz .LBB4_6476
; %bb.6463:                             ;   in Loop: Header=BB4_6462 Depth=3
	v_mov_b32_e32 v2, 0
	v_mov_b32_e32 v1, 0
	s_and_saveexec_b64 s[40:41], s[28:29]
	s_cbranch_execz .LBB4_6469
; %bb.6464:                             ;   in Loop: Header=BB4_6462 Depth=3
	v_cmp_ne_u16_sdwa vcc, v20, s80 src0_sel:BYTE_0 src1_sel:DWORD
	v_bfrev_b32_e32 v1, 1
	s_and_saveexec_b64 s[38:39], vcc
	s_cbranch_execz .LBB4_6468
; %bb.6465:                             ;   in Loop: Header=BB4_6462 Depth=3
	v_and_b32_e32 v0, 0x7f, v20
	v_cmp_ne_u32_e32 vcc, s81, v0
	v_mov_b32_e32 v1, 0x7f800001
	s_and_saveexec_b64 s[48:49], vcc
	s_cbranch_execz .LBB4_6467
; %bb.6466:                             ;   in Loop: Header=BB4_6462 Depth=3
	v_and_b32_e32 v1, 7, v20
	v_lshrrev_b32_e32 v5, 3, v0
	v_cmp_gt_u32_e32 vcc, 8, v0
	v_ffbh_u32_e32 v0, v1
	v_min_u32_e32 v0, 32, v0
	v_subrev_u32_e32 v1, 28, v0
	v_sub_u32_e32 v0, 29, v0
	v_cndmask_b32_e32 v5, v5, v0, vcc
	v_cndmask_b32_e32 v0, 0, v1, vcc
	v_lshlrev_b64 v[0:1], v0, v[20:21]
	v_lshlrev_b32_e32 v1, 24, v20
	v_lshlrev_b32_e32 v0, 20, v0
	v_and_b32_e32 v0, 0x700000, v0
	v_and_b32_e32 v1, 0x80000000, v1
	v_lshl_add_u32 v5, v5, 23, v54
	v_or3_b32 v1, v1, v5, v0
.LBB4_6467:                             ;   in Loop: Header=BB4_6462 Depth=3
	s_or_b64 exec, exec, s[48:49]
.LBB4_6468:                             ;   in Loop: Header=BB4_6462 Depth=3
	s_or_b64 exec, exec, s[38:39]
.LBB4_6469:                             ;   in Loop: Header=BB4_6462 Depth=3
	s_or_b64 exec, exec, s[40:41]
	s_waitcnt vmcnt(1)
	v_cmp_ne_u16_sdwa vcc, v16, v3 src0_sel:BYTE_0 src1_sel:DWORD
	s_and_saveexec_b64 s[40:41], vcc
	s_cbranch_execz .LBB4_6475
; %bb.6470:                             ;   in Loop: Header=BB4_6462 Depth=3
	v_cmp_ne_u16_sdwa vcc, v16, s80 src0_sel:BYTE_0 src1_sel:DWORD
	v_bfrev_b32_e32 v2, 1
	s_and_saveexec_b64 s[38:39], vcc
	s_cbranch_execz .LBB4_6474
; %bb.6471:                             ;   in Loop: Header=BB4_6462 Depth=3
	v_and_b32_e32 v0, 0x7f, v16
	v_cmp_ne_u32_e32 vcc, s81, v0
	v_mov_b32_e32 v2, 0x7f800001
	s_and_saveexec_b64 s[48:49], vcc
	s_cbranch_execz .LBB4_6473
; %bb.6472:                             ;   in Loop: Header=BB4_6462 Depth=3
	v_and_b32_e32 v2, 7, v16
	v_lshrrev_b32_e32 v5, 3, v0
	v_cmp_gt_u32_e32 vcc, 8, v0
	v_ffbh_u32_e32 v0, v2
	v_min_u32_e32 v0, 32, v0
	v_subrev_u32_e32 v2, 28, v0
	v_sub_u32_e32 v0, 29, v0
	v_cndmask_b32_e32 v2, 0, v2, vcc
	v_cndmask_b32_e32 v0, v5, v0, vcc
	v_lshlrev_b64 v[5:6], v2, v[16:17]
	v_lshl_add_u32 v0, v0, 23, v54
	v_lshlrev_b32_e32 v2, 20, v5
	v_lshlrev_b32_e32 v5, 24, v16
	v_and_b32_e32 v2, 0x700000, v2
	v_and_b32_e32 v5, 0x80000000, v5
	v_or3_b32 v2, v5, v0, v2
.LBB4_6473:                             ;   in Loop: Header=BB4_6462 Depth=3
	s_or_b64 exec, exec, s[48:49]
.LBB4_6474:                             ;   in Loop: Header=BB4_6462 Depth=3
	s_or_b64 exec, exec, s[38:39]
.LBB4_6475:                             ;   in Loop: Header=BB4_6462 Depth=3
	s_or_b64 exec, exec, s[40:41]
	v_max_f32_e32 v0, v2, v2
	v_max_f32_e32 v1, v1, v1
	;; [unrolled: 1-line block ×3, first 2 shown]
	s_mov_b64 s[40:41], 0
.LBB4_6476:                             ;   in Loop: Header=BB4_6462 Depth=3
	s_and_b64 vcc, exec, s[40:41]
	s_cbranch_vccz .LBB4_6490
; %bb.6477:                             ;   in Loop: Header=BB4_6462 Depth=3
	v_mov_b32_e32 v2, 0
	v_mov_b32_e32 v1, 0
	s_and_saveexec_b64 s[40:41], s[28:29]
	s_cbranch_execz .LBB4_6483
; %bb.6478:                             ;   in Loop: Header=BB4_6462 Depth=3
	v_cmp_ne_u16_sdwa vcc, v20, s80 src0_sel:BYTE_0 src1_sel:DWORD
	v_bfrev_b32_e32 v1, 1
	s_and_saveexec_b64 s[28:29], vcc
	s_cbranch_execz .LBB4_6482
; %bb.6479:                             ;   in Loop: Header=BB4_6462 Depth=3
	v_and_b32_e32 v0, 0x7f, v20
	v_cmp_ne_u32_e32 vcc, s81, v0
	v_mov_b32_e32 v1, 0x7f800001
	s_and_saveexec_b64 s[38:39], vcc
	s_cbranch_execz .LBB4_6481
; %bb.6480:                             ;   in Loop: Header=BB4_6462 Depth=3
	v_and_b32_e32 v1, 7, v20
	v_lshrrev_b32_e32 v5, 3, v0
	v_cmp_gt_u32_e32 vcc, 8, v0
	v_ffbh_u32_e32 v0, v1
	v_min_u32_e32 v0, 32, v0
	v_subrev_u32_e32 v1, 28, v0
	v_sub_u32_e32 v0, 29, v0
	v_cndmask_b32_e32 v5, v5, v0, vcc
	v_cndmask_b32_e32 v0, 0, v1, vcc
	v_lshlrev_b64 v[0:1], v0, v[20:21]
	v_lshlrev_b32_e32 v1, 24, v20
	v_lshlrev_b32_e32 v0, 20, v0
	v_and_b32_e32 v0, 0x700000, v0
	v_and_b32_e32 v1, 0x80000000, v1
	v_lshl_add_u32 v5, v5, 23, v54
	v_or3_b32 v1, v1, v5, v0
.LBB4_6481:                             ;   in Loop: Header=BB4_6462 Depth=3
	s_or_b64 exec, exec, s[38:39]
.LBB4_6482:                             ;   in Loop: Header=BB4_6462 Depth=3
	s_or_b64 exec, exec, s[28:29]
.LBB4_6483:                             ;   in Loop: Header=BB4_6462 Depth=3
	s_or_b64 exec, exec, s[40:41]
	s_waitcnt vmcnt(1)
	v_cmp_ne_u16_sdwa s[40:41], v16, v3 src0_sel:BYTE_0 src1_sel:DWORD
	s_and_saveexec_b64 s[28:29], s[40:41]
	s_cbranch_execz .LBB4_6489
; %bb.6484:                             ;   in Loop: Header=BB4_6462 Depth=3
	v_cmp_ne_u16_sdwa vcc, v16, s80 src0_sel:BYTE_0 src1_sel:DWORD
	v_bfrev_b32_e32 v2, 1
	s_and_saveexec_b64 s[40:41], vcc
	s_cbranch_execz .LBB4_6488
; %bb.6485:                             ;   in Loop: Header=BB4_6462 Depth=3
	v_and_b32_e32 v0, 0x7f, v16
	v_cmp_ne_u32_e32 vcc, s81, v0
	v_mov_b32_e32 v2, 0x7f800001
	s_and_saveexec_b64 s[38:39], vcc
	s_cbranch_execz .LBB4_6487
; %bb.6486:                             ;   in Loop: Header=BB4_6462 Depth=3
	v_and_b32_e32 v2, 7, v16
	v_lshrrev_b32_e32 v5, 3, v0
	v_cmp_gt_u32_e32 vcc, 8, v0
	v_ffbh_u32_e32 v0, v2
	v_min_u32_e32 v0, 32, v0
	v_subrev_u32_e32 v2, 28, v0
	v_sub_u32_e32 v0, 29, v0
	v_cndmask_b32_e32 v2, 0, v2, vcc
	v_cndmask_b32_e32 v0, v5, v0, vcc
	v_lshlrev_b64 v[5:6], v2, v[16:17]
	v_lshl_add_u32 v0, v0, 23, v54
	v_lshlrev_b32_e32 v2, 20, v5
	v_lshlrev_b32_e32 v5, 24, v16
	v_and_b32_e32 v2, 0x700000, v2
	v_and_b32_e32 v5, 0x80000000, v5
	v_or3_b32 v2, v5, v0, v2
.LBB4_6487:                             ;   in Loop: Header=BB4_6462 Depth=3
	s_or_b64 exec, exec, s[38:39]
.LBB4_6488:                             ;   in Loop: Header=BB4_6462 Depth=3
	s_or_b64 exec, exec, s[40:41]
.LBB4_6489:                             ;   in Loop: Header=BB4_6462 Depth=3
	s_or_b64 exec, exec, s[28:29]
	v_max_f32_e32 v0, v2, v2
	v_max_f32_e32 v1, v1, v1
	v_min_f32_e32 v6, v1, v0
.LBB4_6490:                             ;   in Loop: Header=BB4_6462 Depth=3
	v_and_b32_e32 v2, 0x7f800000, v6
	v_cmp_ne_u64_e32 vcc, s[76:77], v[2:3]
                                        ; implicit-def: $vgpr45
	s_and_saveexec_b64 s[28:29], vcc
	s_xor_b64 s[40:41], exec, s[28:29]
	s_cbranch_execz .LBB4_6504
; %bb.6491:                             ;   in Loop: Header=BB4_6462 Depth=3
	v_and_b32_e32 v2, 0x7fffffff, v6
	v_cmp_gt_u64_e32 vcc, s[78:79], v[2:3]
	v_and_b32_sdwa v1, v6, s80 dst_sel:DWORD dst_unused:UNUSED_PAD src0_sel:BYTE_3 src1_sel:DWORD
                                        ; implicit-def: $vgpr45
	s_and_saveexec_b64 s[28:29], vcc
	s_xor_b64 s[38:39], exec, s[28:29]
	s_cbranch_execz .LBB4_6501
; %bb.6492:                             ;   in Loop: Header=BB4_6462 Depth=3
	v_mov_b32_e32 v45, 0
	v_cmp_ne_u32_e32 vcc, 0, v6
	s_and_saveexec_b64 s[48:49], vcc
	s_cbranch_execz .LBB4_6500
; %bb.6493:                             ;   in Loop: Header=BB4_6462 Depth=3
	v_and_b32_e32 v0, 0x7fffff, v6
	v_bfe_u32 v6, v6, 23, 8
	v_cmp_gt_u32_e64 s[28:29], s83, v6
	v_sub_u32_e32 v2, 0x79, v6
	v_cmp_eq_u32_e32 vcc, 0, v6
	v_cndmask_b32_e64 v2, 0, v2, s[28:29]
	v_mov_b32_e32 v7, 0x78
	v_or_b32_e32 v5, 0x800000, v0
	v_cndmask_b32_e32 v7, v2, v7, vcc
	v_cndmask_b32_e32 v2, v5, v0, vcc
	v_add_u32_e32 v0, 20, v7
	v_lshlrev_b64 v[24:25], v0, -1
	v_add_u32_e32 v0, 19, v7
	v_lshlrev_b64 v[34:35], v0, 1
	v_bfi_b32 v25, v25, 0, 0
	v_bfi_b32 v24, v24, 0, v2
	v_cmp_eq_u64_e64 s[28:29], v[24:25], v[34:35]
	v_lshrrev_b64 v[24:25], v7, v[2:3]
	v_mov_b32_e32 v51, v25
	v_mov_b32_e32 v50, v24
	s_and_saveexec_b64 s[50:51], s[28:29]
; %bb.6494:                             ;   in Loop: Header=BB4_6462 Depth=3
	v_bfe_u32 v0, v24, 20, 1
	v_add_co_u32_e64 v0, s[28:29], v24, v0
	v_add_co_u32_e64 v50, s[28:29], -1, v0
; %bb.6495:                             ;   in Loop: Header=BB4_6462 Depth=3
	s_or_b64 exec, exec, s[50:51]
	v_add_u32_e32 v0, 0xffffff81, v6
	v_mov_b32_e32 v2, 0xffffff82
	v_cndmask_b32_e32 v0, v0, v2, vcc
	v_lshrrev_b32_e32 v2, 23, v24
	v_add3_u32 v5, v7, v0, v2
	v_add_u32_e32 v0, 6, v5
	v_and_b32_e32 v2, 0xfffff, v50
	v_add_u32_e32 v2, v2, v24
	v_cmp_ne_u32_e32 vcc, 0, v0
                                        ; implicit-def: $vgpr24_vgpr25
                                        ; implicit-def: $vgpr6
	s_and_saveexec_b64 s[28:29], vcc
	s_xor_b64 s[28:29], exec, s[28:29]
; %bb.6496:                             ;   in Loop: Header=BB4_6462 Depth=3
	v_cmp_lt_u64_e32 vcc, s[88:89], v[2:3]
	v_add_u32_e32 v5, 7, v5
	v_cndmask_b32_e32 v6, v0, v5, vcc
	v_cndmask_b32_e64 v0, 0, 1, vcc
	v_lshrrev_b64 v[24:25], v0, v[2:3]
; %bb.6497:                             ;   in Loop: Header=BB4_6462 Depth=3
	s_andn2_saveexec_b64 s[28:29], s[28:29]
; %bb.6498:                             ;   in Loop: Header=BB4_6462 Depth=3
	v_mov_b32_e32 v25, v3
	v_bfe_u32 v6, v2, 23, 1
	v_mov_b32_e32 v24, v2
; %bb.6499:                             ;   in Loop: Header=BB4_6462 Depth=3
	s_or_b64 exec, exec, s[28:29]
	v_lshrrev_b64 v[24:25], 20, v[24:25]
	v_cmp_gt_i32_e32 vcc, 16, v6
	v_cndmask_b32_e32 v25, 0, v25, vcc
	v_cndmask_b32_e32 v24, 7, v24, vcc
	v_min_i32_e32 v0, 15, v6
	v_cmp_eq_u64_e64 s[28:29], 0, v[24:25]
	v_lshlrev_b32_e32 v0, 3, v0
	v_cmp_eq_u32_e32 vcc, 0, v6
	v_and_b32_e32 v0, 0xf8, v0
	v_and_or_b32 v0, v24, 7, v0
	s_and_b64 s[28:29], vcc, s[28:29]
	v_cndmask_b32_e64 v0, v0, 0, s[28:29]
	v_or_b32_e32 v45, v0, v1
.LBB4_6500:                             ;   in Loop: Header=BB4_6462 Depth=3
	s_or_b64 exec, exec, s[48:49]
                                        ; implicit-def: $vgpr1
.LBB4_6501:                             ;   in Loop: Header=BB4_6462 Depth=3
	s_andn2_saveexec_b64 s[28:29], s[38:39]
; %bb.6502:                             ;   in Loop: Header=BB4_6462 Depth=3
	v_or_b32_e32 v45, 0x7e, v1
; %bb.6503:                             ;   in Loop: Header=BB4_6462 Depth=3
	s_or_b64 exec, exec, s[28:29]
                                        ; implicit-def: $vgpr6
.LBB4_6504:                             ;   in Loop: Header=BB4_6462 Depth=3
	s_andn2_saveexec_b64 s[28:29], s[40:41]
; %bb.6505:                             ;   in Loop: Header=BB4_6462 Depth=3
	v_or_b32_sdwa v45, v6, s81 dst_sel:DWORD dst_unused:UNUSED_PAD src0_sel:BYTE_3 src1_sel:DWORD
; %bb.6506:                             ;   in Loop: Header=BB4_6462 Depth=3
	s_or_b64 exec, exec, s[28:29]
	v_lshrrev_b16_e32 v24, 8, v20
	s_waitcnt vmcnt(1)
	v_lshrrev_b16_e32 v2, 8, v16
	v_cmp_ne_u16_e64 s[28:29], 0, v24
	s_mov_b64 s[40:41], -1
	s_and_b64 vcc, exec, s[46:47]
                                        ; implicit-def: $vgpr6
	s_cbranch_vccz .LBB4_6520
; %bb.6507:                             ;   in Loop: Header=BB4_6462 Depth=3
	v_mov_b32_e32 v6, 0
	v_mov_b32_e32 v1, 0
	s_and_saveexec_b64 s[40:41], s[28:29]
	s_cbranch_execz .LBB4_6513
; %bb.6508:                             ;   in Loop: Header=BB4_6462 Depth=3
	v_cmp_ne_u16_e32 vcc, s80, v24
	v_bfrev_b32_e32 v1, 1
	s_and_saveexec_b64 s[38:39], vcc
	s_cbranch_execz .LBB4_6512
; %bb.6509:                             ;   in Loop: Header=BB4_6462 Depth=3
	v_and_b32_e32 v0, 0x7f, v24
	v_cmp_ne_u32_e32 vcc, s81, v0
	v_mov_b32_e32 v1, 0x7f800001
	s_and_saveexec_b64 s[48:49], vcc
	s_cbranch_execz .LBB4_6511
; %bb.6510:                             ;   in Loop: Header=BB4_6462 Depth=3
	v_and_b32_e32 v5, 7, v24
	v_lshrrev_b32_e32 v7, 3, v0
	v_cmp_gt_u32_e32 vcc, 8, v0
	v_ffbh_u32_e32 v0, v5
	v_min_u32_e32 v25, 32, v0
	v_subrev_u32_e32 v0, 28, v25
	v_lshlrev_b64 v[0:1], v0, v[24:25]
	v_sub_u32_e32 v1, 29, v25
	v_and_b32_e32 v0, 7, v0
	v_cndmask_b32_e32 v1, v7, v1, vcc
	v_cndmask_b32_e32 v0, v5, v0, vcc
	v_lshlrev_b32_e32 v5, 16, v20
	v_lshlrev_b32_e32 v0, 20, v0
	v_and_b32_e32 v5, 0x80000000, v5
	v_lshl_add_u32 v1, v1, 23, v54
	v_or3_b32 v1, v5, v1, v0
.LBB4_6511:                             ;   in Loop: Header=BB4_6462 Depth=3
	s_or_b64 exec, exec, s[48:49]
.LBB4_6512:                             ;   in Loop: Header=BB4_6462 Depth=3
	s_or_b64 exec, exec, s[38:39]
.LBB4_6513:                             ;   in Loop: Header=BB4_6462 Depth=3
	s_or_b64 exec, exec, s[40:41]
	v_cmp_ne_u16_e32 vcc, 0, v2
	s_and_saveexec_b64 s[40:41], vcc
	s_cbranch_execz .LBB4_6519
; %bb.6514:                             ;   in Loop: Header=BB4_6462 Depth=3
	v_cmp_ne_u16_e32 vcc, s80, v2
	v_bfrev_b32_e32 v6, 1
	s_and_saveexec_b64 s[38:39], vcc
	s_cbranch_execz .LBB4_6518
; %bb.6515:                             ;   in Loop: Header=BB4_6462 Depth=3
	v_and_b32_e32 v0, 0x7f, v2
	v_cmp_ne_u32_e32 vcc, s81, v0
	v_mov_b32_e32 v6, 0x7f800001
	s_and_saveexec_b64 s[48:49], vcc
	s_cbranch_execz .LBB4_6517
; %bb.6516:                             ;   in Loop: Header=BB4_6462 Depth=3
	v_and_b32_e32 v7, 7, v2
	v_lshrrev_b32_e32 v25, 3, v0
	v_cmp_gt_u32_e32 vcc, 8, v0
	v_ffbh_u32_e32 v0, v7
	v_min_u32_e32 v0, 32, v0
	v_subrev_u32_e32 v5, 28, v0
	v_lshlrev_b64 v[5:6], v5, v[2:3]
	v_sub_u32_e32 v0, 29, v0
	v_and_b32_e32 v5, 7, v5
	v_cndmask_b32_e32 v0, v25, v0, vcc
	v_cndmask_b32_e32 v5, v7, v5, vcc
	v_lshlrev_b32_e32 v6, 16, v16
	v_lshlrev_b32_e32 v5, 20, v5
	v_and_b32_e32 v6, 0x80000000, v6
	v_lshl_add_u32 v0, v0, 23, v54
	v_or3_b32 v6, v6, v0, v5
.LBB4_6517:                             ;   in Loop: Header=BB4_6462 Depth=3
	s_or_b64 exec, exec, s[48:49]
.LBB4_6518:                             ;   in Loop: Header=BB4_6462 Depth=3
	s_or_b64 exec, exec, s[38:39]
.LBB4_6519:                             ;   in Loop: Header=BB4_6462 Depth=3
	s_or_b64 exec, exec, s[40:41]
	v_max_f32_e32 v0, v6, v6
	v_max_f32_e32 v1, v1, v1
	;; [unrolled: 1-line block ×3, first 2 shown]
	s_mov_b64 s[40:41], 0
.LBB4_6520:                             ;   in Loop: Header=BB4_6462 Depth=3
	s_and_b64 vcc, exec, s[40:41]
	s_cbranch_vccz .LBB4_6534
; %bb.6521:                             ;   in Loop: Header=BB4_6462 Depth=3
	v_mov_b32_e32 v6, 0
	v_mov_b32_e32 v1, 0
	s_and_saveexec_b64 s[40:41], s[28:29]
	s_cbranch_execz .LBB4_6527
; %bb.6522:                             ;   in Loop: Header=BB4_6462 Depth=3
	v_cmp_ne_u16_e32 vcc, s80, v24
	v_bfrev_b32_e32 v1, 1
	s_and_saveexec_b64 s[28:29], vcc
	s_cbranch_execz .LBB4_6526
; %bb.6523:                             ;   in Loop: Header=BB4_6462 Depth=3
	v_and_b32_e32 v0, 0x7f, v24
	v_cmp_ne_u32_e32 vcc, s81, v0
	v_mov_b32_e32 v1, 0x7f800001
	s_and_saveexec_b64 s[38:39], vcc
	s_cbranch_execz .LBB4_6525
; %bb.6524:                             ;   in Loop: Header=BB4_6462 Depth=3
	v_and_b32_e32 v5, 7, v24
	v_lshrrev_b32_e32 v7, 3, v0
	v_cmp_gt_u32_e32 vcc, 8, v0
	v_ffbh_u32_e32 v0, v5
	v_min_u32_e32 v25, 32, v0
	v_subrev_u32_e32 v0, 28, v25
	v_lshlrev_b64 v[0:1], v0, v[24:25]
	v_sub_u32_e32 v1, 29, v25
	v_and_b32_e32 v0, 7, v0
	v_cndmask_b32_e32 v1, v7, v1, vcc
	v_cndmask_b32_e32 v0, v5, v0, vcc
	v_lshlrev_b32_e32 v5, 16, v20
	v_lshlrev_b32_e32 v0, 20, v0
	v_and_b32_e32 v5, 0x80000000, v5
	v_lshl_add_u32 v1, v1, 23, v54
	v_or3_b32 v1, v5, v1, v0
.LBB4_6525:                             ;   in Loop: Header=BB4_6462 Depth=3
	s_or_b64 exec, exec, s[38:39]
.LBB4_6526:                             ;   in Loop: Header=BB4_6462 Depth=3
	s_or_b64 exec, exec, s[28:29]
.LBB4_6527:                             ;   in Loop: Header=BB4_6462 Depth=3
	s_or_b64 exec, exec, s[40:41]
	v_cmp_ne_u16_e32 vcc, 0, v2
	s_and_saveexec_b64 s[28:29], vcc
	s_cbranch_execz .LBB4_6533
; %bb.6528:                             ;   in Loop: Header=BB4_6462 Depth=3
	v_cmp_ne_u16_e32 vcc, s80, v2
	v_bfrev_b32_e32 v6, 1
	s_and_saveexec_b64 s[40:41], vcc
	s_cbranch_execz .LBB4_6532
; %bb.6529:                             ;   in Loop: Header=BB4_6462 Depth=3
	v_and_b32_e32 v0, 0x7f, v2
	v_cmp_ne_u32_e32 vcc, s81, v0
	v_mov_b32_e32 v6, 0x7f800001
	s_and_saveexec_b64 s[38:39], vcc
	s_cbranch_execz .LBB4_6531
; %bb.6530:                             ;   in Loop: Header=BB4_6462 Depth=3
	v_and_b32_e32 v7, 7, v2
	v_lshrrev_b32_e32 v24, 3, v0
	v_cmp_gt_u32_e32 vcc, 8, v0
	v_ffbh_u32_e32 v0, v7
	v_min_u32_e32 v0, 32, v0
	v_subrev_u32_e32 v5, 28, v0
	v_lshlrev_b64 v[5:6], v5, v[2:3]
	v_sub_u32_e32 v0, 29, v0
	v_and_b32_e32 v2, 7, v5
	v_cndmask_b32_e32 v0, v24, v0, vcc
	v_cndmask_b32_e32 v2, v7, v2, vcc
	v_lshlrev_b32_e32 v5, 16, v16
	v_lshlrev_b32_e32 v2, 20, v2
	v_and_b32_e32 v5, 0x80000000, v5
	v_lshl_add_u32 v0, v0, 23, v54
	v_or3_b32 v6, v5, v0, v2
.LBB4_6531:                             ;   in Loop: Header=BB4_6462 Depth=3
	s_or_b64 exec, exec, s[38:39]
.LBB4_6532:                             ;   in Loop: Header=BB4_6462 Depth=3
	s_or_b64 exec, exec, s[40:41]
.LBB4_6533:                             ;   in Loop: Header=BB4_6462 Depth=3
	s_or_b64 exec, exec, s[28:29]
	v_max_f32_e32 v0, v6, v6
	v_max_f32_e32 v1, v1, v1
	v_min_f32_e32 v6, v1, v0
.LBB4_6534:                             ;   in Loop: Header=BB4_6462 Depth=3
	v_and_b32_e32 v2, 0x7f800000, v6
	v_cmp_ne_u64_e32 vcc, s[76:77], v[2:3]
                                        ; implicit-def: $vgpr40
	s_and_saveexec_b64 s[28:29], vcc
	s_xor_b64 s[40:41], exec, s[28:29]
	s_cbranch_execz .LBB4_6548
; %bb.6535:                             ;   in Loop: Header=BB4_6462 Depth=3
	v_and_b32_e32 v2, 0x7fffffff, v6
	v_cmp_gt_u64_e32 vcc, s[78:79], v[2:3]
	v_and_b32_sdwa v1, v6, s80 dst_sel:DWORD dst_unused:UNUSED_PAD src0_sel:BYTE_3 src1_sel:DWORD
                                        ; implicit-def: $vgpr40
	s_and_saveexec_b64 s[28:29], vcc
	s_xor_b64 s[38:39], exec, s[28:29]
	s_cbranch_execz .LBB4_6545
; %bb.6536:                             ;   in Loop: Header=BB4_6462 Depth=3
	v_mov_b32_e32 v40, 0
	v_cmp_ne_u32_e32 vcc, 0, v6
	s_and_saveexec_b64 s[48:49], vcc
	s_cbranch_execz .LBB4_6544
; %bb.6537:                             ;   in Loop: Header=BB4_6462 Depth=3
	v_and_b32_e32 v0, 0x7fffff, v6
	v_bfe_u32 v6, v6, 23, 8
	v_cmp_gt_u32_e64 s[28:29], s83, v6
	v_sub_u32_e32 v2, 0x79, v6
	v_cmp_eq_u32_e32 vcc, 0, v6
	v_cndmask_b32_e64 v2, 0, v2, s[28:29]
	v_mov_b32_e32 v7, 0x78
	v_or_b32_e32 v5, 0x800000, v0
	v_cndmask_b32_e32 v34, v2, v7, vcc
	v_cndmask_b32_e32 v2, v5, v0, vcc
	v_add_u32_e32 v0, 20, v34
	v_lshlrev_b64 v[24:25], v0, -1
	v_add_u32_e32 v0, 19, v34
	v_lshlrev_b64 v[35:36], v0, 1
	v_bfi_b32 v25, v25, 0, 0
	v_bfi_b32 v24, v24, 0, v2
	v_cmp_eq_u64_e64 s[28:29], v[24:25], v[35:36]
	v_lshrrev_b64 v[24:25], v34, v[2:3]
	v_mov_b32_e32 v51, v25
	v_mov_b32_e32 v50, v24
	s_and_saveexec_b64 s[50:51], s[28:29]
; %bb.6538:                             ;   in Loop: Header=BB4_6462 Depth=3
	v_bfe_u32 v0, v24, 20, 1
	v_add_co_u32_e64 v0, s[28:29], v24, v0
	v_add_co_u32_e64 v50, s[28:29], -1, v0
; %bb.6539:                             ;   in Loop: Header=BB4_6462 Depth=3
	s_or_b64 exec, exec, s[50:51]
	v_add_u32_e32 v0, 0xffffff81, v6
	v_mov_b32_e32 v2, 0xffffff82
	v_cndmask_b32_e32 v0, v0, v2, vcc
	v_lshrrev_b32_e32 v2, 23, v24
	v_add3_u32 v5, v34, v0, v2
	v_add_u32_e32 v0, 6, v5
	v_and_b32_e32 v2, 0xfffff, v50
	v_add_u32_e32 v2, v2, v24
	v_cmp_ne_u32_e32 vcc, 0, v0
                                        ; implicit-def: $vgpr24_vgpr25
                                        ; implicit-def: $vgpr6
	s_and_saveexec_b64 s[28:29], vcc
	s_xor_b64 s[28:29], exec, s[28:29]
; %bb.6540:                             ;   in Loop: Header=BB4_6462 Depth=3
	v_cmp_lt_u64_e32 vcc, s[88:89], v[2:3]
	v_add_u32_e32 v5, 7, v5
	v_cndmask_b32_e32 v6, v0, v5, vcc
	v_cndmask_b32_e64 v0, 0, 1, vcc
	v_lshrrev_b64 v[24:25], v0, v[2:3]
; %bb.6541:                             ;   in Loop: Header=BB4_6462 Depth=3
	s_andn2_saveexec_b64 s[28:29], s[28:29]
; %bb.6542:                             ;   in Loop: Header=BB4_6462 Depth=3
	v_mov_b32_e32 v25, v3
	v_bfe_u32 v6, v2, 23, 1
	v_mov_b32_e32 v24, v2
; %bb.6543:                             ;   in Loop: Header=BB4_6462 Depth=3
	s_or_b64 exec, exec, s[28:29]
	v_lshrrev_b64 v[24:25], 20, v[24:25]
	v_cmp_gt_i32_e32 vcc, 16, v6
	v_cndmask_b32_e32 v25, 0, v25, vcc
	v_cndmask_b32_e32 v24, 7, v24, vcc
	v_min_i32_e32 v0, 15, v6
	v_cmp_eq_u64_e64 s[28:29], 0, v[24:25]
	v_lshlrev_b32_e32 v0, 3, v0
	v_cmp_eq_u32_e32 vcc, 0, v6
	v_and_b32_e32 v0, 0xf8, v0
	v_and_or_b32 v0, v24, 7, v0
	s_and_b64 s[28:29], vcc, s[28:29]
	v_cndmask_b32_e64 v0, v0, 0, s[28:29]
	v_or_b32_e32 v40, v0, v1
.LBB4_6544:                             ;   in Loop: Header=BB4_6462 Depth=3
	s_or_b64 exec, exec, s[48:49]
                                        ; implicit-def: $vgpr1
.LBB4_6545:                             ;   in Loop: Header=BB4_6462 Depth=3
	s_andn2_saveexec_b64 s[28:29], s[38:39]
; %bb.6546:                             ;   in Loop: Header=BB4_6462 Depth=3
	v_or_b32_e32 v40, 0x7e, v1
; %bb.6547:                             ;   in Loop: Header=BB4_6462 Depth=3
	s_or_b64 exec, exec, s[28:29]
                                        ; implicit-def: $vgpr6
.LBB4_6548:                             ;   in Loop: Header=BB4_6462 Depth=3
	s_andn2_saveexec_b64 s[28:29], s[40:41]
; %bb.6549:                             ;   in Loop: Header=BB4_6462 Depth=3
	v_or_b32_sdwa v40, v6, s81 dst_sel:DWORD dst_unused:UNUSED_PAD src0_sel:BYTE_3 src1_sel:DWORD
; %bb.6550:                             ;   in Loop: Header=BB4_6462 Depth=3
	s_or_b64 exec, exec, s[28:29]
	v_lshrrev_b32_e32 v24, 16, v20
	v_lshrrev_b32_e32 v2, 16, v16
	v_cmp_ne_u16_sdwa s[28:29], v24, v3 src0_sel:BYTE_0 src1_sel:DWORD
	s_mov_b64 s[40:41], -1
	s_and_b64 vcc, exec, s[46:47]
                                        ; implicit-def: $vgpr6
	s_cbranch_vccz .LBB4_6564
; %bb.6551:                             ;   in Loop: Header=BB4_6462 Depth=3
	v_mov_b32_e32 v6, 0
	v_mov_b32_e32 v1, 0
	s_and_saveexec_b64 s[40:41], s[28:29]
	s_cbranch_execz .LBB4_6557
; %bb.6552:                             ;   in Loop: Header=BB4_6462 Depth=3
	v_cmp_ne_u16_sdwa vcc, v24, s80 src0_sel:BYTE_0 src1_sel:DWORD
	v_bfrev_b32_e32 v1, 1
	s_and_saveexec_b64 s[38:39], vcc
	s_cbranch_execz .LBB4_6556
; %bb.6553:                             ;   in Loop: Header=BB4_6462 Depth=3
	v_bfe_u32 v0, v20, 16, 7
	v_cmp_ne_u32_e32 vcc, s81, v0
	v_mov_b32_e32 v1, 0x7f800001
	s_and_saveexec_b64 s[48:49], vcc
	s_cbranch_execz .LBB4_6555
; %bb.6554:                             ;   in Loop: Header=BB4_6462 Depth=3
	v_and_b32_e32 v5, 7, v24
	v_lshrrev_b32_e32 v7, 3, v0
	v_cmp_gt_u32_e32 vcc, 8, v0
	v_ffbh_u32_e32 v0, v5
	v_min_u32_e32 v25, 32, v0
	v_subrev_u32_e32 v0, 28, v25
	v_lshlrev_b64 v[0:1], v0, v[24:25]
	v_sub_u32_e32 v1, 29, v25
	v_and_b32_e32 v0, 7, v0
	v_cndmask_b32_e32 v1, v7, v1, vcc
	v_cndmask_b32_e32 v0, v5, v0, vcc
	v_lshlrev_b32_e32 v5, 24, v24
	v_lshlrev_b32_e32 v0, 20, v0
	v_and_b32_e32 v5, 0x80000000, v5
	v_lshl_add_u32 v1, v1, 23, v54
	v_or3_b32 v1, v5, v1, v0
.LBB4_6555:                             ;   in Loop: Header=BB4_6462 Depth=3
	s_or_b64 exec, exec, s[48:49]
.LBB4_6556:                             ;   in Loop: Header=BB4_6462 Depth=3
	s_or_b64 exec, exec, s[38:39]
.LBB4_6557:                             ;   in Loop: Header=BB4_6462 Depth=3
	s_or_b64 exec, exec, s[40:41]
	v_cmp_ne_u16_sdwa vcc, v2, v3 src0_sel:BYTE_0 src1_sel:DWORD
	s_and_saveexec_b64 s[40:41], vcc
	s_cbranch_execz .LBB4_6563
; %bb.6558:                             ;   in Loop: Header=BB4_6462 Depth=3
	v_cmp_ne_u16_sdwa vcc, v2, s80 src0_sel:BYTE_0 src1_sel:DWORD
	v_bfrev_b32_e32 v6, 1
	s_and_saveexec_b64 s[38:39], vcc
	s_cbranch_execz .LBB4_6562
; %bb.6559:                             ;   in Loop: Header=BB4_6462 Depth=3
	v_bfe_u32 v0, v16, 16, 7
	v_cmp_ne_u32_e32 vcc, s81, v0
	v_mov_b32_e32 v6, 0x7f800001
	s_and_saveexec_b64 s[48:49], vcc
	s_cbranch_execz .LBB4_6561
; %bb.6560:                             ;   in Loop: Header=BB4_6462 Depth=3
	v_and_b32_e32 v7, 7, v2
	v_lshrrev_b32_e32 v25, 3, v0
	v_cmp_gt_u32_e32 vcc, 8, v0
	v_ffbh_u32_e32 v0, v7
	v_min_u32_e32 v0, 32, v0
	v_subrev_u32_e32 v5, 28, v0
	v_lshlrev_b64 v[5:6], v5, v[2:3]
	v_sub_u32_e32 v0, 29, v0
	v_and_b32_e32 v5, 7, v5
	v_cndmask_b32_e32 v0, v25, v0, vcc
	v_cndmask_b32_e32 v5, v7, v5, vcc
	v_lshlrev_b32_e32 v6, 24, v2
	v_lshlrev_b32_e32 v5, 20, v5
	v_and_b32_e32 v6, 0x80000000, v6
	v_lshl_add_u32 v0, v0, 23, v54
	v_or3_b32 v6, v6, v0, v5
.LBB4_6561:                             ;   in Loop: Header=BB4_6462 Depth=3
	s_or_b64 exec, exec, s[48:49]
.LBB4_6562:                             ;   in Loop: Header=BB4_6462 Depth=3
	s_or_b64 exec, exec, s[38:39]
.LBB4_6563:                             ;   in Loop: Header=BB4_6462 Depth=3
	s_or_b64 exec, exec, s[40:41]
	v_max_f32_e32 v0, v6, v6
	v_max_f32_e32 v1, v1, v1
	v_max_f32_e32 v6, v1, v0
	s_mov_b64 s[40:41], 0
.LBB4_6564:                             ;   in Loop: Header=BB4_6462 Depth=3
	s_and_b64 vcc, exec, s[40:41]
	s_cbranch_vccz .LBB4_6578
; %bb.6565:                             ;   in Loop: Header=BB4_6462 Depth=3
	v_mov_b32_e32 v6, 0
	v_mov_b32_e32 v1, 0
	s_and_saveexec_b64 s[40:41], s[28:29]
	s_cbranch_execz .LBB4_6571
; %bb.6566:                             ;   in Loop: Header=BB4_6462 Depth=3
	v_cmp_ne_u16_sdwa vcc, v24, s80 src0_sel:BYTE_0 src1_sel:DWORD
	v_bfrev_b32_e32 v1, 1
	s_and_saveexec_b64 s[28:29], vcc
	s_cbranch_execz .LBB4_6570
; %bb.6567:                             ;   in Loop: Header=BB4_6462 Depth=3
	v_bfe_u32 v0, v20, 16, 7
	v_cmp_ne_u32_e32 vcc, s81, v0
	v_mov_b32_e32 v1, 0x7f800001
	s_and_saveexec_b64 s[38:39], vcc
	s_cbranch_execz .LBB4_6569
; %bb.6568:                             ;   in Loop: Header=BB4_6462 Depth=3
	v_and_b32_e32 v5, 7, v24
	v_lshrrev_b32_e32 v7, 3, v0
	v_cmp_gt_u32_e32 vcc, 8, v0
	v_ffbh_u32_e32 v0, v5
	v_min_u32_e32 v25, 32, v0
	v_subrev_u32_e32 v0, 28, v25
	v_lshlrev_b64 v[0:1], v0, v[24:25]
	v_sub_u32_e32 v1, 29, v25
	v_and_b32_e32 v0, 7, v0
	v_cndmask_b32_e32 v1, v7, v1, vcc
	v_cndmask_b32_e32 v0, v5, v0, vcc
	v_lshlrev_b32_e32 v5, 24, v24
	v_lshlrev_b32_e32 v0, 20, v0
	v_and_b32_e32 v5, 0x80000000, v5
	v_lshl_add_u32 v1, v1, 23, v54
	v_or3_b32 v1, v5, v1, v0
.LBB4_6569:                             ;   in Loop: Header=BB4_6462 Depth=3
	s_or_b64 exec, exec, s[38:39]
.LBB4_6570:                             ;   in Loop: Header=BB4_6462 Depth=3
	s_or_b64 exec, exec, s[28:29]
.LBB4_6571:                             ;   in Loop: Header=BB4_6462 Depth=3
	s_or_b64 exec, exec, s[40:41]
	v_cmp_ne_u16_sdwa s[40:41], v2, v3 src0_sel:BYTE_0 src1_sel:DWORD
	s_and_saveexec_b64 s[28:29], s[40:41]
	s_cbranch_execz .LBB4_6577
; %bb.6572:                             ;   in Loop: Header=BB4_6462 Depth=3
	v_cmp_ne_u16_sdwa vcc, v2, s80 src0_sel:BYTE_0 src1_sel:DWORD
	v_bfrev_b32_e32 v6, 1
	s_and_saveexec_b64 s[40:41], vcc
	s_cbranch_execz .LBB4_6576
; %bb.6573:                             ;   in Loop: Header=BB4_6462 Depth=3
	v_bfe_u32 v0, v16, 16, 7
	v_cmp_ne_u32_e32 vcc, s81, v0
	v_mov_b32_e32 v6, 0x7f800001
	s_and_saveexec_b64 s[38:39], vcc
	s_cbranch_execz .LBB4_6575
; %bb.6574:                             ;   in Loop: Header=BB4_6462 Depth=3
	v_and_b32_e32 v7, 7, v2
	v_lshrrev_b32_e32 v24, 3, v0
	v_cmp_gt_u32_e32 vcc, 8, v0
	v_ffbh_u32_e32 v0, v7
	v_min_u32_e32 v0, 32, v0
	v_subrev_u32_e32 v5, 28, v0
	v_lshlrev_b64 v[5:6], v5, v[2:3]
	v_sub_u32_e32 v0, 29, v0
	v_and_b32_e32 v5, 7, v5
	v_cndmask_b32_e32 v0, v24, v0, vcc
	v_cndmask_b32_e32 v5, v7, v5, vcc
	v_lshlrev_b32_e32 v2, 24, v2
	v_lshlrev_b32_e32 v5, 20, v5
	v_and_b32_e32 v2, 0x80000000, v2
	v_lshl_add_u32 v0, v0, 23, v54
	v_or3_b32 v6, v2, v0, v5
.LBB4_6575:                             ;   in Loop: Header=BB4_6462 Depth=3
	s_or_b64 exec, exec, s[38:39]
.LBB4_6576:                             ;   in Loop: Header=BB4_6462 Depth=3
	s_or_b64 exec, exec, s[40:41]
.LBB4_6577:                             ;   in Loop: Header=BB4_6462 Depth=3
	s_or_b64 exec, exec, s[28:29]
	v_max_f32_e32 v0, v6, v6
	v_max_f32_e32 v1, v1, v1
	v_min_f32_e32 v6, v1, v0
.LBB4_6578:                             ;   in Loop: Header=BB4_6462 Depth=3
	v_and_b32_e32 v2, 0x7f800000, v6
	v_cmp_ne_u64_e32 vcc, s[76:77], v[2:3]
                                        ; implicit-def: $vgpr57
	s_and_saveexec_b64 s[28:29], vcc
	s_xor_b64 s[40:41], exec, s[28:29]
	s_cbranch_execz .LBB4_6592
; %bb.6579:                             ;   in Loop: Header=BB4_6462 Depth=3
	v_and_b32_e32 v2, 0x7fffffff, v6
	v_cmp_gt_u64_e32 vcc, s[78:79], v[2:3]
	v_and_b32_sdwa v1, v6, s80 dst_sel:DWORD dst_unused:UNUSED_PAD src0_sel:BYTE_3 src1_sel:DWORD
                                        ; implicit-def: $vgpr57
	s_and_saveexec_b64 s[28:29], vcc
	s_xor_b64 s[38:39], exec, s[28:29]
	s_cbranch_execz .LBB4_6589
; %bb.6580:                             ;   in Loop: Header=BB4_6462 Depth=3
	v_mov_b32_e32 v57, 0
	v_cmp_ne_u32_e32 vcc, 0, v6
	s_and_saveexec_b64 s[48:49], vcc
	s_cbranch_execz .LBB4_6588
; %bb.6581:                             ;   in Loop: Header=BB4_6462 Depth=3
	v_and_b32_e32 v0, 0x7fffff, v6
	v_bfe_u32 v6, v6, 23, 8
	v_cmp_gt_u32_e64 s[28:29], s83, v6
	v_sub_u32_e32 v2, 0x79, v6
	v_cmp_eq_u32_e32 vcc, 0, v6
	v_cndmask_b32_e64 v2, 0, v2, s[28:29]
	v_mov_b32_e32 v7, 0x78
	v_or_b32_e32 v5, 0x800000, v0
	v_cndmask_b32_e32 v34, v2, v7, vcc
	v_cndmask_b32_e32 v2, v5, v0, vcc
	v_add_u32_e32 v0, 20, v34
	v_lshlrev_b64 v[24:25], v0, -1
	v_add_u32_e32 v0, 19, v34
	v_lshlrev_b64 v[35:36], v0, 1
	v_bfi_b32 v25, v25, 0, 0
	v_bfi_b32 v24, v24, 0, v2
	v_cmp_eq_u64_e64 s[28:29], v[24:25], v[35:36]
	v_lshrrev_b64 v[24:25], v34, v[2:3]
	v_mov_b32_e32 v51, v25
	v_mov_b32_e32 v50, v24
	s_and_saveexec_b64 s[50:51], s[28:29]
; %bb.6582:                             ;   in Loop: Header=BB4_6462 Depth=3
	v_bfe_u32 v0, v24, 20, 1
	v_add_co_u32_e64 v0, s[28:29], v24, v0
	v_add_co_u32_e64 v50, s[28:29], -1, v0
; %bb.6583:                             ;   in Loop: Header=BB4_6462 Depth=3
	s_or_b64 exec, exec, s[50:51]
	v_add_u32_e32 v0, 0xffffff81, v6
	v_mov_b32_e32 v2, 0xffffff82
	v_cndmask_b32_e32 v0, v0, v2, vcc
	v_lshrrev_b32_e32 v2, 23, v24
	v_add3_u32 v5, v34, v0, v2
	v_add_u32_e32 v0, 6, v5
	v_and_b32_e32 v2, 0xfffff, v50
	v_add_u32_e32 v2, v2, v24
	v_cmp_ne_u32_e32 vcc, 0, v0
                                        ; implicit-def: $vgpr24_vgpr25
                                        ; implicit-def: $vgpr6
	s_and_saveexec_b64 s[28:29], vcc
	s_xor_b64 s[28:29], exec, s[28:29]
; %bb.6584:                             ;   in Loop: Header=BB4_6462 Depth=3
	v_cmp_lt_u64_e32 vcc, s[88:89], v[2:3]
	v_add_u32_e32 v5, 7, v5
	v_cndmask_b32_e32 v6, v0, v5, vcc
	v_cndmask_b32_e64 v0, 0, 1, vcc
	v_lshrrev_b64 v[24:25], v0, v[2:3]
; %bb.6585:                             ;   in Loop: Header=BB4_6462 Depth=3
	s_andn2_saveexec_b64 s[28:29], s[28:29]
; %bb.6586:                             ;   in Loop: Header=BB4_6462 Depth=3
	v_mov_b32_e32 v25, v3
	v_bfe_u32 v6, v2, 23, 1
	v_mov_b32_e32 v24, v2
; %bb.6587:                             ;   in Loop: Header=BB4_6462 Depth=3
	s_or_b64 exec, exec, s[28:29]
	v_lshrrev_b64 v[24:25], 20, v[24:25]
	v_cmp_gt_i32_e32 vcc, 16, v6
	v_cndmask_b32_e32 v25, 0, v25, vcc
	v_cndmask_b32_e32 v24, 7, v24, vcc
	v_min_i32_e32 v0, 15, v6
	v_cmp_eq_u64_e64 s[28:29], 0, v[24:25]
	v_lshlrev_b32_e32 v0, 3, v0
	v_cmp_eq_u32_e32 vcc, 0, v6
	v_and_b32_e32 v0, 0xf8, v0
	v_and_or_b32 v0, v24, 7, v0
	s_and_b64 s[28:29], vcc, s[28:29]
	v_cndmask_b32_e64 v0, v0, 0, s[28:29]
	v_or_b32_e32 v57, v0, v1
.LBB4_6588:                             ;   in Loop: Header=BB4_6462 Depth=3
	s_or_b64 exec, exec, s[48:49]
                                        ; implicit-def: $vgpr1
.LBB4_6589:                             ;   in Loop: Header=BB4_6462 Depth=3
	s_andn2_saveexec_b64 s[28:29], s[38:39]
; %bb.6590:                             ;   in Loop: Header=BB4_6462 Depth=3
	v_or_b32_e32 v57, 0x7e, v1
; %bb.6591:                             ;   in Loop: Header=BB4_6462 Depth=3
	s_or_b64 exec, exec, s[28:29]
                                        ; implicit-def: $vgpr6
.LBB4_6592:                             ;   in Loop: Header=BB4_6462 Depth=3
	s_andn2_saveexec_b64 s[28:29], s[40:41]
; %bb.6593:                             ;   in Loop: Header=BB4_6462 Depth=3
	v_or_b32_sdwa v57, v6, s81 dst_sel:DWORD dst_unused:UNUSED_PAD src0_sel:BYTE_3 src1_sel:DWORD
; %bb.6594:                             ;   in Loop: Header=BB4_6462 Depth=3
	s_or_b64 exec, exec, s[28:29]
	v_lshrrev_b32_e32 v24, 24, v20
	v_lshrrev_b32_e32 v2, 24, v16
	v_cmp_lt_u32_e64 s[28:29], s63, v20
	s_mov_b64 s[40:41], -1
	s_and_b64 vcc, exec, s[46:47]
                                        ; implicit-def: $vgpr6
	s_cbranch_vccz .LBB4_6608
; %bb.6595:                             ;   in Loop: Header=BB4_6462 Depth=3
	v_mov_b32_e32 v6, 0
	v_mov_b32_e32 v1, 0
	s_and_saveexec_b64 s[40:41], s[28:29]
	s_cbranch_execz .LBB4_6601
; %bb.6596:                             ;   in Loop: Header=BB4_6462 Depth=3
	v_cmp_ne_u32_e32 vcc, s80, v24
	v_bfrev_b32_e32 v1, 1
	s_and_saveexec_b64 s[38:39], vcc
	s_cbranch_execz .LBB4_6600
; %bb.6597:                             ;   in Loop: Header=BB4_6462 Depth=3
	v_bfe_u32 v0, v20, 24, 7
	v_cmp_ne_u32_e32 vcc, s81, v0
	v_mov_b32_e32 v1, 0x7f800001
	s_and_saveexec_b64 s[48:49], vcc
	s_cbranch_execz .LBB4_6599
; %bb.6598:                             ;   in Loop: Header=BB4_6462 Depth=3
	v_and_b32_e32 v5, 7, v24
	v_lshrrev_b32_e32 v7, 3, v0
	v_cmp_gt_u32_e32 vcc, 8, v0
	v_ffbh_u32_e32 v0, v5
	v_min_u32_e32 v25, 32, v0
	v_subrev_u32_e32 v0, 28, v25
	v_lshlrev_b64 v[0:1], v0, v[24:25]
	v_sub_u32_e32 v1, 29, v25
	v_and_b32_e32 v0, 7, v0
	v_cndmask_b32_e32 v1, v7, v1, vcc
	v_cndmask_b32_e32 v0, v5, v0, vcc
	v_lshlrev_b32_e32 v5, 24, v24
	v_lshlrev_b32_e32 v0, 20, v0
	v_and_b32_e32 v5, 0x80000000, v5
	v_lshl_add_u32 v1, v1, 23, v54
	v_or3_b32 v1, v5, v1, v0
.LBB4_6599:                             ;   in Loop: Header=BB4_6462 Depth=3
	s_or_b64 exec, exec, s[48:49]
.LBB4_6600:                             ;   in Loop: Header=BB4_6462 Depth=3
	s_or_b64 exec, exec, s[38:39]
.LBB4_6601:                             ;   in Loop: Header=BB4_6462 Depth=3
	s_or_b64 exec, exec, s[40:41]
	v_cmp_lt_u32_e32 vcc, s63, v16
	s_and_saveexec_b64 s[40:41], vcc
	s_cbranch_execz .LBB4_6607
; %bb.6602:                             ;   in Loop: Header=BB4_6462 Depth=3
	v_cmp_ne_u32_e32 vcc, s80, v2
	v_bfrev_b32_e32 v6, 1
	s_and_saveexec_b64 s[38:39], vcc
	s_cbranch_execz .LBB4_6606
; %bb.6603:                             ;   in Loop: Header=BB4_6462 Depth=3
	v_bfe_u32 v0, v16, 24, 7
	v_cmp_ne_u32_e32 vcc, s81, v0
	v_mov_b32_e32 v6, 0x7f800001
	s_and_saveexec_b64 s[48:49], vcc
	s_cbranch_execz .LBB4_6605
; %bb.6604:                             ;   in Loop: Header=BB4_6462 Depth=3
	v_and_b32_e32 v7, 7, v2
	v_lshrrev_b32_e32 v25, 3, v0
	v_cmp_gt_u32_e32 vcc, 8, v0
	v_ffbh_u32_e32 v0, v7
	v_min_u32_e32 v0, 32, v0
	v_subrev_u32_e32 v5, 28, v0
	v_lshlrev_b64 v[5:6], v5, v[2:3]
	v_sub_u32_e32 v0, 29, v0
	v_and_b32_e32 v5, 7, v5
	v_cndmask_b32_e32 v0, v25, v0, vcc
	v_cndmask_b32_e32 v5, v7, v5, vcc
	v_lshlrev_b32_e32 v6, 24, v2
	v_lshlrev_b32_e32 v5, 20, v5
	v_and_b32_e32 v6, 0x80000000, v6
	v_lshl_add_u32 v0, v0, 23, v54
	v_or3_b32 v6, v6, v0, v5
.LBB4_6605:                             ;   in Loop: Header=BB4_6462 Depth=3
	s_or_b64 exec, exec, s[48:49]
.LBB4_6606:                             ;   in Loop: Header=BB4_6462 Depth=3
	s_or_b64 exec, exec, s[38:39]
.LBB4_6607:                             ;   in Loop: Header=BB4_6462 Depth=3
	s_or_b64 exec, exec, s[40:41]
	v_max_f32_e32 v0, v6, v6
	v_max_f32_e32 v1, v1, v1
	;; [unrolled: 1-line block ×3, first 2 shown]
	s_mov_b64 s[40:41], 0
.LBB4_6608:                             ;   in Loop: Header=BB4_6462 Depth=3
	s_and_b64 vcc, exec, s[40:41]
	s_cbranch_vccz .LBB4_6622
; %bb.6609:                             ;   in Loop: Header=BB4_6462 Depth=3
	v_mov_b32_e32 v6, 0
	v_mov_b32_e32 v1, 0
	s_and_saveexec_b64 s[40:41], s[28:29]
	s_cbranch_execz .LBB4_6615
; %bb.6610:                             ;   in Loop: Header=BB4_6462 Depth=3
	v_cmp_ne_u32_e32 vcc, s80, v24
	v_bfrev_b32_e32 v1, 1
	s_and_saveexec_b64 s[28:29], vcc
	s_cbranch_execz .LBB4_6614
; %bb.6611:                             ;   in Loop: Header=BB4_6462 Depth=3
	v_bfe_u32 v0, v20, 24, 7
	v_cmp_ne_u32_e32 vcc, s81, v0
	v_mov_b32_e32 v1, 0x7f800001
	s_and_saveexec_b64 s[38:39], vcc
	s_cbranch_execz .LBB4_6613
; %bb.6612:                             ;   in Loop: Header=BB4_6462 Depth=3
	v_and_b32_e32 v5, 7, v24
	v_lshrrev_b32_e32 v7, 3, v0
	v_cmp_gt_u32_e32 vcc, 8, v0
	v_ffbh_u32_e32 v0, v5
	v_min_u32_e32 v25, 32, v0
	v_subrev_u32_e32 v0, 28, v25
	v_lshlrev_b64 v[0:1], v0, v[24:25]
	v_sub_u32_e32 v1, 29, v25
	v_and_b32_e32 v0, 7, v0
	v_cndmask_b32_e32 v1, v7, v1, vcc
	v_cndmask_b32_e32 v0, v5, v0, vcc
	v_lshlrev_b32_e32 v5, 24, v24
	v_lshlrev_b32_e32 v0, 20, v0
	v_and_b32_e32 v5, 0x80000000, v5
	v_lshl_add_u32 v1, v1, 23, v54
	v_or3_b32 v1, v5, v1, v0
.LBB4_6613:                             ;   in Loop: Header=BB4_6462 Depth=3
	s_or_b64 exec, exec, s[38:39]
.LBB4_6614:                             ;   in Loop: Header=BB4_6462 Depth=3
	s_or_b64 exec, exec, s[28:29]
.LBB4_6615:                             ;   in Loop: Header=BB4_6462 Depth=3
	s_or_b64 exec, exec, s[40:41]
	v_cmp_lt_u32_e32 vcc, s63, v16
	s_and_saveexec_b64 s[28:29], vcc
	s_cbranch_execz .LBB4_6621
; %bb.6616:                             ;   in Loop: Header=BB4_6462 Depth=3
	v_cmp_ne_u32_e32 vcc, s80, v2
	v_bfrev_b32_e32 v6, 1
	s_and_saveexec_b64 s[40:41], vcc
	s_cbranch_execz .LBB4_6620
; %bb.6617:                             ;   in Loop: Header=BB4_6462 Depth=3
	v_bfe_u32 v0, v16, 24, 7
	v_cmp_ne_u32_e32 vcc, s81, v0
	v_mov_b32_e32 v6, 0x7f800001
	s_and_saveexec_b64 s[38:39], vcc
	s_cbranch_execz .LBB4_6619
; %bb.6618:                             ;   in Loop: Header=BB4_6462 Depth=3
	v_and_b32_e32 v7, 7, v2
	v_lshrrev_b32_e32 v24, 3, v0
	v_cmp_gt_u32_e32 vcc, 8, v0
	v_ffbh_u32_e32 v0, v7
	v_min_u32_e32 v0, 32, v0
	v_subrev_u32_e32 v5, 28, v0
	v_lshlrev_b64 v[5:6], v5, v[2:3]
	v_sub_u32_e32 v0, 29, v0
	v_and_b32_e32 v5, 7, v5
	v_cndmask_b32_e32 v0, v24, v0, vcc
	v_cndmask_b32_e32 v5, v7, v5, vcc
	v_lshlrev_b32_e32 v2, 24, v2
	v_lshlrev_b32_e32 v5, 20, v5
	v_and_b32_e32 v2, 0x80000000, v2
	v_lshl_add_u32 v0, v0, 23, v54
	v_or3_b32 v6, v2, v0, v5
.LBB4_6619:                             ;   in Loop: Header=BB4_6462 Depth=3
	s_or_b64 exec, exec, s[38:39]
.LBB4_6620:                             ;   in Loop: Header=BB4_6462 Depth=3
	s_or_b64 exec, exec, s[40:41]
.LBB4_6621:                             ;   in Loop: Header=BB4_6462 Depth=3
	s_or_b64 exec, exec, s[28:29]
	v_max_f32_e32 v0, v6, v6
	v_max_f32_e32 v1, v1, v1
	v_min_f32_e32 v6, v1, v0
.LBB4_6622:                             ;   in Loop: Header=BB4_6462 Depth=3
	v_and_b32_e32 v2, 0x7f800000, v6
	v_cmp_ne_u64_e32 vcc, s[76:77], v[2:3]
                                        ; implicit-def: $vgpr41
	s_and_saveexec_b64 s[28:29], vcc
	s_xor_b64 s[40:41], exec, s[28:29]
	s_cbranch_execz .LBB4_6636
; %bb.6623:                             ;   in Loop: Header=BB4_6462 Depth=3
	v_and_b32_e32 v2, 0x7fffffff, v6
	v_cmp_gt_u64_e32 vcc, s[78:79], v[2:3]
	v_and_b32_sdwa v1, v6, s80 dst_sel:DWORD dst_unused:UNUSED_PAD src0_sel:BYTE_3 src1_sel:DWORD
                                        ; implicit-def: $vgpr41
	s_and_saveexec_b64 s[28:29], vcc
	s_xor_b64 s[38:39], exec, s[28:29]
	s_cbranch_execz .LBB4_6633
; %bb.6624:                             ;   in Loop: Header=BB4_6462 Depth=3
	v_mov_b32_e32 v41, 0
	v_cmp_ne_u32_e32 vcc, 0, v6
	s_and_saveexec_b64 s[48:49], vcc
	s_cbranch_execz .LBB4_6632
; %bb.6625:                             ;   in Loop: Header=BB4_6462 Depth=3
	v_and_b32_e32 v0, 0x7fffff, v6
	v_bfe_u32 v6, v6, 23, 8
	v_cmp_gt_u32_e64 s[28:29], s83, v6
	v_sub_u32_e32 v2, 0x79, v6
	v_cmp_eq_u32_e32 vcc, 0, v6
	v_cndmask_b32_e64 v2, 0, v2, s[28:29]
	v_mov_b32_e32 v7, 0x78
	v_or_b32_e32 v5, 0x800000, v0
	v_cndmask_b32_e32 v34, v2, v7, vcc
	v_cndmask_b32_e32 v2, v5, v0, vcc
	v_add_u32_e32 v0, 20, v34
	v_lshlrev_b64 v[24:25], v0, -1
	v_add_u32_e32 v0, 19, v34
	v_lshlrev_b64 v[35:36], v0, 1
	v_bfi_b32 v25, v25, 0, 0
	v_bfi_b32 v24, v24, 0, v2
	v_cmp_eq_u64_e64 s[28:29], v[24:25], v[35:36]
	v_lshrrev_b64 v[24:25], v34, v[2:3]
	v_mov_b32_e32 v51, v25
	v_mov_b32_e32 v50, v24
	s_and_saveexec_b64 s[50:51], s[28:29]
; %bb.6626:                             ;   in Loop: Header=BB4_6462 Depth=3
	v_bfe_u32 v0, v24, 20, 1
	v_add_co_u32_e64 v0, s[28:29], v24, v0
	v_add_co_u32_e64 v50, s[28:29], -1, v0
; %bb.6627:                             ;   in Loop: Header=BB4_6462 Depth=3
	s_or_b64 exec, exec, s[50:51]
	v_add_u32_e32 v0, 0xffffff81, v6
	v_mov_b32_e32 v2, 0xffffff82
	v_cndmask_b32_e32 v0, v0, v2, vcc
	v_lshrrev_b32_e32 v2, 23, v24
	v_add3_u32 v5, v34, v0, v2
	v_add_u32_e32 v0, 6, v5
	v_and_b32_e32 v2, 0xfffff, v50
	v_add_u32_e32 v2, v2, v24
	v_cmp_ne_u32_e32 vcc, 0, v0
                                        ; implicit-def: $vgpr24_vgpr25
                                        ; implicit-def: $vgpr6
	s_and_saveexec_b64 s[28:29], vcc
	s_xor_b64 s[28:29], exec, s[28:29]
; %bb.6628:                             ;   in Loop: Header=BB4_6462 Depth=3
	v_cmp_lt_u64_e32 vcc, s[88:89], v[2:3]
	v_add_u32_e32 v5, 7, v5
	v_cndmask_b32_e32 v6, v0, v5, vcc
	v_cndmask_b32_e64 v0, 0, 1, vcc
	v_lshrrev_b64 v[24:25], v0, v[2:3]
; %bb.6629:                             ;   in Loop: Header=BB4_6462 Depth=3
	s_andn2_saveexec_b64 s[28:29], s[28:29]
; %bb.6630:                             ;   in Loop: Header=BB4_6462 Depth=3
	v_mov_b32_e32 v25, v3
	v_bfe_u32 v6, v2, 23, 1
	v_mov_b32_e32 v24, v2
; %bb.6631:                             ;   in Loop: Header=BB4_6462 Depth=3
	s_or_b64 exec, exec, s[28:29]
	v_lshrrev_b64 v[24:25], 20, v[24:25]
	v_cmp_gt_i32_e32 vcc, 16, v6
	v_cndmask_b32_e32 v25, 0, v25, vcc
	v_cndmask_b32_e32 v24, 7, v24, vcc
	v_min_i32_e32 v0, 15, v6
	v_cmp_eq_u64_e64 s[28:29], 0, v[24:25]
	v_lshlrev_b32_e32 v0, 3, v0
	v_cmp_eq_u32_e32 vcc, 0, v6
	v_and_b32_e32 v0, 0xf8, v0
	v_and_or_b32 v0, v24, 7, v0
	s_and_b64 s[28:29], vcc, s[28:29]
	v_cndmask_b32_e64 v0, v0, 0, s[28:29]
	v_or_b32_e32 v41, v0, v1
.LBB4_6632:                             ;   in Loop: Header=BB4_6462 Depth=3
	s_or_b64 exec, exec, s[48:49]
                                        ; implicit-def: $vgpr1
.LBB4_6633:                             ;   in Loop: Header=BB4_6462 Depth=3
	s_andn2_saveexec_b64 s[28:29], s[38:39]
; %bb.6634:                             ;   in Loop: Header=BB4_6462 Depth=3
	v_or_b32_e32 v41, 0x7e, v1
; %bb.6635:                             ;   in Loop: Header=BB4_6462 Depth=3
	s_or_b64 exec, exec, s[28:29]
                                        ; implicit-def: $vgpr6
.LBB4_6636:                             ;   in Loop: Header=BB4_6462 Depth=3
	s_andn2_saveexec_b64 s[28:29], s[40:41]
; %bb.6637:                             ;   in Loop: Header=BB4_6462 Depth=3
	v_or_b32_sdwa v41, v6, s81 dst_sel:DWORD dst_unused:UNUSED_PAD src0_sel:BYTE_3 src1_sel:DWORD
; %bb.6638:                             ;   in Loop: Header=BB4_6462 Depth=3
	s_or_b64 exec, exec, s[28:29]
	v_mov_b32_e32 v2, v21
	v_mov_b32_e32 v24, v17
	;; [unrolled: 1-line block ×3, first 2 shown]
	v_cmp_ne_u16_sdwa s[28:29], v21, v3 src0_sel:BYTE_0 src1_sel:DWORD
	s_mov_b64 s[40:41], -1
	s_and_b64 vcc, exec, s[46:47]
                                        ; implicit-def: $vgpr6
	s_cbranch_vccz .LBB4_6652
; %bb.6639:                             ;   in Loop: Header=BB4_6462 Depth=3
	v_mov_b32_e32 v6, 0
	v_mov_b32_e32 v1, 0
	s_and_saveexec_b64 s[40:41], s[28:29]
	s_cbranch_execz .LBB4_6645
; %bb.6640:                             ;   in Loop: Header=BB4_6462 Depth=3
	v_cmp_ne_u16_sdwa vcc, v21, s80 src0_sel:BYTE_0 src1_sel:DWORD
	v_bfrev_b32_e32 v1, 1
	s_and_saveexec_b64 s[38:39], vcc
	s_cbranch_execz .LBB4_6644
; %bb.6641:                             ;   in Loop: Header=BB4_6462 Depth=3
	v_and_b32_e32 v0, 0x7f, v21
	v_cmp_ne_u32_e32 vcc, s81, v0
	v_mov_b32_e32 v1, 0x7f800001
	s_and_saveexec_b64 s[48:49], vcc
	s_cbranch_execz .LBB4_6643
; %bb.6642:                             ;   in Loop: Header=BB4_6462 Depth=3
	v_and_b32_e32 v1, 7, v21
	v_lshrrev_b32_e32 v5, 3, v0
	v_cmp_gt_u32_e32 vcc, 8, v0
	v_ffbh_u32_e32 v0, v1
	v_min_u32_e32 v0, 32, v0
	v_subrev_u32_e32 v1, 28, v0
	v_sub_u32_e32 v0, 29, v0
	v_cndmask_b32_e32 v5, v5, v0, vcc
	v_cndmask_b32_e32 v0, 0, v1, vcc
	v_lshlrev_b64 v[0:1], v0, v[2:3]
	v_lshlrev_b32_e32 v1, 24, v2
	v_lshlrev_b32_e32 v0, 20, v0
	v_and_b32_e32 v0, 0x700000, v0
	v_and_b32_e32 v1, 0x80000000, v1
	v_lshl_add_u32 v5, v5, 23, v54
	v_or3_b32 v1, v1, v5, v0
.LBB4_6643:                             ;   in Loop: Header=BB4_6462 Depth=3
	s_or_b64 exec, exec, s[48:49]
.LBB4_6644:                             ;   in Loop: Header=BB4_6462 Depth=3
	s_or_b64 exec, exec, s[38:39]
.LBB4_6645:                             ;   in Loop: Header=BB4_6462 Depth=3
	s_or_b64 exec, exec, s[40:41]
	v_cmp_ne_u16_sdwa vcc, v17, v3 src0_sel:BYTE_0 src1_sel:DWORD
	s_and_saveexec_b64 s[40:41], vcc
	s_cbranch_execz .LBB4_6651
; %bb.6646:                             ;   in Loop: Header=BB4_6462 Depth=3
	v_cmp_ne_u16_sdwa vcc, v17, s80 src0_sel:BYTE_0 src1_sel:DWORD
	v_bfrev_b32_e32 v6, 1
	s_and_saveexec_b64 s[38:39], vcc
	s_cbranch_execz .LBB4_6650
; %bb.6647:                             ;   in Loop: Header=BB4_6462 Depth=3
	v_and_b32_e32 v0, 0x7f, v17
	v_cmp_ne_u32_e32 vcc, s81, v0
	v_mov_b32_e32 v6, 0x7f800001
	s_and_saveexec_b64 s[48:49], vcc
	s_cbranch_execz .LBB4_6649
; %bb.6648:                             ;   in Loop: Header=BB4_6462 Depth=3
	v_and_b32_e32 v5, 7, v17
	v_lshrrev_b32_e32 v6, 3, v0
	v_cmp_gt_u32_e32 vcc, 8, v0
	v_ffbh_u32_e32 v0, v5
	v_min_u32_e32 v0, 32, v0
	v_subrev_u32_e32 v5, 28, v0
	v_sub_u32_e32 v0, 29, v0
	v_cndmask_b32_e32 v5, 0, v5, vcc
	v_cndmask_b32_e32 v0, v6, v0, vcc
	v_lshlrev_b64 v[5:6], v5, v[24:25]
	v_lshlrev_b32_e32 v6, 24, v24
	v_lshlrev_b32_e32 v5, 20, v5
	v_and_b32_e32 v5, 0x700000, v5
	v_and_b32_e32 v6, 0x80000000, v6
	v_lshl_add_u32 v0, v0, 23, v54
	v_or3_b32 v6, v6, v0, v5
.LBB4_6649:                             ;   in Loop: Header=BB4_6462 Depth=3
	s_or_b64 exec, exec, s[48:49]
.LBB4_6650:                             ;   in Loop: Header=BB4_6462 Depth=3
	s_or_b64 exec, exec, s[38:39]
.LBB4_6651:                             ;   in Loop: Header=BB4_6462 Depth=3
	s_or_b64 exec, exec, s[40:41]
	v_max_f32_e32 v0, v6, v6
	v_max_f32_e32 v1, v1, v1
	;; [unrolled: 1-line block ×3, first 2 shown]
	s_mov_b64 s[40:41], 0
.LBB4_6652:                             ;   in Loop: Header=BB4_6462 Depth=3
	s_and_b64 vcc, exec, s[40:41]
	s_cbranch_vccz .LBB4_6666
; %bb.6653:                             ;   in Loop: Header=BB4_6462 Depth=3
	v_mov_b32_e32 v6, 0
	v_mov_b32_e32 v1, 0
	s_and_saveexec_b64 s[40:41], s[28:29]
	s_cbranch_execz .LBB4_6659
; %bb.6654:                             ;   in Loop: Header=BB4_6462 Depth=3
	v_cmp_ne_u16_sdwa vcc, v21, s80 src0_sel:BYTE_0 src1_sel:DWORD
	v_bfrev_b32_e32 v1, 1
	s_and_saveexec_b64 s[28:29], vcc
	s_cbranch_execz .LBB4_6658
; %bb.6655:                             ;   in Loop: Header=BB4_6462 Depth=3
	v_and_b32_e32 v0, 0x7f, v21
	v_cmp_ne_u32_e32 vcc, s81, v0
	v_mov_b32_e32 v1, 0x7f800001
	s_and_saveexec_b64 s[38:39], vcc
	s_cbranch_execz .LBB4_6657
; %bb.6656:                             ;   in Loop: Header=BB4_6462 Depth=3
	v_and_b32_e32 v1, 7, v21
	v_lshrrev_b32_e32 v5, 3, v0
	v_cmp_gt_u32_e32 vcc, 8, v0
	v_ffbh_u32_e32 v0, v1
	v_min_u32_e32 v0, 32, v0
	v_subrev_u32_e32 v1, 28, v0
	v_sub_u32_e32 v0, 29, v0
	v_cndmask_b32_e32 v5, v5, v0, vcc
	v_cndmask_b32_e32 v0, 0, v1, vcc
	v_lshlrev_b64 v[0:1], v0, v[2:3]
	v_lshlrev_b32_e32 v1, 24, v2
	v_lshlrev_b32_e32 v0, 20, v0
	v_and_b32_e32 v0, 0x700000, v0
	v_and_b32_e32 v1, 0x80000000, v1
	v_lshl_add_u32 v5, v5, 23, v54
	v_or3_b32 v1, v1, v5, v0
.LBB4_6657:                             ;   in Loop: Header=BB4_6462 Depth=3
	s_or_b64 exec, exec, s[38:39]
.LBB4_6658:                             ;   in Loop: Header=BB4_6462 Depth=3
	s_or_b64 exec, exec, s[28:29]
.LBB4_6659:                             ;   in Loop: Header=BB4_6462 Depth=3
	s_or_b64 exec, exec, s[40:41]
	v_cmp_ne_u16_sdwa s[40:41], v17, v3 src0_sel:BYTE_0 src1_sel:DWORD
	s_and_saveexec_b64 s[28:29], s[40:41]
	s_cbranch_execz .LBB4_6665
; %bb.6660:                             ;   in Loop: Header=BB4_6462 Depth=3
	v_cmp_ne_u16_sdwa vcc, v17, s80 src0_sel:BYTE_0 src1_sel:DWORD
	v_bfrev_b32_e32 v6, 1
	s_and_saveexec_b64 s[40:41], vcc
	s_cbranch_execz .LBB4_6664
; %bb.6661:                             ;   in Loop: Header=BB4_6462 Depth=3
	v_and_b32_e32 v0, 0x7f, v17
	v_cmp_ne_u32_e32 vcc, s81, v0
	v_mov_b32_e32 v6, 0x7f800001
	s_and_saveexec_b64 s[38:39], vcc
	s_cbranch_execz .LBB4_6663
; %bb.6662:                             ;   in Loop: Header=BB4_6462 Depth=3
	v_and_b32_e32 v5, 7, v17
	v_lshrrev_b32_e32 v6, 3, v0
	v_cmp_gt_u32_e32 vcc, 8, v0
	v_ffbh_u32_e32 v0, v5
	v_min_u32_e32 v0, 32, v0
	v_subrev_u32_e32 v5, 28, v0
	v_sub_u32_e32 v0, 29, v0
	v_cndmask_b32_e32 v5, 0, v5, vcc
	v_cndmask_b32_e32 v0, v6, v0, vcc
	v_lshlrev_b64 v[5:6], v5, v[24:25]
	v_lshlrev_b32_e32 v6, 24, v24
	v_lshlrev_b32_e32 v5, 20, v5
	v_and_b32_e32 v5, 0x700000, v5
	v_and_b32_e32 v6, 0x80000000, v6
	v_lshl_add_u32 v0, v0, 23, v54
	v_or3_b32 v6, v6, v0, v5
.LBB4_6663:                             ;   in Loop: Header=BB4_6462 Depth=3
	s_or_b64 exec, exec, s[38:39]
.LBB4_6664:                             ;   in Loop: Header=BB4_6462 Depth=3
	s_or_b64 exec, exec, s[40:41]
.LBB4_6665:                             ;   in Loop: Header=BB4_6462 Depth=3
	s_or_b64 exec, exec, s[28:29]
	v_max_f32_e32 v0, v6, v6
	v_max_f32_e32 v1, v1, v1
	v_min_f32_e32 v6, v1, v0
.LBB4_6666:                             ;   in Loop: Header=BB4_6462 Depth=3
	v_and_b32_e32 v0, 0x7f800000, v6
	v_mov_b32_e32 v1, v3
	v_cmp_ne_u64_e32 vcc, s[76:77], v[0:1]
                                        ; implicit-def: $vgpr7
	s_and_saveexec_b64 s[28:29], vcc
	s_xor_b64 s[40:41], exec, s[28:29]
	s_cbranch_execz .LBB4_6680
; %bb.6667:                             ;   in Loop: Header=BB4_6462 Depth=3
	v_and_b32_e32 v0, 0x7fffffff, v6
	v_mov_b32_e32 v1, v3
	v_cmp_gt_u64_e32 vcc, s[78:79], v[0:1]
	v_and_b32_sdwa v1, v6, s80 dst_sel:DWORD dst_unused:UNUSED_PAD src0_sel:BYTE_3 src1_sel:DWORD
                                        ; implicit-def: $vgpr7
	s_and_saveexec_b64 s[28:29], vcc
	s_xor_b64 s[38:39], exec, s[28:29]
	s_cbranch_execz .LBB4_6677
; %bb.6668:                             ;   in Loop: Header=BB4_6462 Depth=3
	v_mov_b32_e32 v7, 0
	v_cmp_ne_u32_e32 vcc, 0, v6
	s_and_saveexec_b64 s[48:49], vcc
	s_cbranch_execz .LBB4_6676
; %bb.6669:                             ;   in Loop: Header=BB4_6462 Depth=3
	v_and_b32_e32 v0, 0x7fffff, v6
	v_bfe_u32 v6, v6, 23, 8
	v_cmp_gt_u32_e64 s[28:29], s83, v6
	v_sub_u32_e32 v5, 0x79, v6
	v_cmp_eq_u32_e32 vcc, 0, v6
	v_cndmask_b32_e64 v5, 0, v5, s[28:29]
	v_mov_b32_e32 v25, 0x78
	v_or_b32_e32 v7, 0x800000, v0
	v_cndmask_b32_e32 v25, v5, v25, vcc
	v_cndmask_b32_e32 v34, v7, v0, vcc
	v_add_u32_e32 v0, 20, v25
	v_lshlrev_b64 v[50:51], v0, -1
	v_add_u32_e32 v0, 19, v25
	v_lshlrev_b64 v[42:43], v0, 1
	v_mov_b32_e32 v35, v3
	v_bfi_b32 v51, v51, 0, 0
	v_bfi_b32 v50, v50, 0, v34
	v_cmp_eq_u64_e64 s[28:29], v[50:51], v[42:43]
	v_lshrrev_b64 v[50:51], v25, v[34:35]
	v_mov_b32_e32 v59, v51
	v_mov_b32_e32 v58, v50
	s_and_saveexec_b64 s[50:51], s[28:29]
; %bb.6670:                             ;   in Loop: Header=BB4_6462 Depth=3
	v_bfe_u32 v0, v50, 20, 1
	v_add_co_u32_e64 v0, s[28:29], v50, v0
	v_add_co_u32_e64 v58, s[28:29], -1, v0
; %bb.6671:                             ;   in Loop: Header=BB4_6462 Depth=3
	s_or_b64 exec, exec, s[50:51]
	v_add_u32_e32 v0, 0xffffff81, v6
	v_mov_b32_e32 v5, 0xffffff82
	v_cndmask_b32_e32 v0, v0, v5, vcc
	v_lshrrev_b32_e32 v5, 23, v50
	v_add3_u32 v5, v25, v0, v5
	v_add_u32_e32 v0, 6, v5
	v_and_b32_e32 v6, 0xfffff, v58
	v_add_u32_e32 v58, v6, v50
	v_mov_b32_e32 v59, v3
	v_cmp_ne_u32_e32 vcc, 0, v0
                                        ; implicit-def: $vgpr6
	s_and_saveexec_b64 s[28:29], vcc
	s_xor_b64 s[28:29], exec, s[28:29]
; %bb.6672:                             ;   in Loop: Header=BB4_6462 Depth=3
	v_cmp_lt_u64_e32 vcc, s[88:89], v[58:59]
	v_add_u32_e32 v5, 7, v5
	v_cndmask_b32_e32 v6, v0, v5, vcc
	v_cndmask_b32_e64 v0, 0, 1, vcc
	v_lshrrev_b64 v[58:59], v0, v[58:59]
; %bb.6673:                             ;   in Loop: Header=BB4_6462 Depth=3
	s_andn2_saveexec_b64 s[28:29], s[28:29]
; %bb.6674:                             ;   in Loop: Header=BB4_6462 Depth=3
	v_bfe_u32 v6, v58, 23, 1
; %bb.6675:                             ;   in Loop: Header=BB4_6462 Depth=3
	s_or_b64 exec, exec, s[28:29]
	v_lshrrev_b64 v[34:35], 20, v[58:59]
	v_cmp_gt_i32_e32 vcc, 16, v6
	v_cndmask_b32_e32 v35, 0, v35, vcc
	v_cndmask_b32_e32 v34, 7, v34, vcc
	v_min_i32_e32 v0, 15, v6
	v_cmp_eq_u64_e64 s[28:29], 0, v[34:35]
	v_lshlrev_b32_e32 v0, 3, v0
	v_cmp_eq_u32_e32 vcc, 0, v6
	v_and_b32_e32 v0, 0xf8, v0
	v_and_or_b32 v0, v34, 7, v0
	s_and_b64 s[28:29], vcc, s[28:29]
	v_cndmask_b32_e64 v0, v0, 0, s[28:29]
	v_or_b32_e32 v7, v0, v1
.LBB4_6676:                             ;   in Loop: Header=BB4_6462 Depth=3
	s_or_b64 exec, exec, s[48:49]
                                        ; implicit-def: $vgpr1
.LBB4_6677:                             ;   in Loop: Header=BB4_6462 Depth=3
	s_andn2_saveexec_b64 s[28:29], s[38:39]
; %bb.6678:                             ;   in Loop: Header=BB4_6462 Depth=3
	v_or_b32_e32 v7, 0x7e, v1
; %bb.6679:                             ;   in Loop: Header=BB4_6462 Depth=3
	s_or_b64 exec, exec, s[28:29]
                                        ; implicit-def: $vgpr6
.LBB4_6680:                             ;   in Loop: Header=BB4_6462 Depth=3
	s_andn2_saveexec_b64 s[28:29], s[40:41]
; %bb.6681:                             ;   in Loop: Header=BB4_6462 Depth=3
	v_or_b32_sdwa v7, v6, s81 dst_sel:DWORD dst_unused:UNUSED_PAD src0_sel:BYTE_3 src1_sel:DWORD
; %bb.6682:                             ;   in Loop: Header=BB4_6462 Depth=3
	s_or_b64 exec, exec, s[28:29]
	v_lshrrev_b16_e32 v47, 8, v2
	v_lshrrev_b16_e32 v25, 8, v24
	v_cmp_ne_u16_e64 s[28:29], 0, v47
	s_mov_b64 s[40:41], -1
	s_and_b64 vcc, exec, s[46:47]
                                        ; implicit-def: $vgpr6
	s_cbranch_vccz .LBB4_6696
; %bb.6683:                             ;   in Loop: Header=BB4_6462 Depth=3
	v_mov_b32_e32 v6, 0
	v_mov_b32_e32 v1, 0
	s_and_saveexec_b64 s[40:41], s[28:29]
	s_cbranch_execz .LBB4_6689
; %bb.6684:                             ;   in Loop: Header=BB4_6462 Depth=3
	v_cmp_ne_u16_e32 vcc, s80, v47
	v_bfrev_b32_e32 v1, 1
	s_and_saveexec_b64 s[38:39], vcc
	s_cbranch_execz .LBB4_6688
; %bb.6685:                             ;   in Loop: Header=BB4_6462 Depth=3
	v_and_b32_e32 v0, 0x7f, v47
	v_cmp_ne_u32_e32 vcc, s81, v0
	v_mov_b32_e32 v1, 0x7f800001
	s_and_saveexec_b64 s[48:49], vcc
	s_cbranch_execz .LBB4_6687
; %bb.6686:                             ;   in Loop: Header=BB4_6462 Depth=3
	v_and_b32_e32 v5, 7, v47
	v_lshrrev_b32_e32 v34, 3, v0
	v_cmp_gt_u32_e32 vcc, 8, v0
	v_ffbh_u32_e32 v0, v5
	v_min_u32_e32 v35, 32, v0
	v_subrev_u32_e32 v0, 28, v35
	v_lshlrev_b64 v[0:1], v0, v[47:48]
	v_sub_u32_e32 v1, 29, v35
	v_and_b32_e32 v0, 7, v0
	v_cndmask_b32_e32 v1, v34, v1, vcc
	v_cndmask_b32_e32 v0, v5, v0, vcc
	v_lshlrev_b32_e32 v5, 16, v2
	v_lshlrev_b32_e32 v0, 20, v0
	v_and_b32_e32 v5, 0x80000000, v5
	v_lshl_add_u32 v1, v1, 23, v54
	v_or3_b32 v1, v5, v1, v0
.LBB4_6687:                             ;   in Loop: Header=BB4_6462 Depth=3
	s_or_b64 exec, exec, s[48:49]
.LBB4_6688:                             ;   in Loop: Header=BB4_6462 Depth=3
	s_or_b64 exec, exec, s[38:39]
.LBB4_6689:                             ;   in Loop: Header=BB4_6462 Depth=3
	s_or_b64 exec, exec, s[40:41]
	v_cmp_ne_u16_e32 vcc, 0, v25
	s_and_saveexec_b64 s[40:41], vcc
	s_cbranch_execz .LBB4_6695
; %bb.6690:                             ;   in Loop: Header=BB4_6462 Depth=3
	v_cmp_ne_u16_e32 vcc, s80, v25
	v_bfrev_b32_e32 v6, 1
	s_and_saveexec_b64 s[38:39], vcc
	s_cbranch_execz .LBB4_6694
; %bb.6691:                             ;   in Loop: Header=BB4_6462 Depth=3
	v_and_b32_e32 v0, 0x7f, v25
	v_cmp_ne_u32_e32 vcc, s81, v0
	v_mov_b32_e32 v6, 0x7f800001
	s_and_saveexec_b64 s[48:49], vcc
	s_cbranch_execz .LBB4_6693
; %bb.6692:                             ;   in Loop: Header=BB4_6462 Depth=3
	v_and_b32_e32 v34, 7, v25
	v_lshrrev_b32_e32 v35, 3, v0
	v_cmp_gt_u32_e32 vcc, 8, v0
	v_ffbh_u32_e32 v0, v34
	v_min_u32_e32 v0, 32, v0
	v_subrev_u32_e32 v5, 28, v0
	v_lshlrev_b64 v[5:6], v5, v[25:26]
	v_sub_u32_e32 v0, 29, v0
	v_and_b32_e32 v5, 7, v5
	v_cndmask_b32_e32 v0, v35, v0, vcc
	v_cndmask_b32_e32 v5, v34, v5, vcc
	v_lshlrev_b32_e32 v6, 16, v24
	v_lshlrev_b32_e32 v5, 20, v5
	v_and_b32_e32 v6, 0x80000000, v6
	v_lshl_add_u32 v0, v0, 23, v54
	v_or3_b32 v6, v6, v0, v5
.LBB4_6693:                             ;   in Loop: Header=BB4_6462 Depth=3
	s_or_b64 exec, exec, s[48:49]
.LBB4_6694:                             ;   in Loop: Header=BB4_6462 Depth=3
	s_or_b64 exec, exec, s[38:39]
.LBB4_6695:                             ;   in Loop: Header=BB4_6462 Depth=3
	s_or_b64 exec, exec, s[40:41]
	v_max_f32_e32 v0, v6, v6
	v_max_f32_e32 v1, v1, v1
	;; [unrolled: 1-line block ×3, first 2 shown]
	s_mov_b64 s[40:41], 0
.LBB4_6696:                             ;   in Loop: Header=BB4_6462 Depth=3
	s_and_b64 vcc, exec, s[40:41]
	s_cbranch_vccz .LBB4_6710
; %bb.6697:                             ;   in Loop: Header=BB4_6462 Depth=3
	v_mov_b32_e32 v6, 0
	v_mov_b32_e32 v1, 0
	s_and_saveexec_b64 s[40:41], s[28:29]
	s_cbranch_execz .LBB4_6703
; %bb.6698:                             ;   in Loop: Header=BB4_6462 Depth=3
	v_cmp_ne_u16_e32 vcc, s80, v47
	v_bfrev_b32_e32 v1, 1
	s_and_saveexec_b64 s[28:29], vcc
	s_cbranch_execz .LBB4_6702
; %bb.6699:                             ;   in Loop: Header=BB4_6462 Depth=3
	v_and_b32_e32 v0, 0x7f, v47
	v_cmp_ne_u32_e32 vcc, s81, v0
	v_mov_b32_e32 v1, 0x7f800001
	s_and_saveexec_b64 s[38:39], vcc
	s_cbranch_execz .LBB4_6701
; %bb.6700:                             ;   in Loop: Header=BB4_6462 Depth=3
	v_and_b32_e32 v5, 7, v47
	v_lshrrev_b32_e32 v34, 3, v0
	v_cmp_gt_u32_e32 vcc, 8, v0
	v_ffbh_u32_e32 v0, v5
	v_min_u32_e32 v35, 32, v0
	v_subrev_u32_e32 v0, 28, v35
	v_lshlrev_b64 v[0:1], v0, v[47:48]
	v_sub_u32_e32 v1, 29, v35
	v_and_b32_e32 v0, 7, v0
	v_cndmask_b32_e32 v1, v34, v1, vcc
	v_cndmask_b32_e32 v0, v5, v0, vcc
	v_lshlrev_b32_e32 v2, 16, v2
	v_lshlrev_b32_e32 v0, 20, v0
	v_and_b32_e32 v2, 0x80000000, v2
	v_lshl_add_u32 v1, v1, 23, v54
	v_or3_b32 v1, v2, v1, v0
.LBB4_6701:                             ;   in Loop: Header=BB4_6462 Depth=3
	s_or_b64 exec, exec, s[38:39]
.LBB4_6702:                             ;   in Loop: Header=BB4_6462 Depth=3
	s_or_b64 exec, exec, s[28:29]
.LBB4_6703:                             ;   in Loop: Header=BB4_6462 Depth=3
	s_or_b64 exec, exec, s[40:41]
	v_cmp_ne_u16_e32 vcc, 0, v25
	s_and_saveexec_b64 s[28:29], vcc
	s_cbranch_execz .LBB4_6709
; %bb.6704:                             ;   in Loop: Header=BB4_6462 Depth=3
	v_cmp_ne_u16_e32 vcc, s80, v25
	v_bfrev_b32_e32 v6, 1
	s_and_saveexec_b64 s[40:41], vcc
	s_cbranch_execz .LBB4_6708
; %bb.6705:                             ;   in Loop: Header=BB4_6462 Depth=3
	v_and_b32_e32 v0, 0x7f, v25
	v_cmp_ne_u32_e32 vcc, s81, v0
	v_mov_b32_e32 v6, 0x7f800001
	s_and_saveexec_b64 s[38:39], vcc
	s_cbranch_execz .LBB4_6707
; %bb.6706:                             ;   in Loop: Header=BB4_6462 Depth=3
	v_and_b32_e32 v2, 7, v25
	v_lshrrev_b32_e32 v34, 3, v0
	v_cmp_gt_u32_e32 vcc, 8, v0
	v_ffbh_u32_e32 v0, v2
	v_min_u32_e32 v0, 32, v0
	v_subrev_u32_e32 v5, 28, v0
	v_lshlrev_b64 v[5:6], v5, v[25:26]
	v_sub_u32_e32 v0, 29, v0
	v_and_b32_e32 v5, 7, v5
	v_cndmask_b32_e32 v0, v34, v0, vcc
	v_cndmask_b32_e32 v2, v2, v5, vcc
	v_lshlrev_b32_e32 v5, 16, v24
	v_lshlrev_b32_e32 v2, 20, v2
	v_and_b32_e32 v5, 0x80000000, v5
	v_lshl_add_u32 v0, v0, 23, v54
	v_or3_b32 v6, v5, v0, v2
.LBB4_6707:                             ;   in Loop: Header=BB4_6462 Depth=3
	s_or_b64 exec, exec, s[38:39]
.LBB4_6708:                             ;   in Loop: Header=BB4_6462 Depth=3
	s_or_b64 exec, exec, s[40:41]
.LBB4_6709:                             ;   in Loop: Header=BB4_6462 Depth=3
	s_or_b64 exec, exec, s[28:29]
	v_max_f32_e32 v0, v6, v6
	v_max_f32_e32 v1, v1, v1
	v_min_f32_e32 v6, v1, v0
.LBB4_6710:                             ;   in Loop: Header=BB4_6462 Depth=3
	v_and_b32_e32 v2, 0x7f800000, v6
	v_cmp_ne_u64_e32 vcc, s[76:77], v[2:3]
                                        ; implicit-def: $vgpr47
	s_and_saveexec_b64 s[28:29], vcc
	s_xor_b64 s[40:41], exec, s[28:29]
	s_cbranch_execz .LBB4_6724
; %bb.6711:                             ;   in Loop: Header=BB4_6462 Depth=3
	v_and_b32_e32 v2, 0x7fffffff, v6
	v_cmp_gt_u64_e32 vcc, s[78:79], v[2:3]
	v_and_b32_sdwa v1, v6, s80 dst_sel:DWORD dst_unused:UNUSED_PAD src0_sel:BYTE_3 src1_sel:DWORD
                                        ; implicit-def: $vgpr47
	s_and_saveexec_b64 s[28:29], vcc
	s_xor_b64 s[38:39], exec, s[28:29]
	s_cbranch_execz .LBB4_6721
; %bb.6712:                             ;   in Loop: Header=BB4_6462 Depth=3
	v_mov_b32_e32 v47, 0
	v_cmp_ne_u32_e32 vcc, 0, v6
	s_and_saveexec_b64 s[48:49], vcc
	s_cbranch_execz .LBB4_6720
; %bb.6713:                             ;   in Loop: Header=BB4_6462 Depth=3
	v_and_b32_e32 v0, 0x7fffff, v6
	v_bfe_u32 v6, v6, 23, 8
	v_cmp_gt_u32_e64 s[28:29], s83, v6
	v_sub_u32_e32 v2, 0x79, v6
	v_cmp_eq_u32_e32 vcc, 0, v6
	v_cndmask_b32_e64 v2, 0, v2, s[28:29]
	v_mov_b32_e32 v24, 0x78
	v_or_b32_e32 v5, 0x800000, v0
	v_cndmask_b32_e32 v34, v2, v24, vcc
	v_cndmask_b32_e32 v2, v5, v0, vcc
	v_add_u32_e32 v0, 20, v34
	v_lshlrev_b64 v[24:25], v0, -1
	v_add_u32_e32 v0, 19, v34
	v_lshlrev_b64 v[35:36], v0, 1
	v_bfi_b32 v25, v25, 0, 0
	v_bfi_b32 v24, v24, 0, v2
	v_cmp_eq_u64_e64 s[28:29], v[24:25], v[35:36]
	v_lshrrev_b64 v[24:25], v34, v[2:3]
	v_mov_b32_e32 v51, v25
	v_mov_b32_e32 v50, v24
	s_and_saveexec_b64 s[50:51], s[28:29]
; %bb.6714:                             ;   in Loop: Header=BB4_6462 Depth=3
	v_bfe_u32 v0, v24, 20, 1
	v_add_co_u32_e64 v0, s[28:29], v24, v0
	v_add_co_u32_e64 v50, s[28:29], -1, v0
; %bb.6715:                             ;   in Loop: Header=BB4_6462 Depth=3
	s_or_b64 exec, exec, s[50:51]
	v_add_u32_e32 v0, 0xffffff81, v6
	v_mov_b32_e32 v2, 0xffffff82
	v_cndmask_b32_e32 v0, v0, v2, vcc
	v_lshrrev_b32_e32 v2, 23, v24
	v_add3_u32 v5, v34, v0, v2
	v_add_u32_e32 v0, 6, v5
	v_and_b32_e32 v2, 0xfffff, v50
	v_add_u32_e32 v2, v2, v24
	v_cmp_ne_u32_e32 vcc, 0, v0
                                        ; implicit-def: $vgpr24_vgpr25
                                        ; implicit-def: $vgpr6
	s_and_saveexec_b64 s[28:29], vcc
	s_xor_b64 s[28:29], exec, s[28:29]
; %bb.6716:                             ;   in Loop: Header=BB4_6462 Depth=3
	v_cmp_lt_u64_e32 vcc, s[88:89], v[2:3]
	v_add_u32_e32 v5, 7, v5
	v_cndmask_b32_e32 v6, v0, v5, vcc
	v_cndmask_b32_e64 v0, 0, 1, vcc
	v_lshrrev_b64 v[24:25], v0, v[2:3]
; %bb.6717:                             ;   in Loop: Header=BB4_6462 Depth=3
	s_andn2_saveexec_b64 s[28:29], s[28:29]
; %bb.6718:                             ;   in Loop: Header=BB4_6462 Depth=3
	v_mov_b32_e32 v25, v3
	v_bfe_u32 v6, v2, 23, 1
	v_mov_b32_e32 v24, v2
; %bb.6719:                             ;   in Loop: Header=BB4_6462 Depth=3
	s_or_b64 exec, exec, s[28:29]
	v_lshrrev_b64 v[24:25], 20, v[24:25]
	v_cmp_gt_i32_e32 vcc, 16, v6
	v_cndmask_b32_e32 v25, 0, v25, vcc
	v_cndmask_b32_e32 v24, 7, v24, vcc
	v_min_i32_e32 v0, 15, v6
	v_cmp_eq_u64_e64 s[28:29], 0, v[24:25]
	v_lshlrev_b32_e32 v0, 3, v0
	v_cmp_eq_u32_e32 vcc, 0, v6
	v_and_b32_e32 v0, 0xf8, v0
	v_and_or_b32 v0, v24, 7, v0
	s_and_b64 s[28:29], vcc, s[28:29]
	v_cndmask_b32_e64 v0, v0, 0, s[28:29]
	v_or_b32_e32 v47, v0, v1
.LBB4_6720:                             ;   in Loop: Header=BB4_6462 Depth=3
	s_or_b64 exec, exec, s[48:49]
                                        ; implicit-def: $vgpr1
.LBB4_6721:                             ;   in Loop: Header=BB4_6462 Depth=3
	s_andn2_saveexec_b64 s[28:29], s[38:39]
; %bb.6722:                             ;   in Loop: Header=BB4_6462 Depth=3
	v_or_b32_e32 v47, 0x7e, v1
; %bb.6723:                             ;   in Loop: Header=BB4_6462 Depth=3
	s_or_b64 exec, exec, s[28:29]
                                        ; implicit-def: $vgpr6
.LBB4_6724:                             ;   in Loop: Header=BB4_6462 Depth=3
	s_andn2_saveexec_b64 s[28:29], s[40:41]
; %bb.6725:                             ;   in Loop: Header=BB4_6462 Depth=3
	v_or_b32_sdwa v47, v6, s81 dst_sel:DWORD dst_unused:UNUSED_PAD src0_sel:BYTE_3 src1_sel:DWORD
; %bb.6726:                             ;   in Loop: Header=BB4_6462 Depth=3
	s_or_b64 exec, exec, s[28:29]
	v_lshrrev_b32_e32 v24, 16, v21
	v_lshrrev_b32_e32 v2, 16, v17
	v_cmp_ne_u16_sdwa s[28:29], v24, v3 src0_sel:BYTE_0 src1_sel:DWORD
	s_mov_b64 s[40:41], -1
	s_and_b64 vcc, exec, s[46:47]
                                        ; implicit-def: $vgpr6
	s_cbranch_vccz .LBB4_6740
; %bb.6727:                             ;   in Loop: Header=BB4_6462 Depth=3
	v_mov_b32_e32 v6, 0
	v_mov_b32_e32 v1, 0
	s_and_saveexec_b64 s[40:41], s[28:29]
	s_cbranch_execz .LBB4_6733
; %bb.6728:                             ;   in Loop: Header=BB4_6462 Depth=3
	v_cmp_ne_u16_sdwa vcc, v24, s80 src0_sel:BYTE_0 src1_sel:DWORD
	v_bfrev_b32_e32 v1, 1
	s_and_saveexec_b64 s[38:39], vcc
	s_cbranch_execz .LBB4_6732
; %bb.6729:                             ;   in Loop: Header=BB4_6462 Depth=3
	v_bfe_u32 v0, v21, 16, 7
	v_cmp_ne_u32_e32 vcc, s81, v0
	v_mov_b32_e32 v1, 0x7f800001
	s_and_saveexec_b64 s[48:49], vcc
	s_cbranch_execz .LBB4_6731
; %bb.6730:                             ;   in Loop: Header=BB4_6462 Depth=3
	v_and_b32_e32 v5, 7, v24
	v_lshrrev_b32_e32 v25, 3, v0
	v_cmp_gt_u32_e32 vcc, 8, v0
	v_ffbh_u32_e32 v0, v5
	v_min_u32_e32 v34, 32, v0
	v_subrev_u32_e32 v0, 28, v34
	v_lshlrev_b64 v[0:1], v0, v[24:25]
	v_sub_u32_e32 v1, 29, v34
	v_and_b32_e32 v0, 7, v0
	v_cndmask_b32_e32 v1, v25, v1, vcc
	v_cndmask_b32_e32 v0, v5, v0, vcc
	v_lshlrev_b32_e32 v5, 24, v24
	v_lshlrev_b32_e32 v0, 20, v0
	v_and_b32_e32 v5, 0x80000000, v5
	v_lshl_add_u32 v1, v1, 23, v54
	v_or3_b32 v1, v5, v1, v0
.LBB4_6731:                             ;   in Loop: Header=BB4_6462 Depth=3
	s_or_b64 exec, exec, s[48:49]
.LBB4_6732:                             ;   in Loop: Header=BB4_6462 Depth=3
	s_or_b64 exec, exec, s[38:39]
.LBB4_6733:                             ;   in Loop: Header=BB4_6462 Depth=3
	s_or_b64 exec, exec, s[40:41]
	v_cmp_ne_u16_sdwa vcc, v2, v3 src0_sel:BYTE_0 src1_sel:DWORD
	s_and_saveexec_b64 s[40:41], vcc
	s_cbranch_execz .LBB4_6739
; %bb.6734:                             ;   in Loop: Header=BB4_6462 Depth=3
	v_cmp_ne_u16_sdwa vcc, v2, s80 src0_sel:BYTE_0 src1_sel:DWORD
	v_bfrev_b32_e32 v6, 1
	s_and_saveexec_b64 s[38:39], vcc
	s_cbranch_execz .LBB4_6738
; %bb.6735:                             ;   in Loop: Header=BB4_6462 Depth=3
	v_bfe_u32 v0, v17, 16, 7
	v_cmp_ne_u32_e32 vcc, s81, v0
	v_mov_b32_e32 v6, 0x7f800001
	s_and_saveexec_b64 s[48:49], vcc
	s_cbranch_execz .LBB4_6737
; %bb.6736:                             ;   in Loop: Header=BB4_6462 Depth=3
	v_and_b32_e32 v25, 7, v2
	v_lshrrev_b32_e32 v34, 3, v0
	v_cmp_gt_u32_e32 vcc, 8, v0
	v_ffbh_u32_e32 v0, v25
	v_min_u32_e32 v0, 32, v0
	v_subrev_u32_e32 v5, 28, v0
	v_lshlrev_b64 v[5:6], v5, v[2:3]
	v_sub_u32_e32 v0, 29, v0
	v_and_b32_e32 v5, 7, v5
	v_cndmask_b32_e32 v0, v34, v0, vcc
	v_cndmask_b32_e32 v5, v25, v5, vcc
	v_lshlrev_b32_e32 v6, 24, v2
	v_lshlrev_b32_e32 v5, 20, v5
	v_and_b32_e32 v6, 0x80000000, v6
	v_lshl_add_u32 v0, v0, 23, v54
	v_or3_b32 v6, v6, v0, v5
.LBB4_6737:                             ;   in Loop: Header=BB4_6462 Depth=3
	s_or_b64 exec, exec, s[48:49]
.LBB4_6738:                             ;   in Loop: Header=BB4_6462 Depth=3
	s_or_b64 exec, exec, s[38:39]
.LBB4_6739:                             ;   in Loop: Header=BB4_6462 Depth=3
	s_or_b64 exec, exec, s[40:41]
	v_max_f32_e32 v0, v6, v6
	v_max_f32_e32 v1, v1, v1
	;; [unrolled: 1-line block ×3, first 2 shown]
	s_mov_b64 s[40:41], 0
.LBB4_6740:                             ;   in Loop: Header=BB4_6462 Depth=3
	s_and_b64 vcc, exec, s[40:41]
	s_cbranch_vccz .LBB4_6754
; %bb.6741:                             ;   in Loop: Header=BB4_6462 Depth=3
	v_mov_b32_e32 v6, 0
	v_mov_b32_e32 v1, 0
	s_and_saveexec_b64 s[40:41], s[28:29]
	s_cbranch_execz .LBB4_6747
; %bb.6742:                             ;   in Loop: Header=BB4_6462 Depth=3
	v_cmp_ne_u16_sdwa vcc, v24, s80 src0_sel:BYTE_0 src1_sel:DWORD
	v_bfrev_b32_e32 v1, 1
	s_and_saveexec_b64 s[28:29], vcc
	s_cbranch_execz .LBB4_6746
; %bb.6743:                             ;   in Loop: Header=BB4_6462 Depth=3
	v_bfe_u32 v0, v21, 16, 7
	v_cmp_ne_u32_e32 vcc, s81, v0
	v_mov_b32_e32 v1, 0x7f800001
	s_and_saveexec_b64 s[38:39], vcc
	s_cbranch_execz .LBB4_6745
; %bb.6744:                             ;   in Loop: Header=BB4_6462 Depth=3
	v_and_b32_e32 v5, 7, v24
	v_lshrrev_b32_e32 v25, 3, v0
	v_cmp_gt_u32_e32 vcc, 8, v0
	v_ffbh_u32_e32 v0, v5
	v_min_u32_e32 v34, 32, v0
	v_subrev_u32_e32 v0, 28, v34
	v_lshlrev_b64 v[0:1], v0, v[24:25]
	v_sub_u32_e32 v1, 29, v34
	v_and_b32_e32 v0, 7, v0
	v_cndmask_b32_e32 v1, v25, v1, vcc
	v_cndmask_b32_e32 v0, v5, v0, vcc
	v_lshlrev_b32_e32 v5, 24, v24
	v_lshlrev_b32_e32 v0, 20, v0
	v_and_b32_e32 v5, 0x80000000, v5
	v_lshl_add_u32 v1, v1, 23, v54
	v_or3_b32 v1, v5, v1, v0
.LBB4_6745:                             ;   in Loop: Header=BB4_6462 Depth=3
	s_or_b64 exec, exec, s[38:39]
.LBB4_6746:                             ;   in Loop: Header=BB4_6462 Depth=3
	s_or_b64 exec, exec, s[28:29]
.LBB4_6747:                             ;   in Loop: Header=BB4_6462 Depth=3
	s_or_b64 exec, exec, s[40:41]
	v_cmp_ne_u16_sdwa s[40:41], v2, v3 src0_sel:BYTE_0 src1_sel:DWORD
	s_and_saveexec_b64 s[28:29], s[40:41]
	s_cbranch_execz .LBB4_6753
; %bb.6748:                             ;   in Loop: Header=BB4_6462 Depth=3
	v_cmp_ne_u16_sdwa vcc, v2, s80 src0_sel:BYTE_0 src1_sel:DWORD
	v_bfrev_b32_e32 v6, 1
	s_and_saveexec_b64 s[40:41], vcc
	s_cbranch_execz .LBB4_6752
; %bb.6749:                             ;   in Loop: Header=BB4_6462 Depth=3
	v_bfe_u32 v0, v17, 16, 7
	v_cmp_ne_u32_e32 vcc, s81, v0
	v_mov_b32_e32 v6, 0x7f800001
	s_and_saveexec_b64 s[38:39], vcc
	s_cbranch_execz .LBB4_6751
; %bb.6750:                             ;   in Loop: Header=BB4_6462 Depth=3
	v_and_b32_e32 v24, 7, v2
	v_lshrrev_b32_e32 v25, 3, v0
	v_cmp_gt_u32_e32 vcc, 8, v0
	v_ffbh_u32_e32 v0, v24
	v_min_u32_e32 v0, 32, v0
	v_subrev_u32_e32 v5, 28, v0
	v_lshlrev_b64 v[5:6], v5, v[2:3]
	v_sub_u32_e32 v0, 29, v0
	v_and_b32_e32 v5, 7, v5
	v_cndmask_b32_e32 v0, v25, v0, vcc
	v_cndmask_b32_e32 v5, v24, v5, vcc
	v_lshlrev_b32_e32 v2, 24, v2
	v_lshlrev_b32_e32 v5, 20, v5
	v_and_b32_e32 v2, 0x80000000, v2
	v_lshl_add_u32 v0, v0, 23, v54
	v_or3_b32 v6, v2, v0, v5
.LBB4_6751:                             ;   in Loop: Header=BB4_6462 Depth=3
	s_or_b64 exec, exec, s[38:39]
.LBB4_6752:                             ;   in Loop: Header=BB4_6462 Depth=3
	s_or_b64 exec, exec, s[40:41]
.LBB4_6753:                             ;   in Loop: Header=BB4_6462 Depth=3
	s_or_b64 exec, exec, s[28:29]
	v_max_f32_e32 v0, v6, v6
	v_max_f32_e32 v1, v1, v1
	v_min_f32_e32 v6, v1, v0
.LBB4_6754:                             ;   in Loop: Header=BB4_6462 Depth=3
	v_and_b32_e32 v2, 0x7f800000, v6
	v_cmp_ne_u64_e32 vcc, s[76:77], v[2:3]
                                        ; implicit-def: $vgpr37
	s_and_saveexec_b64 s[28:29], vcc
	s_xor_b64 s[40:41], exec, s[28:29]
	s_cbranch_execz .LBB4_6768
; %bb.6755:                             ;   in Loop: Header=BB4_6462 Depth=3
	v_and_b32_e32 v2, 0x7fffffff, v6
	v_cmp_gt_u64_e32 vcc, s[78:79], v[2:3]
	v_and_b32_sdwa v1, v6, s80 dst_sel:DWORD dst_unused:UNUSED_PAD src0_sel:BYTE_3 src1_sel:DWORD
                                        ; implicit-def: $vgpr37
	s_and_saveexec_b64 s[28:29], vcc
	s_xor_b64 s[38:39], exec, s[28:29]
	s_cbranch_execz .LBB4_6765
; %bb.6756:                             ;   in Loop: Header=BB4_6462 Depth=3
	v_mov_b32_e32 v37, 0
	v_cmp_ne_u32_e32 vcc, 0, v6
	s_and_saveexec_b64 s[48:49], vcc
	s_cbranch_execz .LBB4_6764
; %bb.6757:                             ;   in Loop: Header=BB4_6462 Depth=3
	v_and_b32_e32 v0, 0x7fffff, v6
	v_bfe_u32 v6, v6, 23, 8
	v_cmp_gt_u32_e64 s[28:29], s83, v6
	v_sub_u32_e32 v2, 0x79, v6
	v_cmp_eq_u32_e32 vcc, 0, v6
	v_cndmask_b32_e64 v2, 0, v2, s[28:29]
	v_mov_b32_e32 v24, 0x78
	v_or_b32_e32 v5, 0x800000, v0
	v_cndmask_b32_e32 v34, v2, v24, vcc
	v_cndmask_b32_e32 v2, v5, v0, vcc
	v_add_u32_e32 v0, 20, v34
	v_lshlrev_b64 v[24:25], v0, -1
	v_add_u32_e32 v0, 19, v34
	v_lshlrev_b64 v[35:36], v0, 1
	v_bfi_b32 v25, v25, 0, 0
	v_bfi_b32 v24, v24, 0, v2
	v_cmp_eq_u64_e64 s[28:29], v[24:25], v[35:36]
	v_lshrrev_b64 v[24:25], v34, v[2:3]
	v_mov_b32_e32 v51, v25
	v_mov_b32_e32 v50, v24
	s_and_saveexec_b64 s[50:51], s[28:29]
; %bb.6758:                             ;   in Loop: Header=BB4_6462 Depth=3
	v_bfe_u32 v0, v24, 20, 1
	v_add_co_u32_e64 v0, s[28:29], v24, v0
	v_add_co_u32_e64 v50, s[28:29], -1, v0
; %bb.6759:                             ;   in Loop: Header=BB4_6462 Depth=3
	s_or_b64 exec, exec, s[50:51]
	v_add_u32_e32 v0, 0xffffff81, v6
	v_mov_b32_e32 v2, 0xffffff82
	v_cndmask_b32_e32 v0, v0, v2, vcc
	v_lshrrev_b32_e32 v2, 23, v24
	v_add3_u32 v5, v34, v0, v2
	v_add_u32_e32 v0, 6, v5
	v_and_b32_e32 v2, 0xfffff, v50
	v_add_u32_e32 v2, v2, v24
	v_cmp_ne_u32_e32 vcc, 0, v0
                                        ; implicit-def: $vgpr24_vgpr25
                                        ; implicit-def: $vgpr6
	s_and_saveexec_b64 s[28:29], vcc
	s_xor_b64 s[28:29], exec, s[28:29]
; %bb.6760:                             ;   in Loop: Header=BB4_6462 Depth=3
	v_cmp_lt_u64_e32 vcc, s[88:89], v[2:3]
	v_add_u32_e32 v5, 7, v5
	v_cndmask_b32_e32 v6, v0, v5, vcc
	v_cndmask_b32_e64 v0, 0, 1, vcc
	v_lshrrev_b64 v[24:25], v0, v[2:3]
; %bb.6761:                             ;   in Loop: Header=BB4_6462 Depth=3
	s_andn2_saveexec_b64 s[28:29], s[28:29]
; %bb.6762:                             ;   in Loop: Header=BB4_6462 Depth=3
	v_mov_b32_e32 v25, v3
	v_bfe_u32 v6, v2, 23, 1
	v_mov_b32_e32 v24, v2
; %bb.6763:                             ;   in Loop: Header=BB4_6462 Depth=3
	s_or_b64 exec, exec, s[28:29]
	v_lshrrev_b64 v[24:25], 20, v[24:25]
	v_cmp_gt_i32_e32 vcc, 16, v6
	v_cndmask_b32_e32 v25, 0, v25, vcc
	v_cndmask_b32_e32 v24, 7, v24, vcc
	v_min_i32_e32 v0, 15, v6
	v_cmp_eq_u64_e64 s[28:29], 0, v[24:25]
	v_lshlrev_b32_e32 v0, 3, v0
	v_cmp_eq_u32_e32 vcc, 0, v6
	v_and_b32_e32 v0, 0xf8, v0
	v_and_or_b32 v0, v24, 7, v0
	s_and_b64 s[28:29], vcc, s[28:29]
	v_cndmask_b32_e64 v0, v0, 0, s[28:29]
	v_or_b32_e32 v37, v0, v1
.LBB4_6764:                             ;   in Loop: Header=BB4_6462 Depth=3
	s_or_b64 exec, exec, s[48:49]
                                        ; implicit-def: $vgpr1
.LBB4_6765:                             ;   in Loop: Header=BB4_6462 Depth=3
	s_andn2_saveexec_b64 s[28:29], s[38:39]
; %bb.6766:                             ;   in Loop: Header=BB4_6462 Depth=3
	v_or_b32_e32 v37, 0x7e, v1
; %bb.6767:                             ;   in Loop: Header=BB4_6462 Depth=3
	s_or_b64 exec, exec, s[28:29]
                                        ; implicit-def: $vgpr6
.LBB4_6768:                             ;   in Loop: Header=BB4_6462 Depth=3
	s_andn2_saveexec_b64 s[28:29], s[40:41]
; %bb.6769:                             ;   in Loop: Header=BB4_6462 Depth=3
	v_or_b32_sdwa v37, v6, s81 dst_sel:DWORD dst_unused:UNUSED_PAD src0_sel:BYTE_3 src1_sel:DWORD
; %bb.6770:                             ;   in Loop: Header=BB4_6462 Depth=3
	s_or_b64 exec, exec, s[28:29]
	v_cmp_lt_u64_e64 s[28:29], s[62:63], v[20:21]
	v_lshrrev_b32_e32 v24, 24, v21
	v_lshrrev_b32_e32 v2, 24, v17
	s_mov_b64 s[40:41], -1
	s_and_b64 vcc, exec, s[46:47]
                                        ; implicit-def: $vgpr6
	s_cbranch_vccz .LBB4_6784
; %bb.6771:                             ;   in Loop: Header=BB4_6462 Depth=3
	v_mov_b32_e32 v6, 0
	v_mov_b32_e32 v1, 0
	s_and_saveexec_b64 s[40:41], s[28:29]
	s_cbranch_execz .LBB4_6777
; %bb.6772:                             ;   in Loop: Header=BB4_6462 Depth=3
	v_cmp_ne_u32_e32 vcc, s80, v24
	v_bfrev_b32_e32 v1, 1
	s_and_saveexec_b64 s[38:39], vcc
	s_cbranch_execz .LBB4_6776
; %bb.6773:                             ;   in Loop: Header=BB4_6462 Depth=3
	v_bfe_u32 v0, v21, 24, 7
	v_cmp_ne_u32_e32 vcc, s81, v0
	v_mov_b32_e32 v1, 0x7f800001
	s_and_saveexec_b64 s[48:49], vcc
	s_cbranch_execz .LBB4_6775
; %bb.6774:                             ;   in Loop: Header=BB4_6462 Depth=3
	v_and_b32_e32 v5, 7, v24
	v_lshrrev_b32_e32 v20, 3, v0
	v_cmp_gt_u32_e32 vcc, 8, v0
	v_ffbh_u32_e32 v0, v5
	v_min_u32_e32 v25, 32, v0
	v_subrev_u32_e32 v0, 28, v25
	v_lshlrev_b64 v[0:1], v0, v[24:25]
	v_sub_u32_e32 v1, 29, v25
	v_and_b32_e32 v0, 7, v0
	v_cndmask_b32_e32 v1, v20, v1, vcc
	v_cndmask_b32_e32 v0, v5, v0, vcc
	v_lshlrev_b32_e32 v5, 24, v24
	v_lshlrev_b32_e32 v0, 20, v0
	v_and_b32_e32 v5, 0x80000000, v5
	v_lshl_add_u32 v1, v1, 23, v54
	v_or3_b32 v1, v5, v1, v0
.LBB4_6775:                             ;   in Loop: Header=BB4_6462 Depth=3
	s_or_b64 exec, exec, s[48:49]
.LBB4_6776:                             ;   in Loop: Header=BB4_6462 Depth=3
	s_or_b64 exec, exec, s[38:39]
.LBB4_6777:                             ;   in Loop: Header=BB4_6462 Depth=3
	s_or_b64 exec, exec, s[40:41]
	v_cmp_lt_u64_e32 vcc, s[62:63], v[16:17]
	s_and_saveexec_b64 s[40:41], vcc
	s_cbranch_execz .LBB4_6783
; %bb.6778:                             ;   in Loop: Header=BB4_6462 Depth=3
	v_cmp_ne_u32_e32 vcc, s80, v2
	v_bfrev_b32_e32 v6, 1
	s_and_saveexec_b64 s[38:39], vcc
	s_cbranch_execz .LBB4_6782
; %bb.6779:                             ;   in Loop: Header=BB4_6462 Depth=3
	v_bfe_u32 v0, v17, 24, 7
	v_cmp_ne_u32_e32 vcc, s81, v0
	v_mov_b32_e32 v6, 0x7f800001
	s_and_saveexec_b64 s[48:49], vcc
	s_cbranch_execz .LBB4_6781
; %bb.6780:                             ;   in Loop: Header=BB4_6462 Depth=3
	v_and_b32_e32 v20, 7, v2
	v_lshrrev_b32_e32 v25, 3, v0
	v_cmp_gt_u32_e32 vcc, 8, v0
	v_ffbh_u32_e32 v0, v20
	v_min_u32_e32 v0, 32, v0
	v_subrev_u32_e32 v5, 28, v0
	v_lshlrev_b64 v[5:6], v5, v[2:3]
	v_sub_u32_e32 v0, 29, v0
	v_and_b32_e32 v5, 7, v5
	v_cndmask_b32_e32 v0, v25, v0, vcc
	v_cndmask_b32_e32 v5, v20, v5, vcc
	v_lshlrev_b32_e32 v6, 24, v2
	v_lshlrev_b32_e32 v5, 20, v5
	v_and_b32_e32 v6, 0x80000000, v6
	v_lshl_add_u32 v0, v0, 23, v54
	v_or3_b32 v6, v6, v0, v5
.LBB4_6781:                             ;   in Loop: Header=BB4_6462 Depth=3
	s_or_b64 exec, exec, s[48:49]
.LBB4_6782:                             ;   in Loop: Header=BB4_6462 Depth=3
	s_or_b64 exec, exec, s[38:39]
.LBB4_6783:                             ;   in Loop: Header=BB4_6462 Depth=3
	s_or_b64 exec, exec, s[40:41]
	v_max_f32_e32 v0, v6, v6
	v_max_f32_e32 v1, v1, v1
	v_max_f32_e32 v6, v1, v0
	s_mov_b64 s[40:41], 0
.LBB4_6784:                             ;   in Loop: Header=BB4_6462 Depth=3
	s_and_b64 vcc, exec, s[40:41]
	s_cbranch_vccz .LBB4_6798
; %bb.6785:                             ;   in Loop: Header=BB4_6462 Depth=3
	v_mov_b32_e32 v6, 0
	v_mov_b32_e32 v1, 0
	s_and_saveexec_b64 s[40:41], s[28:29]
	s_cbranch_execz .LBB4_6791
; %bb.6786:                             ;   in Loop: Header=BB4_6462 Depth=3
	v_cmp_ne_u32_e32 vcc, s80, v24
	v_bfrev_b32_e32 v1, 1
	s_and_saveexec_b64 s[28:29], vcc
	s_cbranch_execz .LBB4_6790
; %bb.6787:                             ;   in Loop: Header=BB4_6462 Depth=3
	v_bfe_u32 v0, v21, 24, 7
	v_cmp_ne_u32_e32 vcc, s81, v0
	v_mov_b32_e32 v1, 0x7f800001
	s_and_saveexec_b64 s[38:39], vcc
	s_cbranch_execz .LBB4_6789
; %bb.6788:                             ;   in Loop: Header=BB4_6462 Depth=3
	v_and_b32_e32 v5, 7, v24
	v_lshrrev_b32_e32 v20, 3, v0
	v_cmp_gt_u32_e32 vcc, 8, v0
	v_ffbh_u32_e32 v0, v5
	v_min_u32_e32 v21, 32, v0
	v_subrev_u32_e32 v0, 28, v21
	v_lshlrev_b64 v[0:1], v0, v[24:25]
	v_sub_u32_e32 v1, 29, v21
	v_and_b32_e32 v0, 7, v0
	v_cndmask_b32_e32 v1, v20, v1, vcc
	v_cndmask_b32_e32 v0, v5, v0, vcc
	v_lshlrev_b32_e32 v5, 24, v24
	v_lshlrev_b32_e32 v0, 20, v0
	v_and_b32_e32 v5, 0x80000000, v5
	v_lshl_add_u32 v1, v1, 23, v54
	v_or3_b32 v1, v5, v1, v0
.LBB4_6789:                             ;   in Loop: Header=BB4_6462 Depth=3
	s_or_b64 exec, exec, s[38:39]
.LBB4_6790:                             ;   in Loop: Header=BB4_6462 Depth=3
	s_or_b64 exec, exec, s[28:29]
.LBB4_6791:                             ;   in Loop: Header=BB4_6462 Depth=3
	s_or_b64 exec, exec, s[40:41]
	v_cmp_lt_u64_e32 vcc, s[62:63], v[16:17]
	s_and_saveexec_b64 s[28:29], vcc
	s_cbranch_execz .LBB4_6797
; %bb.6792:                             ;   in Loop: Header=BB4_6462 Depth=3
	v_cmp_ne_u32_e32 vcc, s80, v2
	v_bfrev_b32_e32 v6, 1
	s_and_saveexec_b64 s[40:41], vcc
	s_cbranch_execz .LBB4_6796
; %bb.6793:                             ;   in Loop: Header=BB4_6462 Depth=3
	v_bfe_u32 v0, v17, 24, 7
	v_cmp_ne_u32_e32 vcc, s81, v0
	v_mov_b32_e32 v6, 0x7f800001
	s_and_saveexec_b64 s[38:39], vcc
	s_cbranch_execz .LBB4_6795
; %bb.6794:                             ;   in Loop: Header=BB4_6462 Depth=3
	v_and_b32_e32 v16, 7, v2
	v_lshrrev_b32_e32 v17, 3, v0
	v_cmp_gt_u32_e32 vcc, 8, v0
	v_ffbh_u32_e32 v0, v16
	v_min_u32_e32 v0, 32, v0
	v_subrev_u32_e32 v5, 28, v0
	v_lshlrev_b64 v[5:6], v5, v[2:3]
	v_sub_u32_e32 v0, 29, v0
	v_and_b32_e32 v5, 7, v5
	v_cndmask_b32_e32 v0, v17, v0, vcc
	v_cndmask_b32_e32 v5, v16, v5, vcc
	v_lshlrev_b32_e32 v2, 24, v2
	v_lshlrev_b32_e32 v5, 20, v5
	v_and_b32_e32 v2, 0x80000000, v2
	v_lshl_add_u32 v0, v0, 23, v54
	v_or3_b32 v6, v2, v0, v5
.LBB4_6795:                             ;   in Loop: Header=BB4_6462 Depth=3
	s_or_b64 exec, exec, s[38:39]
.LBB4_6796:                             ;   in Loop: Header=BB4_6462 Depth=3
	s_or_b64 exec, exec, s[40:41]
.LBB4_6797:                             ;   in Loop: Header=BB4_6462 Depth=3
	s_or_b64 exec, exec, s[28:29]
	v_max_f32_e32 v0, v6, v6
	v_max_f32_e32 v1, v1, v1
	v_min_f32_e32 v6, v1, v0
.LBB4_6798:                             ;   in Loop: Header=BB4_6462 Depth=3
	v_and_b32_e32 v2, 0x7f800000, v6
	v_cmp_ne_u64_e32 vcc, s[76:77], v[2:3]
                                        ; implicit-def: $vgpr53
	s_and_saveexec_b64 s[28:29], vcc
	s_xor_b64 s[40:41], exec, s[28:29]
	s_cbranch_execz .LBB4_6812
; %bb.6799:                             ;   in Loop: Header=BB4_6462 Depth=3
	v_and_b32_e32 v2, 0x7fffffff, v6
	v_cmp_gt_u64_e32 vcc, s[78:79], v[2:3]
	v_and_b32_sdwa v1, v6, s80 dst_sel:DWORD dst_unused:UNUSED_PAD src0_sel:BYTE_3 src1_sel:DWORD
                                        ; implicit-def: $vgpr53
	s_and_saveexec_b64 s[28:29], vcc
	s_xor_b64 s[38:39], exec, s[28:29]
	s_cbranch_execz .LBB4_6809
; %bb.6800:                             ;   in Loop: Header=BB4_6462 Depth=3
	v_mov_b32_e32 v53, 0
	v_cmp_ne_u32_e32 vcc, 0, v6
	s_and_saveexec_b64 s[48:49], vcc
	s_cbranch_execz .LBB4_6808
; %bb.6801:                             ;   in Loop: Header=BB4_6462 Depth=3
	v_and_b32_e32 v0, 0x7fffff, v6
	v_bfe_u32 v6, v6, 23, 8
	v_cmp_gt_u32_e64 s[28:29], s83, v6
	v_sub_u32_e32 v2, 0x79, v6
	v_cmp_eq_u32_e32 vcc, 0, v6
	v_cndmask_b32_e64 v2, 0, v2, s[28:29]
	v_mov_b32_e32 v16, 0x78
	v_or_b32_e32 v5, 0x800000, v0
	v_cndmask_b32_e32 v24, v2, v16, vcc
	v_cndmask_b32_e32 v2, v5, v0, vcc
	v_add_u32_e32 v0, 20, v24
	v_lshlrev_b64 v[16:17], v0, -1
	v_add_u32_e32 v0, 19, v24
	v_lshlrev_b64 v[20:21], v0, 1
	v_bfi_b32 v17, v17, 0, 0
	v_bfi_b32 v16, v16, 0, v2
	v_cmp_eq_u64_e64 s[28:29], v[16:17], v[20:21]
	v_lshrrev_b64 v[16:17], v24, v[2:3]
	v_mov_b32_e32 v21, v17
	v_mov_b32_e32 v20, v16
	s_and_saveexec_b64 s[50:51], s[28:29]
; %bb.6802:                             ;   in Loop: Header=BB4_6462 Depth=3
	v_bfe_u32 v0, v16, 20, 1
	v_add_co_u32_e64 v0, s[28:29], v16, v0
	v_add_co_u32_e64 v20, s[28:29], -1, v0
; %bb.6803:                             ;   in Loop: Header=BB4_6462 Depth=3
	s_or_b64 exec, exec, s[50:51]
	v_add_u32_e32 v0, 0xffffff81, v6
	v_mov_b32_e32 v2, 0xffffff82
	v_cndmask_b32_e32 v0, v0, v2, vcc
	v_lshrrev_b32_e32 v2, 23, v16
	v_add3_u32 v5, v24, v0, v2
	v_add_u32_e32 v0, 6, v5
	v_and_b32_e32 v2, 0xfffff, v20
	v_add_u32_e32 v2, v2, v16
	v_cmp_ne_u32_e32 vcc, 0, v0
                                        ; implicit-def: $vgpr16_vgpr17
                                        ; implicit-def: $vgpr6
	s_and_saveexec_b64 s[28:29], vcc
	s_xor_b64 s[28:29], exec, s[28:29]
; %bb.6804:                             ;   in Loop: Header=BB4_6462 Depth=3
	v_cmp_lt_u64_e32 vcc, s[88:89], v[2:3]
	v_add_u32_e32 v5, 7, v5
	v_cndmask_b32_e32 v6, v0, v5, vcc
	v_cndmask_b32_e64 v0, 0, 1, vcc
	v_lshrrev_b64 v[16:17], v0, v[2:3]
; %bb.6805:                             ;   in Loop: Header=BB4_6462 Depth=3
	s_andn2_saveexec_b64 s[28:29], s[28:29]
; %bb.6806:                             ;   in Loop: Header=BB4_6462 Depth=3
	v_mov_b32_e32 v17, v3
	v_bfe_u32 v6, v2, 23, 1
	v_mov_b32_e32 v16, v2
; %bb.6807:                             ;   in Loop: Header=BB4_6462 Depth=3
	s_or_b64 exec, exec, s[28:29]
	v_lshrrev_b64 v[16:17], 20, v[16:17]
	v_cmp_gt_i32_e32 vcc, 16, v6
	v_cndmask_b32_e32 v17, 0, v17, vcc
	v_cndmask_b32_e32 v16, 7, v16, vcc
	v_min_i32_e32 v0, 15, v6
	v_cmp_eq_u64_e64 s[28:29], 0, v[16:17]
	v_lshlrev_b32_e32 v0, 3, v0
	v_cmp_eq_u32_e32 vcc, 0, v6
	v_and_b32_e32 v0, 0xf8, v0
	v_and_or_b32 v0, v16, 7, v0
	s_and_b64 s[28:29], vcc, s[28:29]
	v_cndmask_b32_e64 v0, v0, 0, s[28:29]
	v_or_b32_e32 v53, v0, v1
.LBB4_6808:                             ;   in Loop: Header=BB4_6462 Depth=3
	s_or_b64 exec, exec, s[48:49]
                                        ; implicit-def: $vgpr1
.LBB4_6809:                             ;   in Loop: Header=BB4_6462 Depth=3
	s_andn2_saveexec_b64 s[28:29], s[38:39]
; %bb.6810:                             ;   in Loop: Header=BB4_6462 Depth=3
	v_or_b32_e32 v53, 0x7e, v1
; %bb.6811:                             ;   in Loop: Header=BB4_6462 Depth=3
	s_or_b64 exec, exec, s[28:29]
                                        ; implicit-def: $vgpr6
.LBB4_6812:                             ;   in Loop: Header=BB4_6462 Depth=3
	s_andn2_saveexec_b64 s[28:29], s[40:41]
; %bb.6813:                             ;   in Loop: Header=BB4_6462 Depth=3
	v_or_b32_sdwa v53, v6, s81 dst_sel:DWORD dst_unused:UNUSED_PAD src0_sel:BYTE_3 src1_sel:DWORD
; %bb.6814:                             ;   in Loop: Header=BB4_6462 Depth=3
	s_or_b64 exec, exec, s[28:29]
	v_cmp_ne_u16_sdwa s[28:29], v22, v3 src0_sel:BYTE_0 src1_sel:DWORD
	s_mov_b64 s[40:41], -1
	s_and_b64 vcc, exec, s[46:47]
                                        ; implicit-def: $vgpr6
	s_cbranch_vccz .LBB4_6828
; %bb.6815:                             ;   in Loop: Header=BB4_6462 Depth=3
	v_mov_b32_e32 v2, 0
	v_mov_b32_e32 v1, 0
	s_and_saveexec_b64 s[40:41], s[28:29]
	s_cbranch_execz .LBB4_6821
; %bb.6816:                             ;   in Loop: Header=BB4_6462 Depth=3
	v_cmp_ne_u16_sdwa vcc, v22, s80 src0_sel:BYTE_0 src1_sel:DWORD
	v_bfrev_b32_e32 v1, 1
	s_and_saveexec_b64 s[38:39], vcc
	s_cbranch_execz .LBB4_6820
; %bb.6817:                             ;   in Loop: Header=BB4_6462 Depth=3
	v_and_b32_e32 v0, 0x7f, v22
	v_cmp_ne_u32_e32 vcc, s81, v0
	v_mov_b32_e32 v1, 0x7f800001
	s_and_saveexec_b64 s[48:49], vcc
	s_cbranch_execz .LBB4_6819
; %bb.6818:                             ;   in Loop: Header=BB4_6462 Depth=3
	v_and_b32_e32 v1, 7, v22
	v_lshrrev_b32_e32 v5, 3, v0
	v_cmp_gt_u32_e32 vcc, 8, v0
	v_ffbh_u32_e32 v0, v1
	v_min_u32_e32 v0, 32, v0
	v_subrev_u32_e32 v1, 28, v0
	v_sub_u32_e32 v0, 29, v0
	v_cndmask_b32_e32 v5, v5, v0, vcc
	v_cndmask_b32_e32 v0, 0, v1, vcc
	v_lshlrev_b64 v[0:1], v0, v[22:23]
	v_lshlrev_b32_e32 v1, 24, v22
	v_lshlrev_b32_e32 v0, 20, v0
	v_and_b32_e32 v0, 0x700000, v0
	v_and_b32_e32 v1, 0x80000000, v1
	v_lshl_add_u32 v5, v5, 23, v54
	v_or3_b32 v1, v1, v5, v0
.LBB4_6819:                             ;   in Loop: Header=BB4_6462 Depth=3
	s_or_b64 exec, exec, s[48:49]
.LBB4_6820:                             ;   in Loop: Header=BB4_6462 Depth=3
	s_or_b64 exec, exec, s[38:39]
.LBB4_6821:                             ;   in Loop: Header=BB4_6462 Depth=3
	s_or_b64 exec, exec, s[40:41]
	v_cmp_ne_u16_sdwa vcc, v18, v3 src0_sel:BYTE_0 src1_sel:DWORD
	s_and_saveexec_b64 s[40:41], vcc
	s_cbranch_execz .LBB4_6827
; %bb.6822:                             ;   in Loop: Header=BB4_6462 Depth=3
	v_cmp_ne_u16_sdwa vcc, v18, s80 src0_sel:BYTE_0 src1_sel:DWORD
	v_bfrev_b32_e32 v2, 1
	s_and_saveexec_b64 s[38:39], vcc
	s_cbranch_execz .LBB4_6826
; %bb.6823:                             ;   in Loop: Header=BB4_6462 Depth=3
	v_and_b32_e32 v0, 0x7f, v18
	v_cmp_ne_u32_e32 vcc, s81, v0
	v_mov_b32_e32 v2, 0x7f800001
	s_and_saveexec_b64 s[48:49], vcc
	s_cbranch_execz .LBB4_6825
; %bb.6824:                             ;   in Loop: Header=BB4_6462 Depth=3
	v_and_b32_e32 v2, 7, v18
	v_lshrrev_b32_e32 v5, 3, v0
	v_cmp_gt_u32_e32 vcc, 8, v0
	v_ffbh_u32_e32 v0, v2
	v_min_u32_e32 v0, 32, v0
	v_subrev_u32_e32 v2, 28, v0
	v_sub_u32_e32 v0, 29, v0
	v_cndmask_b32_e32 v2, 0, v2, vcc
	v_cndmask_b32_e32 v0, v5, v0, vcc
	v_lshlrev_b64 v[5:6], v2, v[18:19]
	v_lshl_add_u32 v0, v0, 23, v54
	v_lshlrev_b32_e32 v2, 20, v5
	v_lshlrev_b32_e32 v5, 24, v18
	v_and_b32_e32 v2, 0x700000, v2
	v_and_b32_e32 v5, 0x80000000, v5
	v_or3_b32 v2, v5, v0, v2
.LBB4_6825:                             ;   in Loop: Header=BB4_6462 Depth=3
	s_or_b64 exec, exec, s[48:49]
.LBB4_6826:                             ;   in Loop: Header=BB4_6462 Depth=3
	s_or_b64 exec, exec, s[38:39]
.LBB4_6827:                             ;   in Loop: Header=BB4_6462 Depth=3
	s_or_b64 exec, exec, s[40:41]
	v_max_f32_e32 v0, v2, v2
	v_max_f32_e32 v1, v1, v1
	;; [unrolled: 1-line block ×3, first 2 shown]
	s_mov_b64 s[40:41], 0
.LBB4_6828:                             ;   in Loop: Header=BB4_6462 Depth=3
	s_and_b64 vcc, exec, s[40:41]
	s_cbranch_vccz .LBB4_6842
; %bb.6829:                             ;   in Loop: Header=BB4_6462 Depth=3
	v_mov_b32_e32 v2, 0
	v_mov_b32_e32 v1, 0
	s_and_saveexec_b64 s[40:41], s[28:29]
	s_cbranch_execz .LBB4_6835
; %bb.6830:                             ;   in Loop: Header=BB4_6462 Depth=3
	v_cmp_ne_u16_sdwa vcc, v22, s80 src0_sel:BYTE_0 src1_sel:DWORD
	v_bfrev_b32_e32 v1, 1
	s_and_saveexec_b64 s[28:29], vcc
	s_cbranch_execz .LBB4_6834
; %bb.6831:                             ;   in Loop: Header=BB4_6462 Depth=3
	v_and_b32_e32 v0, 0x7f, v22
	v_cmp_ne_u32_e32 vcc, s81, v0
	v_mov_b32_e32 v1, 0x7f800001
	s_and_saveexec_b64 s[38:39], vcc
	s_cbranch_execz .LBB4_6833
; %bb.6832:                             ;   in Loop: Header=BB4_6462 Depth=3
	v_and_b32_e32 v1, 7, v22
	v_lshrrev_b32_e32 v5, 3, v0
	v_cmp_gt_u32_e32 vcc, 8, v0
	v_ffbh_u32_e32 v0, v1
	v_min_u32_e32 v0, 32, v0
	v_subrev_u32_e32 v1, 28, v0
	v_sub_u32_e32 v0, 29, v0
	v_cndmask_b32_e32 v5, v5, v0, vcc
	v_cndmask_b32_e32 v0, 0, v1, vcc
	v_lshlrev_b64 v[0:1], v0, v[22:23]
	v_lshlrev_b32_e32 v1, 24, v22
	v_lshlrev_b32_e32 v0, 20, v0
	v_and_b32_e32 v0, 0x700000, v0
	v_and_b32_e32 v1, 0x80000000, v1
	v_lshl_add_u32 v5, v5, 23, v54
	v_or3_b32 v1, v1, v5, v0
.LBB4_6833:                             ;   in Loop: Header=BB4_6462 Depth=3
	s_or_b64 exec, exec, s[38:39]
.LBB4_6834:                             ;   in Loop: Header=BB4_6462 Depth=3
	s_or_b64 exec, exec, s[28:29]
.LBB4_6835:                             ;   in Loop: Header=BB4_6462 Depth=3
	s_or_b64 exec, exec, s[40:41]
	v_cmp_ne_u16_sdwa s[40:41], v18, v3 src0_sel:BYTE_0 src1_sel:DWORD
	s_and_saveexec_b64 s[28:29], s[40:41]
	s_cbranch_execz .LBB4_6841
; %bb.6836:                             ;   in Loop: Header=BB4_6462 Depth=3
	v_cmp_ne_u16_sdwa vcc, v18, s80 src0_sel:BYTE_0 src1_sel:DWORD
	v_bfrev_b32_e32 v2, 1
	s_and_saveexec_b64 s[40:41], vcc
	s_cbranch_execz .LBB4_6840
; %bb.6837:                             ;   in Loop: Header=BB4_6462 Depth=3
	v_and_b32_e32 v0, 0x7f, v18
	v_cmp_ne_u32_e32 vcc, s81, v0
	v_mov_b32_e32 v2, 0x7f800001
	s_and_saveexec_b64 s[38:39], vcc
	s_cbranch_execz .LBB4_6839
; %bb.6838:                             ;   in Loop: Header=BB4_6462 Depth=3
	v_and_b32_e32 v2, 7, v18
	v_lshrrev_b32_e32 v5, 3, v0
	v_cmp_gt_u32_e32 vcc, 8, v0
	v_ffbh_u32_e32 v0, v2
	v_min_u32_e32 v0, 32, v0
	v_subrev_u32_e32 v2, 28, v0
	v_sub_u32_e32 v0, 29, v0
	v_cndmask_b32_e32 v2, 0, v2, vcc
	v_cndmask_b32_e32 v0, v5, v0, vcc
	v_lshlrev_b64 v[5:6], v2, v[18:19]
	v_lshl_add_u32 v0, v0, 23, v54
	v_lshlrev_b32_e32 v2, 20, v5
	v_lshlrev_b32_e32 v5, 24, v18
	v_and_b32_e32 v2, 0x700000, v2
	v_and_b32_e32 v5, 0x80000000, v5
	v_or3_b32 v2, v5, v0, v2
.LBB4_6839:                             ;   in Loop: Header=BB4_6462 Depth=3
	s_or_b64 exec, exec, s[38:39]
.LBB4_6840:                             ;   in Loop: Header=BB4_6462 Depth=3
	s_or_b64 exec, exec, s[40:41]
.LBB4_6841:                             ;   in Loop: Header=BB4_6462 Depth=3
	s_or_b64 exec, exec, s[28:29]
	v_max_f32_e32 v0, v2, v2
	v_max_f32_e32 v1, v1, v1
	v_min_f32_e32 v6, v1, v0
.LBB4_6842:                             ;   in Loop: Header=BB4_6462 Depth=3
	v_and_b32_e32 v2, 0x7f800000, v6
	v_cmp_ne_u64_e32 vcc, s[76:77], v[2:3]
                                        ; implicit-def: $vgpr58
	s_and_saveexec_b64 s[28:29], vcc
	s_xor_b64 s[40:41], exec, s[28:29]
	s_cbranch_execz .LBB4_6856
; %bb.6843:                             ;   in Loop: Header=BB4_6462 Depth=3
	v_and_b32_e32 v2, 0x7fffffff, v6
	v_cmp_gt_u64_e32 vcc, s[78:79], v[2:3]
	v_and_b32_sdwa v1, v6, s80 dst_sel:DWORD dst_unused:UNUSED_PAD src0_sel:BYTE_3 src1_sel:DWORD
                                        ; implicit-def: $vgpr58
	s_and_saveexec_b64 s[28:29], vcc
	s_xor_b64 s[38:39], exec, s[28:29]
	s_cbranch_execz .LBB4_6853
; %bb.6844:                             ;   in Loop: Header=BB4_6462 Depth=3
	v_mov_b32_e32 v58, 0
	v_cmp_ne_u32_e32 vcc, 0, v6
	s_and_saveexec_b64 s[48:49], vcc
	s_cbranch_execz .LBB4_6852
; %bb.6845:                             ;   in Loop: Header=BB4_6462 Depth=3
	v_and_b32_e32 v0, 0x7fffff, v6
	v_bfe_u32 v6, v6, 23, 8
	v_cmp_gt_u32_e64 s[28:29], s83, v6
	v_sub_u32_e32 v2, 0x79, v6
	v_cmp_eq_u32_e32 vcc, 0, v6
	v_cndmask_b32_e64 v2, 0, v2, s[28:29]
	v_mov_b32_e32 v16, 0x78
	v_or_b32_e32 v5, 0x800000, v0
	v_cndmask_b32_e32 v24, v2, v16, vcc
	v_cndmask_b32_e32 v2, v5, v0, vcc
	v_add_u32_e32 v0, 20, v24
	v_lshlrev_b64 v[16:17], v0, -1
	v_add_u32_e32 v0, 19, v24
	v_lshlrev_b64 v[20:21], v0, 1
	v_bfi_b32 v17, v17, 0, 0
	v_bfi_b32 v16, v16, 0, v2
	v_cmp_eq_u64_e64 s[28:29], v[16:17], v[20:21]
	v_lshrrev_b64 v[16:17], v24, v[2:3]
	v_mov_b32_e32 v21, v17
	v_mov_b32_e32 v20, v16
	s_and_saveexec_b64 s[50:51], s[28:29]
; %bb.6846:                             ;   in Loop: Header=BB4_6462 Depth=3
	v_bfe_u32 v0, v16, 20, 1
	v_add_co_u32_e64 v0, s[28:29], v16, v0
	v_add_co_u32_e64 v20, s[28:29], -1, v0
; %bb.6847:                             ;   in Loop: Header=BB4_6462 Depth=3
	s_or_b64 exec, exec, s[50:51]
	v_add_u32_e32 v0, 0xffffff81, v6
	v_mov_b32_e32 v2, 0xffffff82
	v_cndmask_b32_e32 v0, v0, v2, vcc
	v_lshrrev_b32_e32 v2, 23, v16
	v_add3_u32 v5, v24, v0, v2
	v_add_u32_e32 v0, 6, v5
	v_and_b32_e32 v2, 0xfffff, v20
	v_add_u32_e32 v2, v2, v16
	v_cmp_ne_u32_e32 vcc, 0, v0
                                        ; implicit-def: $vgpr16_vgpr17
                                        ; implicit-def: $vgpr6
	s_and_saveexec_b64 s[28:29], vcc
	s_xor_b64 s[28:29], exec, s[28:29]
; %bb.6848:                             ;   in Loop: Header=BB4_6462 Depth=3
	v_cmp_lt_u64_e32 vcc, s[88:89], v[2:3]
	v_add_u32_e32 v5, 7, v5
	v_cndmask_b32_e32 v6, v0, v5, vcc
	v_cndmask_b32_e64 v0, 0, 1, vcc
	v_lshrrev_b64 v[16:17], v0, v[2:3]
; %bb.6849:                             ;   in Loop: Header=BB4_6462 Depth=3
	s_andn2_saveexec_b64 s[28:29], s[28:29]
; %bb.6850:                             ;   in Loop: Header=BB4_6462 Depth=3
	v_mov_b32_e32 v17, v3
	v_bfe_u32 v6, v2, 23, 1
	v_mov_b32_e32 v16, v2
; %bb.6851:                             ;   in Loop: Header=BB4_6462 Depth=3
	s_or_b64 exec, exec, s[28:29]
	v_lshrrev_b64 v[16:17], 20, v[16:17]
	v_cmp_gt_i32_e32 vcc, 16, v6
	v_cndmask_b32_e32 v17, 0, v17, vcc
	v_cndmask_b32_e32 v16, 7, v16, vcc
	v_min_i32_e32 v0, 15, v6
	v_cmp_eq_u64_e64 s[28:29], 0, v[16:17]
	v_lshlrev_b32_e32 v0, 3, v0
	v_cmp_eq_u32_e32 vcc, 0, v6
	v_and_b32_e32 v0, 0xf8, v0
	v_and_or_b32 v0, v16, 7, v0
	s_and_b64 s[28:29], vcc, s[28:29]
	v_cndmask_b32_e64 v0, v0, 0, s[28:29]
	v_or_b32_e32 v58, v0, v1
.LBB4_6852:                             ;   in Loop: Header=BB4_6462 Depth=3
	s_or_b64 exec, exec, s[48:49]
                                        ; implicit-def: $vgpr1
.LBB4_6853:                             ;   in Loop: Header=BB4_6462 Depth=3
	s_andn2_saveexec_b64 s[28:29], s[38:39]
; %bb.6854:                             ;   in Loop: Header=BB4_6462 Depth=3
	v_or_b32_e32 v58, 0x7e, v1
; %bb.6855:                             ;   in Loop: Header=BB4_6462 Depth=3
	s_or_b64 exec, exec, s[28:29]
                                        ; implicit-def: $vgpr6
.LBB4_6856:                             ;   in Loop: Header=BB4_6462 Depth=3
	s_andn2_saveexec_b64 s[28:29], s[40:41]
; %bb.6857:                             ;   in Loop: Header=BB4_6462 Depth=3
	v_or_b32_sdwa v58, v6, s81 dst_sel:DWORD dst_unused:UNUSED_PAD src0_sel:BYTE_3 src1_sel:DWORD
; %bb.6858:                             ;   in Loop: Header=BB4_6462 Depth=3
	s_or_b64 exec, exec, s[28:29]
	v_lshrrev_b16_e32 v16, 8, v22
	v_lshrrev_b16_e32 v2, 8, v18
	v_cmp_ne_u16_e64 s[28:29], 0, v16
	s_mov_b64 s[40:41], -1
	s_and_b64 vcc, exec, s[46:47]
                                        ; implicit-def: $vgpr6
	s_cbranch_vccz .LBB4_6872
; %bb.6859:                             ;   in Loop: Header=BB4_6462 Depth=3
	v_mov_b32_e32 v6, 0
	v_mov_b32_e32 v1, 0
	s_and_saveexec_b64 s[40:41], s[28:29]
	s_cbranch_execz .LBB4_6865
; %bb.6860:                             ;   in Loop: Header=BB4_6462 Depth=3
	v_cmp_ne_u16_e32 vcc, s80, v16
	v_bfrev_b32_e32 v1, 1
	s_and_saveexec_b64 s[38:39], vcc
	s_cbranch_execz .LBB4_6864
; %bb.6861:                             ;   in Loop: Header=BB4_6462 Depth=3
	v_and_b32_e32 v0, 0x7f, v16
	v_cmp_ne_u32_e32 vcc, s81, v0
	v_mov_b32_e32 v1, 0x7f800001
	s_and_saveexec_b64 s[48:49], vcc
	s_cbranch_execz .LBB4_6863
; %bb.6862:                             ;   in Loop: Header=BB4_6462 Depth=3
	v_and_b32_e32 v5, 7, v16
	v_lshrrev_b32_e32 v17, 3, v0
	v_cmp_gt_u32_e32 vcc, 8, v0
	v_ffbh_u32_e32 v0, v5
	v_min_u32_e32 v20, 32, v0
	v_subrev_u32_e32 v0, 28, v20
	v_lshlrev_b64 v[0:1], v0, v[16:17]
	v_sub_u32_e32 v1, 29, v20
	v_and_b32_e32 v0, 7, v0
	v_cndmask_b32_e32 v1, v17, v1, vcc
	v_cndmask_b32_e32 v0, v5, v0, vcc
	v_lshlrev_b32_e32 v5, 16, v22
	v_lshlrev_b32_e32 v0, 20, v0
	v_and_b32_e32 v5, 0x80000000, v5
	v_lshl_add_u32 v1, v1, 23, v54
	v_or3_b32 v1, v5, v1, v0
.LBB4_6863:                             ;   in Loop: Header=BB4_6462 Depth=3
	s_or_b64 exec, exec, s[48:49]
.LBB4_6864:                             ;   in Loop: Header=BB4_6462 Depth=3
	s_or_b64 exec, exec, s[38:39]
.LBB4_6865:                             ;   in Loop: Header=BB4_6462 Depth=3
	s_or_b64 exec, exec, s[40:41]
	v_cmp_ne_u16_e32 vcc, 0, v2
	s_and_saveexec_b64 s[40:41], vcc
	s_cbranch_execz .LBB4_6871
; %bb.6866:                             ;   in Loop: Header=BB4_6462 Depth=3
	v_cmp_ne_u16_e32 vcc, s80, v2
	v_bfrev_b32_e32 v6, 1
	s_and_saveexec_b64 s[38:39], vcc
	s_cbranch_execz .LBB4_6870
; %bb.6867:                             ;   in Loop: Header=BB4_6462 Depth=3
	v_and_b32_e32 v0, 0x7f, v2
	v_cmp_ne_u32_e32 vcc, s81, v0
	v_mov_b32_e32 v6, 0x7f800001
	s_and_saveexec_b64 s[48:49], vcc
	s_cbranch_execz .LBB4_6869
; %bb.6868:                             ;   in Loop: Header=BB4_6462 Depth=3
	v_and_b32_e32 v17, 7, v2
	v_lshrrev_b32_e32 v20, 3, v0
	v_cmp_gt_u32_e32 vcc, 8, v0
	v_ffbh_u32_e32 v0, v17
	v_min_u32_e32 v0, 32, v0
	v_subrev_u32_e32 v5, 28, v0
	v_lshlrev_b64 v[5:6], v5, v[2:3]
	v_sub_u32_e32 v0, 29, v0
	v_and_b32_e32 v5, 7, v5
	v_cndmask_b32_e32 v0, v20, v0, vcc
	v_cndmask_b32_e32 v5, v17, v5, vcc
	v_lshlrev_b32_e32 v6, 16, v18
	v_lshlrev_b32_e32 v5, 20, v5
	v_and_b32_e32 v6, 0x80000000, v6
	v_lshl_add_u32 v0, v0, 23, v54
	v_or3_b32 v6, v6, v0, v5
.LBB4_6869:                             ;   in Loop: Header=BB4_6462 Depth=3
	s_or_b64 exec, exec, s[48:49]
.LBB4_6870:                             ;   in Loop: Header=BB4_6462 Depth=3
	s_or_b64 exec, exec, s[38:39]
.LBB4_6871:                             ;   in Loop: Header=BB4_6462 Depth=3
	s_or_b64 exec, exec, s[40:41]
	v_max_f32_e32 v0, v6, v6
	v_max_f32_e32 v1, v1, v1
	;; [unrolled: 1-line block ×3, first 2 shown]
	s_mov_b64 s[40:41], 0
.LBB4_6872:                             ;   in Loop: Header=BB4_6462 Depth=3
	s_and_b64 vcc, exec, s[40:41]
	s_cbranch_vccz .LBB4_6886
; %bb.6873:                             ;   in Loop: Header=BB4_6462 Depth=3
	v_mov_b32_e32 v6, 0
	v_mov_b32_e32 v1, 0
	s_and_saveexec_b64 s[40:41], s[28:29]
	s_cbranch_execz .LBB4_6879
; %bb.6874:                             ;   in Loop: Header=BB4_6462 Depth=3
	v_cmp_ne_u16_e32 vcc, s80, v16
	v_bfrev_b32_e32 v1, 1
	s_and_saveexec_b64 s[28:29], vcc
	s_cbranch_execz .LBB4_6878
; %bb.6875:                             ;   in Loop: Header=BB4_6462 Depth=3
	v_and_b32_e32 v0, 0x7f, v16
	v_cmp_ne_u32_e32 vcc, s81, v0
	v_mov_b32_e32 v1, 0x7f800001
	s_and_saveexec_b64 s[38:39], vcc
	s_cbranch_execz .LBB4_6877
; %bb.6876:                             ;   in Loop: Header=BB4_6462 Depth=3
	v_and_b32_e32 v5, 7, v16
	v_lshrrev_b32_e32 v17, 3, v0
	v_cmp_gt_u32_e32 vcc, 8, v0
	v_ffbh_u32_e32 v0, v5
	v_min_u32_e32 v20, 32, v0
	v_subrev_u32_e32 v0, 28, v20
	v_lshlrev_b64 v[0:1], v0, v[16:17]
	v_sub_u32_e32 v1, 29, v20
	v_and_b32_e32 v0, 7, v0
	v_cndmask_b32_e32 v1, v17, v1, vcc
	v_cndmask_b32_e32 v0, v5, v0, vcc
	v_lshlrev_b32_e32 v5, 16, v22
	v_lshlrev_b32_e32 v0, 20, v0
	v_and_b32_e32 v5, 0x80000000, v5
	v_lshl_add_u32 v1, v1, 23, v54
	v_or3_b32 v1, v5, v1, v0
.LBB4_6877:                             ;   in Loop: Header=BB4_6462 Depth=3
	s_or_b64 exec, exec, s[38:39]
.LBB4_6878:                             ;   in Loop: Header=BB4_6462 Depth=3
	s_or_b64 exec, exec, s[28:29]
.LBB4_6879:                             ;   in Loop: Header=BB4_6462 Depth=3
	s_or_b64 exec, exec, s[40:41]
	v_cmp_ne_u16_e32 vcc, 0, v2
	s_and_saveexec_b64 s[28:29], vcc
	s_cbranch_execz .LBB4_6885
; %bb.6880:                             ;   in Loop: Header=BB4_6462 Depth=3
	v_cmp_ne_u16_e32 vcc, s80, v2
	v_bfrev_b32_e32 v6, 1
	s_and_saveexec_b64 s[40:41], vcc
	s_cbranch_execz .LBB4_6884
; %bb.6881:                             ;   in Loop: Header=BB4_6462 Depth=3
	v_and_b32_e32 v0, 0x7f, v2
	v_cmp_ne_u32_e32 vcc, s81, v0
	v_mov_b32_e32 v6, 0x7f800001
	s_and_saveexec_b64 s[38:39], vcc
	s_cbranch_execz .LBB4_6883
; %bb.6882:                             ;   in Loop: Header=BB4_6462 Depth=3
	v_and_b32_e32 v16, 7, v2
	v_lshrrev_b32_e32 v17, 3, v0
	v_cmp_gt_u32_e32 vcc, 8, v0
	v_ffbh_u32_e32 v0, v16
	v_min_u32_e32 v0, 32, v0
	v_subrev_u32_e32 v5, 28, v0
	v_lshlrev_b64 v[5:6], v5, v[2:3]
	v_sub_u32_e32 v0, 29, v0
	v_and_b32_e32 v2, 7, v5
	v_cndmask_b32_e32 v0, v17, v0, vcc
	v_cndmask_b32_e32 v2, v16, v2, vcc
	v_lshlrev_b32_e32 v5, 16, v18
	v_lshlrev_b32_e32 v2, 20, v2
	v_and_b32_e32 v5, 0x80000000, v5
	v_lshl_add_u32 v0, v0, 23, v54
	v_or3_b32 v6, v5, v0, v2
.LBB4_6883:                             ;   in Loop: Header=BB4_6462 Depth=3
	s_or_b64 exec, exec, s[38:39]
.LBB4_6884:                             ;   in Loop: Header=BB4_6462 Depth=3
	s_or_b64 exec, exec, s[40:41]
.LBB4_6885:                             ;   in Loop: Header=BB4_6462 Depth=3
	s_or_b64 exec, exec, s[28:29]
	v_max_f32_e32 v0, v6, v6
	v_max_f32_e32 v1, v1, v1
	v_min_f32_e32 v6, v1, v0
.LBB4_6886:                             ;   in Loop: Header=BB4_6462 Depth=3
	v_and_b32_e32 v2, 0x7f800000, v6
	v_cmp_ne_u64_e32 vcc, s[76:77], v[2:3]
                                        ; implicit-def: $vgpr34
	s_and_saveexec_b64 s[28:29], vcc
	s_xor_b64 s[40:41], exec, s[28:29]
	s_cbranch_execz .LBB4_6900
; %bb.6887:                             ;   in Loop: Header=BB4_6462 Depth=3
	v_and_b32_e32 v2, 0x7fffffff, v6
	v_cmp_gt_u64_e32 vcc, s[78:79], v[2:3]
	v_and_b32_sdwa v1, v6, s80 dst_sel:DWORD dst_unused:UNUSED_PAD src0_sel:BYTE_3 src1_sel:DWORD
                                        ; implicit-def: $vgpr34
	s_and_saveexec_b64 s[28:29], vcc
	s_xor_b64 s[38:39], exec, s[28:29]
	s_cbranch_execz .LBB4_6897
; %bb.6888:                             ;   in Loop: Header=BB4_6462 Depth=3
	v_mov_b32_e32 v34, 0
	v_cmp_ne_u32_e32 vcc, 0, v6
	s_and_saveexec_b64 s[48:49], vcc
	s_cbranch_execz .LBB4_6896
; %bb.6889:                             ;   in Loop: Header=BB4_6462 Depth=3
	v_and_b32_e32 v0, 0x7fffff, v6
	v_bfe_u32 v6, v6, 23, 8
	v_cmp_gt_u32_e64 s[28:29], s83, v6
	v_sub_u32_e32 v2, 0x79, v6
	v_cmp_eq_u32_e32 vcc, 0, v6
	v_cndmask_b32_e64 v2, 0, v2, s[28:29]
	v_mov_b32_e32 v16, 0x78
	v_or_b32_e32 v5, 0x800000, v0
	v_cndmask_b32_e32 v24, v2, v16, vcc
	v_cndmask_b32_e32 v2, v5, v0, vcc
	v_add_u32_e32 v0, 20, v24
	v_lshlrev_b64 v[16:17], v0, -1
	v_add_u32_e32 v0, 19, v24
	v_lshlrev_b64 v[20:21], v0, 1
	v_bfi_b32 v17, v17, 0, 0
	v_bfi_b32 v16, v16, 0, v2
	v_cmp_eq_u64_e64 s[28:29], v[16:17], v[20:21]
	v_lshrrev_b64 v[16:17], v24, v[2:3]
	v_mov_b32_e32 v21, v17
	v_mov_b32_e32 v20, v16
	s_and_saveexec_b64 s[50:51], s[28:29]
; %bb.6890:                             ;   in Loop: Header=BB4_6462 Depth=3
	v_bfe_u32 v0, v16, 20, 1
	v_add_co_u32_e64 v0, s[28:29], v16, v0
	v_add_co_u32_e64 v20, s[28:29], -1, v0
; %bb.6891:                             ;   in Loop: Header=BB4_6462 Depth=3
	s_or_b64 exec, exec, s[50:51]
	v_add_u32_e32 v0, 0xffffff81, v6
	v_mov_b32_e32 v2, 0xffffff82
	v_cndmask_b32_e32 v0, v0, v2, vcc
	v_lshrrev_b32_e32 v2, 23, v16
	v_add3_u32 v5, v24, v0, v2
	v_add_u32_e32 v0, 6, v5
	v_and_b32_e32 v2, 0xfffff, v20
	v_add_u32_e32 v2, v2, v16
	v_cmp_ne_u32_e32 vcc, 0, v0
                                        ; implicit-def: $vgpr16_vgpr17
                                        ; implicit-def: $vgpr6
	s_and_saveexec_b64 s[28:29], vcc
	s_xor_b64 s[28:29], exec, s[28:29]
; %bb.6892:                             ;   in Loop: Header=BB4_6462 Depth=3
	v_cmp_lt_u64_e32 vcc, s[88:89], v[2:3]
	v_add_u32_e32 v5, 7, v5
	v_cndmask_b32_e32 v6, v0, v5, vcc
	v_cndmask_b32_e64 v0, 0, 1, vcc
	v_lshrrev_b64 v[16:17], v0, v[2:3]
; %bb.6893:                             ;   in Loop: Header=BB4_6462 Depth=3
	s_andn2_saveexec_b64 s[28:29], s[28:29]
; %bb.6894:                             ;   in Loop: Header=BB4_6462 Depth=3
	v_mov_b32_e32 v17, v3
	v_bfe_u32 v6, v2, 23, 1
	v_mov_b32_e32 v16, v2
; %bb.6895:                             ;   in Loop: Header=BB4_6462 Depth=3
	s_or_b64 exec, exec, s[28:29]
	v_lshrrev_b64 v[16:17], 20, v[16:17]
	v_cmp_gt_i32_e32 vcc, 16, v6
	v_cndmask_b32_e32 v17, 0, v17, vcc
	v_cndmask_b32_e32 v16, 7, v16, vcc
	v_min_i32_e32 v0, 15, v6
	v_cmp_eq_u64_e64 s[28:29], 0, v[16:17]
	v_lshlrev_b32_e32 v0, 3, v0
	v_cmp_eq_u32_e32 vcc, 0, v6
	v_and_b32_e32 v0, 0xf8, v0
	v_and_or_b32 v0, v16, 7, v0
	s_and_b64 s[28:29], vcc, s[28:29]
	v_cndmask_b32_e64 v0, v0, 0, s[28:29]
	v_or_b32_e32 v34, v0, v1
.LBB4_6896:                             ;   in Loop: Header=BB4_6462 Depth=3
	s_or_b64 exec, exec, s[48:49]
                                        ; implicit-def: $vgpr1
.LBB4_6897:                             ;   in Loop: Header=BB4_6462 Depth=3
	s_andn2_saveexec_b64 s[28:29], s[38:39]
; %bb.6898:                             ;   in Loop: Header=BB4_6462 Depth=3
	v_or_b32_e32 v34, 0x7e, v1
; %bb.6899:                             ;   in Loop: Header=BB4_6462 Depth=3
	s_or_b64 exec, exec, s[28:29]
                                        ; implicit-def: $vgpr6
.LBB4_6900:                             ;   in Loop: Header=BB4_6462 Depth=3
	s_andn2_saveexec_b64 s[28:29], s[40:41]
; %bb.6901:                             ;   in Loop: Header=BB4_6462 Depth=3
	v_or_b32_sdwa v34, v6, s81 dst_sel:DWORD dst_unused:UNUSED_PAD src0_sel:BYTE_3 src1_sel:DWORD
; %bb.6902:                             ;   in Loop: Header=BB4_6462 Depth=3
	s_or_b64 exec, exec, s[28:29]
	v_lshrrev_b32_e32 v16, 16, v22
	v_lshrrev_b32_e32 v2, 16, v18
	v_cmp_ne_u16_sdwa s[28:29], v16, v3 src0_sel:BYTE_0 src1_sel:DWORD
	s_mov_b64 s[40:41], -1
	s_and_b64 vcc, exec, s[46:47]
                                        ; implicit-def: $vgpr6
	s_cbranch_vccz .LBB4_6916
; %bb.6903:                             ;   in Loop: Header=BB4_6462 Depth=3
	v_mov_b32_e32 v6, 0
	v_mov_b32_e32 v1, 0
	s_and_saveexec_b64 s[40:41], s[28:29]
	s_cbranch_execz .LBB4_6909
; %bb.6904:                             ;   in Loop: Header=BB4_6462 Depth=3
	v_cmp_ne_u16_sdwa vcc, v16, s80 src0_sel:BYTE_0 src1_sel:DWORD
	v_bfrev_b32_e32 v1, 1
	s_and_saveexec_b64 s[38:39], vcc
	s_cbranch_execz .LBB4_6908
; %bb.6905:                             ;   in Loop: Header=BB4_6462 Depth=3
	v_bfe_u32 v0, v22, 16, 7
	v_cmp_ne_u32_e32 vcc, s81, v0
	v_mov_b32_e32 v1, 0x7f800001
	s_and_saveexec_b64 s[48:49], vcc
	s_cbranch_execz .LBB4_6907
; %bb.6906:                             ;   in Loop: Header=BB4_6462 Depth=3
	v_and_b32_e32 v5, 7, v16
	v_lshrrev_b32_e32 v17, 3, v0
	v_cmp_gt_u32_e32 vcc, 8, v0
	v_ffbh_u32_e32 v0, v5
	v_min_u32_e32 v20, 32, v0
	v_subrev_u32_e32 v0, 28, v20
	v_lshlrev_b64 v[0:1], v0, v[16:17]
	v_sub_u32_e32 v1, 29, v20
	v_and_b32_e32 v0, 7, v0
	v_cndmask_b32_e32 v1, v17, v1, vcc
	v_cndmask_b32_e32 v0, v5, v0, vcc
	v_lshlrev_b32_e32 v5, 24, v16
	v_lshlrev_b32_e32 v0, 20, v0
	v_and_b32_e32 v5, 0x80000000, v5
	v_lshl_add_u32 v1, v1, 23, v54
	v_or3_b32 v1, v5, v1, v0
.LBB4_6907:                             ;   in Loop: Header=BB4_6462 Depth=3
	s_or_b64 exec, exec, s[48:49]
.LBB4_6908:                             ;   in Loop: Header=BB4_6462 Depth=3
	s_or_b64 exec, exec, s[38:39]
.LBB4_6909:                             ;   in Loop: Header=BB4_6462 Depth=3
	s_or_b64 exec, exec, s[40:41]
	v_cmp_ne_u16_sdwa vcc, v2, v3 src0_sel:BYTE_0 src1_sel:DWORD
	s_and_saveexec_b64 s[40:41], vcc
	s_cbranch_execz .LBB4_6915
; %bb.6910:                             ;   in Loop: Header=BB4_6462 Depth=3
	v_cmp_ne_u16_sdwa vcc, v2, s80 src0_sel:BYTE_0 src1_sel:DWORD
	v_bfrev_b32_e32 v6, 1
	s_and_saveexec_b64 s[38:39], vcc
	s_cbranch_execz .LBB4_6914
; %bb.6911:                             ;   in Loop: Header=BB4_6462 Depth=3
	v_bfe_u32 v0, v18, 16, 7
	v_cmp_ne_u32_e32 vcc, s81, v0
	v_mov_b32_e32 v6, 0x7f800001
	s_and_saveexec_b64 s[48:49], vcc
	s_cbranch_execz .LBB4_6913
; %bb.6912:                             ;   in Loop: Header=BB4_6462 Depth=3
	v_and_b32_e32 v17, 7, v2
	v_lshrrev_b32_e32 v20, 3, v0
	v_cmp_gt_u32_e32 vcc, 8, v0
	v_ffbh_u32_e32 v0, v17
	v_min_u32_e32 v0, 32, v0
	v_subrev_u32_e32 v5, 28, v0
	v_lshlrev_b64 v[5:6], v5, v[2:3]
	v_sub_u32_e32 v0, 29, v0
	v_and_b32_e32 v5, 7, v5
	v_cndmask_b32_e32 v0, v20, v0, vcc
	v_cndmask_b32_e32 v5, v17, v5, vcc
	v_lshlrev_b32_e32 v6, 24, v2
	v_lshlrev_b32_e32 v5, 20, v5
	v_and_b32_e32 v6, 0x80000000, v6
	v_lshl_add_u32 v0, v0, 23, v54
	v_or3_b32 v6, v6, v0, v5
.LBB4_6913:                             ;   in Loop: Header=BB4_6462 Depth=3
	s_or_b64 exec, exec, s[48:49]
.LBB4_6914:                             ;   in Loop: Header=BB4_6462 Depth=3
	s_or_b64 exec, exec, s[38:39]
.LBB4_6915:                             ;   in Loop: Header=BB4_6462 Depth=3
	s_or_b64 exec, exec, s[40:41]
	v_max_f32_e32 v0, v6, v6
	v_max_f32_e32 v1, v1, v1
	v_max_f32_e32 v6, v1, v0
	s_mov_b64 s[40:41], 0
.LBB4_6916:                             ;   in Loop: Header=BB4_6462 Depth=3
	s_and_b64 vcc, exec, s[40:41]
	s_cbranch_vccz .LBB4_6930
; %bb.6917:                             ;   in Loop: Header=BB4_6462 Depth=3
	v_mov_b32_e32 v6, 0
	v_mov_b32_e32 v1, 0
	s_and_saveexec_b64 s[40:41], s[28:29]
	s_cbranch_execz .LBB4_6923
; %bb.6918:                             ;   in Loop: Header=BB4_6462 Depth=3
	v_cmp_ne_u16_sdwa vcc, v16, s80 src0_sel:BYTE_0 src1_sel:DWORD
	v_bfrev_b32_e32 v1, 1
	s_and_saveexec_b64 s[28:29], vcc
	s_cbranch_execz .LBB4_6922
; %bb.6919:                             ;   in Loop: Header=BB4_6462 Depth=3
	v_bfe_u32 v0, v22, 16, 7
	v_cmp_ne_u32_e32 vcc, s81, v0
	v_mov_b32_e32 v1, 0x7f800001
	s_and_saveexec_b64 s[38:39], vcc
	s_cbranch_execz .LBB4_6921
; %bb.6920:                             ;   in Loop: Header=BB4_6462 Depth=3
	v_and_b32_e32 v5, 7, v16
	v_lshrrev_b32_e32 v17, 3, v0
	v_cmp_gt_u32_e32 vcc, 8, v0
	v_ffbh_u32_e32 v0, v5
	v_min_u32_e32 v20, 32, v0
	v_subrev_u32_e32 v0, 28, v20
	v_lshlrev_b64 v[0:1], v0, v[16:17]
	v_sub_u32_e32 v1, 29, v20
	v_and_b32_e32 v0, 7, v0
	v_cndmask_b32_e32 v1, v17, v1, vcc
	v_cndmask_b32_e32 v0, v5, v0, vcc
	v_lshlrev_b32_e32 v5, 24, v16
	v_lshlrev_b32_e32 v0, 20, v0
	v_and_b32_e32 v5, 0x80000000, v5
	v_lshl_add_u32 v1, v1, 23, v54
	v_or3_b32 v1, v5, v1, v0
.LBB4_6921:                             ;   in Loop: Header=BB4_6462 Depth=3
	s_or_b64 exec, exec, s[38:39]
.LBB4_6922:                             ;   in Loop: Header=BB4_6462 Depth=3
	s_or_b64 exec, exec, s[28:29]
.LBB4_6923:                             ;   in Loop: Header=BB4_6462 Depth=3
	s_or_b64 exec, exec, s[40:41]
	v_cmp_ne_u16_sdwa s[40:41], v2, v3 src0_sel:BYTE_0 src1_sel:DWORD
	s_and_saveexec_b64 s[28:29], s[40:41]
	s_cbranch_execz .LBB4_6929
; %bb.6924:                             ;   in Loop: Header=BB4_6462 Depth=3
	v_cmp_ne_u16_sdwa vcc, v2, s80 src0_sel:BYTE_0 src1_sel:DWORD
	v_bfrev_b32_e32 v6, 1
	s_and_saveexec_b64 s[40:41], vcc
	s_cbranch_execz .LBB4_6928
; %bb.6925:                             ;   in Loop: Header=BB4_6462 Depth=3
	v_bfe_u32 v0, v18, 16, 7
	v_cmp_ne_u32_e32 vcc, s81, v0
	v_mov_b32_e32 v6, 0x7f800001
	s_and_saveexec_b64 s[38:39], vcc
	s_cbranch_execz .LBB4_6927
; %bb.6926:                             ;   in Loop: Header=BB4_6462 Depth=3
	v_and_b32_e32 v16, 7, v2
	v_lshrrev_b32_e32 v17, 3, v0
	v_cmp_gt_u32_e32 vcc, 8, v0
	v_ffbh_u32_e32 v0, v16
	v_min_u32_e32 v0, 32, v0
	v_subrev_u32_e32 v5, 28, v0
	v_lshlrev_b64 v[5:6], v5, v[2:3]
	v_sub_u32_e32 v0, 29, v0
	v_and_b32_e32 v5, 7, v5
	v_cndmask_b32_e32 v0, v17, v0, vcc
	v_cndmask_b32_e32 v5, v16, v5, vcc
	v_lshlrev_b32_e32 v2, 24, v2
	v_lshlrev_b32_e32 v5, 20, v5
	v_and_b32_e32 v2, 0x80000000, v2
	v_lshl_add_u32 v0, v0, 23, v54
	v_or3_b32 v6, v2, v0, v5
.LBB4_6927:                             ;   in Loop: Header=BB4_6462 Depth=3
	s_or_b64 exec, exec, s[38:39]
.LBB4_6928:                             ;   in Loop: Header=BB4_6462 Depth=3
	s_or_b64 exec, exec, s[40:41]
.LBB4_6929:                             ;   in Loop: Header=BB4_6462 Depth=3
	s_or_b64 exec, exec, s[28:29]
	v_max_f32_e32 v0, v6, v6
	v_max_f32_e32 v1, v1, v1
	v_min_f32_e32 v6, v1, v0
.LBB4_6930:                             ;   in Loop: Header=BB4_6462 Depth=3
	v_and_b32_e32 v2, 0x7f800000, v6
	v_cmp_ne_u64_e32 vcc, s[76:77], v[2:3]
                                        ; implicit-def: $vgpr35
	s_and_saveexec_b64 s[28:29], vcc
	s_xor_b64 s[40:41], exec, s[28:29]
	s_cbranch_execz .LBB4_6944
; %bb.6931:                             ;   in Loop: Header=BB4_6462 Depth=3
	v_and_b32_e32 v2, 0x7fffffff, v6
	v_cmp_gt_u64_e32 vcc, s[78:79], v[2:3]
	v_and_b32_sdwa v1, v6, s80 dst_sel:DWORD dst_unused:UNUSED_PAD src0_sel:BYTE_3 src1_sel:DWORD
                                        ; implicit-def: $vgpr35
	s_and_saveexec_b64 s[28:29], vcc
	s_xor_b64 s[38:39], exec, s[28:29]
	s_cbranch_execz .LBB4_6941
; %bb.6932:                             ;   in Loop: Header=BB4_6462 Depth=3
	v_mov_b32_e32 v35, 0
	v_cmp_ne_u32_e32 vcc, 0, v6
	s_and_saveexec_b64 s[48:49], vcc
	s_cbranch_execz .LBB4_6940
; %bb.6933:                             ;   in Loop: Header=BB4_6462 Depth=3
	v_and_b32_e32 v0, 0x7fffff, v6
	v_bfe_u32 v6, v6, 23, 8
	v_cmp_gt_u32_e64 s[28:29], s83, v6
	v_sub_u32_e32 v2, 0x79, v6
	v_cmp_eq_u32_e32 vcc, 0, v6
	v_cndmask_b32_e64 v2, 0, v2, s[28:29]
	v_mov_b32_e32 v16, 0x78
	v_or_b32_e32 v5, 0x800000, v0
	v_cndmask_b32_e32 v24, v2, v16, vcc
	v_cndmask_b32_e32 v2, v5, v0, vcc
	v_add_u32_e32 v0, 20, v24
	v_lshlrev_b64 v[16:17], v0, -1
	v_add_u32_e32 v0, 19, v24
	v_lshlrev_b64 v[20:21], v0, 1
	v_bfi_b32 v17, v17, 0, 0
	v_bfi_b32 v16, v16, 0, v2
	v_cmp_eq_u64_e64 s[28:29], v[16:17], v[20:21]
	v_lshrrev_b64 v[16:17], v24, v[2:3]
	v_mov_b32_e32 v21, v17
	v_mov_b32_e32 v20, v16
	s_and_saveexec_b64 s[50:51], s[28:29]
; %bb.6934:                             ;   in Loop: Header=BB4_6462 Depth=3
	v_bfe_u32 v0, v16, 20, 1
	v_add_co_u32_e64 v0, s[28:29], v16, v0
	v_add_co_u32_e64 v20, s[28:29], -1, v0
; %bb.6935:                             ;   in Loop: Header=BB4_6462 Depth=3
	s_or_b64 exec, exec, s[50:51]
	v_add_u32_e32 v0, 0xffffff81, v6
	v_mov_b32_e32 v2, 0xffffff82
	v_cndmask_b32_e32 v0, v0, v2, vcc
	v_lshrrev_b32_e32 v2, 23, v16
	v_add3_u32 v5, v24, v0, v2
	v_add_u32_e32 v0, 6, v5
	v_and_b32_e32 v2, 0xfffff, v20
	v_add_u32_e32 v2, v2, v16
	v_cmp_ne_u32_e32 vcc, 0, v0
                                        ; implicit-def: $vgpr16_vgpr17
                                        ; implicit-def: $vgpr6
	s_and_saveexec_b64 s[28:29], vcc
	s_xor_b64 s[28:29], exec, s[28:29]
; %bb.6936:                             ;   in Loop: Header=BB4_6462 Depth=3
	v_cmp_lt_u64_e32 vcc, s[88:89], v[2:3]
	v_add_u32_e32 v5, 7, v5
	v_cndmask_b32_e32 v6, v0, v5, vcc
	v_cndmask_b32_e64 v0, 0, 1, vcc
	v_lshrrev_b64 v[16:17], v0, v[2:3]
; %bb.6937:                             ;   in Loop: Header=BB4_6462 Depth=3
	s_andn2_saveexec_b64 s[28:29], s[28:29]
; %bb.6938:                             ;   in Loop: Header=BB4_6462 Depth=3
	v_mov_b32_e32 v17, v3
	v_bfe_u32 v6, v2, 23, 1
	v_mov_b32_e32 v16, v2
; %bb.6939:                             ;   in Loop: Header=BB4_6462 Depth=3
	s_or_b64 exec, exec, s[28:29]
	v_lshrrev_b64 v[16:17], 20, v[16:17]
	v_cmp_gt_i32_e32 vcc, 16, v6
	v_cndmask_b32_e32 v17, 0, v17, vcc
	v_cndmask_b32_e32 v16, 7, v16, vcc
	v_min_i32_e32 v0, 15, v6
	v_cmp_eq_u64_e64 s[28:29], 0, v[16:17]
	v_lshlrev_b32_e32 v0, 3, v0
	v_cmp_eq_u32_e32 vcc, 0, v6
	v_and_b32_e32 v0, 0xf8, v0
	v_and_or_b32 v0, v16, 7, v0
	s_and_b64 s[28:29], vcc, s[28:29]
	v_cndmask_b32_e64 v0, v0, 0, s[28:29]
	v_or_b32_e32 v35, v0, v1
.LBB4_6940:                             ;   in Loop: Header=BB4_6462 Depth=3
	s_or_b64 exec, exec, s[48:49]
                                        ; implicit-def: $vgpr1
.LBB4_6941:                             ;   in Loop: Header=BB4_6462 Depth=3
	s_andn2_saveexec_b64 s[28:29], s[38:39]
; %bb.6942:                             ;   in Loop: Header=BB4_6462 Depth=3
	v_or_b32_e32 v35, 0x7e, v1
; %bb.6943:                             ;   in Loop: Header=BB4_6462 Depth=3
	s_or_b64 exec, exec, s[28:29]
                                        ; implicit-def: $vgpr6
.LBB4_6944:                             ;   in Loop: Header=BB4_6462 Depth=3
	s_andn2_saveexec_b64 s[28:29], s[40:41]
; %bb.6945:                             ;   in Loop: Header=BB4_6462 Depth=3
	v_or_b32_sdwa v35, v6, s81 dst_sel:DWORD dst_unused:UNUSED_PAD src0_sel:BYTE_3 src1_sel:DWORD
; %bb.6946:                             ;   in Loop: Header=BB4_6462 Depth=3
	s_or_b64 exec, exec, s[28:29]
	v_lshrrev_b32_e32 v16, 24, v22
	v_lshrrev_b32_e32 v2, 24, v18
	v_cmp_lt_u32_e64 s[28:29], s63, v22
	s_mov_b64 s[40:41], -1
	s_and_b64 vcc, exec, s[46:47]
                                        ; implicit-def: $vgpr17
	s_cbranch_vccz .LBB4_6960
; %bb.6947:                             ;   in Loop: Header=BB4_6462 Depth=3
	v_mov_b32_e32 v6, 0
	v_mov_b32_e32 v1, 0
	s_and_saveexec_b64 s[40:41], s[28:29]
	s_cbranch_execz .LBB4_6953
; %bb.6948:                             ;   in Loop: Header=BB4_6462 Depth=3
	v_cmp_ne_u32_e32 vcc, s80, v16
	v_bfrev_b32_e32 v1, 1
	s_and_saveexec_b64 s[38:39], vcc
	s_cbranch_execz .LBB4_6952
; %bb.6949:                             ;   in Loop: Header=BB4_6462 Depth=3
	v_bfe_u32 v0, v22, 24, 7
	v_cmp_ne_u32_e32 vcc, s81, v0
	v_mov_b32_e32 v1, 0x7f800001
	s_and_saveexec_b64 s[48:49], vcc
	s_cbranch_execz .LBB4_6951
; %bb.6950:                             ;   in Loop: Header=BB4_6462 Depth=3
	v_and_b32_e32 v5, 7, v16
	v_lshrrev_b32_e32 v17, 3, v0
	v_cmp_gt_u32_e32 vcc, 8, v0
	v_ffbh_u32_e32 v0, v5
	v_min_u32_e32 v20, 32, v0
	v_subrev_u32_e32 v0, 28, v20
	v_lshlrev_b64 v[0:1], v0, v[16:17]
	v_sub_u32_e32 v1, 29, v20
	v_and_b32_e32 v0, 7, v0
	v_cndmask_b32_e32 v1, v17, v1, vcc
	v_cndmask_b32_e32 v0, v5, v0, vcc
	v_lshlrev_b32_e32 v5, 24, v16
	v_lshlrev_b32_e32 v0, 20, v0
	v_and_b32_e32 v5, 0x80000000, v5
	v_lshl_add_u32 v1, v1, 23, v54
	v_or3_b32 v1, v5, v1, v0
.LBB4_6951:                             ;   in Loop: Header=BB4_6462 Depth=3
	s_or_b64 exec, exec, s[48:49]
.LBB4_6952:                             ;   in Loop: Header=BB4_6462 Depth=3
	s_or_b64 exec, exec, s[38:39]
.LBB4_6953:                             ;   in Loop: Header=BB4_6462 Depth=3
	s_or_b64 exec, exec, s[40:41]
	v_cmp_lt_u32_e32 vcc, s63, v18
	s_and_saveexec_b64 s[40:41], vcc
	s_cbranch_execz .LBB4_6959
; %bb.6954:                             ;   in Loop: Header=BB4_6462 Depth=3
	v_cmp_ne_u32_e32 vcc, s80, v2
	v_bfrev_b32_e32 v6, 1
	s_and_saveexec_b64 s[38:39], vcc
	s_cbranch_execz .LBB4_6958
; %bb.6955:                             ;   in Loop: Header=BB4_6462 Depth=3
	v_bfe_u32 v0, v18, 24, 7
	v_cmp_ne_u32_e32 vcc, s81, v0
	v_mov_b32_e32 v6, 0x7f800001
	s_and_saveexec_b64 s[48:49], vcc
	s_cbranch_execz .LBB4_6957
; %bb.6956:                             ;   in Loop: Header=BB4_6462 Depth=3
	v_and_b32_e32 v17, 7, v2
	v_lshrrev_b32_e32 v20, 3, v0
	v_cmp_gt_u32_e32 vcc, 8, v0
	v_ffbh_u32_e32 v0, v17
	v_min_u32_e32 v0, 32, v0
	v_subrev_u32_e32 v5, 28, v0
	v_lshlrev_b64 v[5:6], v5, v[2:3]
	v_sub_u32_e32 v0, 29, v0
	v_and_b32_e32 v5, 7, v5
	v_cndmask_b32_e32 v0, v20, v0, vcc
	v_cndmask_b32_e32 v5, v17, v5, vcc
	v_lshlrev_b32_e32 v6, 24, v2
	v_lshlrev_b32_e32 v5, 20, v5
	v_and_b32_e32 v6, 0x80000000, v6
	v_lshl_add_u32 v0, v0, 23, v54
	v_or3_b32 v6, v6, v0, v5
.LBB4_6957:                             ;   in Loop: Header=BB4_6462 Depth=3
	s_or_b64 exec, exec, s[48:49]
.LBB4_6958:                             ;   in Loop: Header=BB4_6462 Depth=3
	s_or_b64 exec, exec, s[38:39]
.LBB4_6959:                             ;   in Loop: Header=BB4_6462 Depth=3
	s_or_b64 exec, exec, s[40:41]
	v_max_f32_e32 v0, v6, v6
	v_max_f32_e32 v1, v1, v1
	;; [unrolled: 1-line block ×3, first 2 shown]
	s_mov_b64 s[40:41], 0
.LBB4_6960:                             ;   in Loop: Header=BB4_6462 Depth=3
	s_and_b64 vcc, exec, s[40:41]
	s_cbranch_vccz .LBB4_6974
; %bb.6961:                             ;   in Loop: Header=BB4_6462 Depth=3
	v_mov_b32_e32 v6, 0
	v_mov_b32_e32 v1, 0
	s_and_saveexec_b64 s[40:41], s[28:29]
	s_cbranch_execz .LBB4_6967
; %bb.6962:                             ;   in Loop: Header=BB4_6462 Depth=3
	v_cmp_ne_u32_e32 vcc, s80, v16
	v_bfrev_b32_e32 v1, 1
	s_and_saveexec_b64 s[28:29], vcc
	s_cbranch_execz .LBB4_6966
; %bb.6963:                             ;   in Loop: Header=BB4_6462 Depth=3
	v_bfe_u32 v0, v22, 24, 7
	v_cmp_ne_u32_e32 vcc, s81, v0
	v_mov_b32_e32 v1, 0x7f800001
	s_and_saveexec_b64 s[38:39], vcc
	s_cbranch_execz .LBB4_6965
; %bb.6964:                             ;   in Loop: Header=BB4_6462 Depth=3
	v_and_b32_e32 v5, 7, v16
	v_lshrrev_b32_e32 v17, 3, v0
	v_cmp_gt_u32_e32 vcc, 8, v0
	v_ffbh_u32_e32 v0, v5
	v_min_u32_e32 v20, 32, v0
	v_subrev_u32_e32 v0, 28, v20
	v_lshlrev_b64 v[0:1], v0, v[16:17]
	v_sub_u32_e32 v1, 29, v20
	v_and_b32_e32 v0, 7, v0
	v_cndmask_b32_e32 v1, v17, v1, vcc
	v_cndmask_b32_e32 v0, v5, v0, vcc
	v_lshlrev_b32_e32 v5, 24, v16
	v_lshlrev_b32_e32 v0, 20, v0
	v_and_b32_e32 v5, 0x80000000, v5
	v_lshl_add_u32 v1, v1, 23, v54
	v_or3_b32 v1, v5, v1, v0
.LBB4_6965:                             ;   in Loop: Header=BB4_6462 Depth=3
	s_or_b64 exec, exec, s[38:39]
.LBB4_6966:                             ;   in Loop: Header=BB4_6462 Depth=3
	s_or_b64 exec, exec, s[28:29]
.LBB4_6967:                             ;   in Loop: Header=BB4_6462 Depth=3
	s_or_b64 exec, exec, s[40:41]
	v_cmp_lt_u32_e32 vcc, s63, v18
	s_and_saveexec_b64 s[28:29], vcc
	s_cbranch_execz .LBB4_6973
; %bb.6968:                             ;   in Loop: Header=BB4_6462 Depth=3
	v_cmp_ne_u32_e32 vcc, s80, v2
	v_bfrev_b32_e32 v6, 1
	s_and_saveexec_b64 s[40:41], vcc
	s_cbranch_execz .LBB4_6972
; %bb.6969:                             ;   in Loop: Header=BB4_6462 Depth=3
	v_bfe_u32 v0, v18, 24, 7
	v_cmp_ne_u32_e32 vcc, s81, v0
	v_mov_b32_e32 v6, 0x7f800001
	s_and_saveexec_b64 s[38:39], vcc
	s_cbranch_execz .LBB4_6971
; %bb.6970:                             ;   in Loop: Header=BB4_6462 Depth=3
	v_and_b32_e32 v16, 7, v2
	v_lshrrev_b32_e32 v17, 3, v0
	v_cmp_gt_u32_e32 vcc, 8, v0
	v_ffbh_u32_e32 v0, v16
	v_min_u32_e32 v0, 32, v0
	v_subrev_u32_e32 v5, 28, v0
	v_lshlrev_b64 v[5:6], v5, v[2:3]
	v_sub_u32_e32 v0, 29, v0
	v_and_b32_e32 v5, 7, v5
	v_cndmask_b32_e32 v0, v17, v0, vcc
	v_cndmask_b32_e32 v5, v16, v5, vcc
	v_lshlrev_b32_e32 v2, 24, v2
	v_lshlrev_b32_e32 v5, 20, v5
	v_and_b32_e32 v2, 0x80000000, v2
	v_lshl_add_u32 v0, v0, 23, v54
	v_or3_b32 v6, v2, v0, v5
.LBB4_6971:                             ;   in Loop: Header=BB4_6462 Depth=3
	s_or_b64 exec, exec, s[38:39]
.LBB4_6972:                             ;   in Loop: Header=BB4_6462 Depth=3
	s_or_b64 exec, exec, s[40:41]
.LBB4_6973:                             ;   in Loop: Header=BB4_6462 Depth=3
	s_or_b64 exec, exec, s[28:29]
	v_max_f32_e32 v0, v6, v6
	v_max_f32_e32 v1, v1, v1
	v_min_f32_e32 v17, v1, v0
.LBB4_6974:                             ;   in Loop: Header=BB4_6462 Depth=3
	v_and_b32_e32 v2, 0x7f800000, v17
	v_cmp_ne_u64_e32 vcc, s[76:77], v[2:3]
                                        ; implicit-def: $vgpr1
	s_and_saveexec_b64 s[28:29], vcc
	s_xor_b64 s[40:41], exec, s[28:29]
	s_cbranch_execz .LBB4_6988
; %bb.6975:                             ;   in Loop: Header=BB4_6462 Depth=3
	v_and_b32_e32 v2, 0x7fffffff, v17
	v_cmp_gt_u64_e32 vcc, s[78:79], v[2:3]
	v_and_b32_sdwa v6, v17, s80 dst_sel:DWORD dst_unused:UNUSED_PAD src0_sel:BYTE_3 src1_sel:DWORD
                                        ; implicit-def: $vgpr1
	s_and_saveexec_b64 s[28:29], vcc
	s_xor_b64 s[38:39], exec, s[28:29]
	s_cbranch_execz .LBB4_6985
; %bb.6976:                             ;   in Loop: Header=BB4_6462 Depth=3
	v_mov_b32_e32 v1, 0
	v_cmp_ne_u32_e32 vcc, 0, v17
	s_and_saveexec_b64 s[48:49], vcc
	s_cbranch_execz .LBB4_6984
; %bb.6977:                             ;   in Loop: Header=BB4_6462 Depth=3
	v_bfe_u32 v1, v17, 23, 8
	v_cmp_gt_u32_e64 s[28:29], s83, v1
	v_sub_u32_e32 v2, 0x79, v1
	v_and_b32_e32 v0, 0x7fffff, v17
	v_cmp_eq_u32_e32 vcc, 0, v1
	v_cndmask_b32_e64 v2, 0, v2, s[28:29]
	v_mov_b32_e32 v16, 0x78
	v_or_b32_e32 v5, 0x800000, v0
	v_cndmask_b32_e32 v24, v2, v16, vcc
	v_cndmask_b32_e32 v2, v5, v0, vcc
	v_add_u32_e32 v0, 20, v24
	v_lshlrev_b64 v[16:17], v0, -1
	v_add_u32_e32 v0, 19, v24
	v_lshlrev_b64 v[20:21], v0, 1
	v_bfi_b32 v17, v17, 0, 0
	v_bfi_b32 v16, v16, 0, v2
	v_cmp_eq_u64_e64 s[28:29], v[16:17], v[20:21]
	v_lshrrev_b64 v[16:17], v24, v[2:3]
	v_mov_b32_e32 v21, v17
	v_mov_b32_e32 v20, v16
	s_and_saveexec_b64 s[50:51], s[28:29]
; %bb.6978:                             ;   in Loop: Header=BB4_6462 Depth=3
	v_bfe_u32 v0, v16, 20, 1
	v_add_co_u32_e64 v0, s[28:29], v16, v0
	v_add_co_u32_e64 v20, s[28:29], -1, v0
; %bb.6979:                             ;   in Loop: Header=BB4_6462 Depth=3
	s_or_b64 exec, exec, s[50:51]
	v_add_u32_e32 v0, 0xffffff81, v1
	v_mov_b32_e32 v1, 0xffffff82
	v_cndmask_b32_e32 v0, v0, v1, vcc
	v_lshrrev_b32_e32 v1, 23, v16
	v_add3_u32 v5, v24, v0, v1
	v_add_u32_e32 v0, 6, v5
	v_and_b32_e32 v1, 0xfffff, v20
	v_add_u32_e32 v2, v1, v16
	v_cmp_ne_u32_e32 vcc, 0, v0
                                        ; implicit-def: $vgpr16_vgpr17
                                        ; implicit-def: $vgpr1
	s_and_saveexec_b64 s[28:29], vcc
	s_xor_b64 s[28:29], exec, s[28:29]
; %bb.6980:                             ;   in Loop: Header=BB4_6462 Depth=3
	v_cmp_lt_u64_e32 vcc, s[88:89], v[2:3]
	v_add_u32_e32 v1, 7, v5
	v_cndmask_b32_e32 v1, v0, v1, vcc
	v_cndmask_b32_e64 v0, 0, 1, vcc
	v_lshrrev_b64 v[16:17], v0, v[2:3]
; %bb.6981:                             ;   in Loop: Header=BB4_6462 Depth=3
	s_andn2_saveexec_b64 s[28:29], s[28:29]
; %bb.6982:                             ;   in Loop: Header=BB4_6462 Depth=3
	v_mov_b32_e32 v17, v3
	v_bfe_u32 v1, v2, 23, 1
	v_mov_b32_e32 v16, v2
; %bb.6983:                             ;   in Loop: Header=BB4_6462 Depth=3
	s_or_b64 exec, exec, s[28:29]
	v_lshrrev_b64 v[16:17], 20, v[16:17]
	v_cmp_gt_i32_e32 vcc, 16, v1
	v_cndmask_b32_e32 v17, 0, v17, vcc
	v_cndmask_b32_e32 v16, 7, v16, vcc
	v_min_i32_e32 v0, 15, v1
	v_cmp_eq_u64_e64 s[28:29], 0, v[16:17]
	v_lshlrev_b32_e32 v0, 3, v0
	v_cmp_eq_u32_e32 vcc, 0, v1
	v_and_b32_e32 v0, 0xf8, v0
	v_and_or_b32 v0, v16, 7, v0
	s_and_b64 s[28:29], vcc, s[28:29]
	v_cndmask_b32_e64 v0, v0, 0, s[28:29]
	v_or_b32_e32 v1, v0, v6
.LBB4_6984:                             ;   in Loop: Header=BB4_6462 Depth=3
	s_or_b64 exec, exec, s[48:49]
                                        ; implicit-def: $vgpr6
.LBB4_6985:                             ;   in Loop: Header=BB4_6462 Depth=3
	s_andn2_saveexec_b64 s[28:29], s[38:39]
; %bb.6986:                             ;   in Loop: Header=BB4_6462 Depth=3
	v_or_b32_e32 v1, 0x7e, v6
; %bb.6987:                             ;   in Loop: Header=BB4_6462 Depth=3
	s_or_b64 exec, exec, s[28:29]
                                        ; implicit-def: $vgpr17
.LBB4_6988:                             ;   in Loop: Header=BB4_6462 Depth=3
	s_andn2_saveexec_b64 s[28:29], s[40:41]
; %bb.6989:                             ;   in Loop: Header=BB4_6462 Depth=3
	v_or_b32_sdwa v1, v17, s81 dst_sel:DWORD dst_unused:UNUSED_PAD src0_sel:BYTE_3 src1_sel:DWORD
; %bb.6990:                             ;   in Loop: Header=BB4_6462 Depth=3
	s_or_b64 exec, exec, s[28:29]
	v_mov_b32_e32 v2, v23
	v_mov_b32_e32 v16, v19
	v_mov_b32_e32 v17, v3
	v_cmp_ne_u16_sdwa s[28:29], v23, v3 src0_sel:BYTE_0 src1_sel:DWORD
	s_mov_b64 s[40:41], -1
	s_and_b64 vcc, exec, s[46:47]
                                        ; implicit-def: $vgpr20
	s_cbranch_vccz .LBB4_7004
; %bb.6991:                             ;   in Loop: Header=BB4_6462 Depth=3
	v_mov_b32_e32 v20, 0
	v_mov_b32_e32 v6, 0
	s_and_saveexec_b64 s[40:41], s[28:29]
	s_cbranch_execz .LBB4_6997
; %bb.6992:                             ;   in Loop: Header=BB4_6462 Depth=3
	v_cmp_ne_u16_sdwa vcc, v23, s80 src0_sel:BYTE_0 src1_sel:DWORD
	v_bfrev_b32_e32 v6, 1
	s_and_saveexec_b64 s[38:39], vcc
	s_cbranch_execz .LBB4_6996
; %bb.6993:                             ;   in Loop: Header=BB4_6462 Depth=3
	v_and_b32_e32 v0, 0x7f, v23
	v_cmp_ne_u32_e32 vcc, s81, v0
	v_mov_b32_e32 v6, 0x7f800001
	s_and_saveexec_b64 s[48:49], vcc
	s_cbranch_execz .LBB4_6995
; %bb.6994:                             ;   in Loop: Header=BB4_6462 Depth=3
	v_and_b32_e32 v5, 7, v23
	v_lshrrev_b32_e32 v6, 3, v0
	v_cmp_gt_u32_e32 vcc, 8, v0
	v_ffbh_u32_e32 v0, v5
	v_min_u32_e32 v0, 32, v0
	v_subrev_u32_e32 v5, 28, v0
	v_sub_u32_e32 v0, 29, v0
	v_cndmask_b32_e32 v5, 0, v5, vcc
	v_cndmask_b32_e32 v0, v6, v0, vcc
	v_lshlrev_b64 v[5:6], v5, v[2:3]
	v_lshlrev_b32_e32 v6, 24, v2
	v_lshlrev_b32_e32 v5, 20, v5
	v_and_b32_e32 v5, 0x700000, v5
	v_and_b32_e32 v6, 0x80000000, v6
	v_lshl_add_u32 v0, v0, 23, v54
	v_or3_b32 v6, v6, v0, v5
.LBB4_6995:                             ;   in Loop: Header=BB4_6462 Depth=3
	s_or_b64 exec, exec, s[48:49]
.LBB4_6996:                             ;   in Loop: Header=BB4_6462 Depth=3
	s_or_b64 exec, exec, s[38:39]
.LBB4_6997:                             ;   in Loop: Header=BB4_6462 Depth=3
	s_or_b64 exec, exec, s[40:41]
	v_cmp_ne_u16_sdwa vcc, v19, v3 src0_sel:BYTE_0 src1_sel:DWORD
	s_and_saveexec_b64 s[40:41], vcc
	s_cbranch_execz .LBB4_7003
; %bb.6998:                             ;   in Loop: Header=BB4_6462 Depth=3
	v_cmp_ne_u16_sdwa vcc, v19, s80 src0_sel:BYTE_0 src1_sel:DWORD
	v_bfrev_b32_e32 v20, 1
	s_and_saveexec_b64 s[38:39], vcc
	s_cbranch_execz .LBB4_7002
; %bb.6999:                             ;   in Loop: Header=BB4_6462 Depth=3
	v_and_b32_e32 v0, 0x7f, v19
	v_cmp_ne_u32_e32 vcc, s81, v0
	v_mov_b32_e32 v20, 0x7f800001
	s_and_saveexec_b64 s[48:49], vcc
	s_cbranch_execz .LBB4_7001
; %bb.7000:                             ;   in Loop: Header=BB4_6462 Depth=3
	v_and_b32_e32 v5, 7, v19
	v_lshrrev_b32_e32 v20, 3, v0
	v_cmp_gt_u32_e32 vcc, 8, v0
	v_ffbh_u32_e32 v0, v5
	v_min_u32_e32 v0, 32, v0
	v_subrev_u32_e32 v5, 28, v0
	v_sub_u32_e32 v0, 29, v0
	v_cndmask_b32_e32 v5, 0, v5, vcc
	v_cndmask_b32_e32 v0, v20, v0, vcc
	v_lshlrev_b64 v[20:21], v5, v[16:17]
	v_lshl_add_u32 v0, v0, 23, v54
	v_lshlrev_b32_e32 v5, 20, v20
	v_lshlrev_b32_e32 v20, 24, v16
	v_and_b32_e32 v5, 0x700000, v5
	v_and_b32_e32 v20, 0x80000000, v20
	v_or3_b32 v20, v20, v0, v5
.LBB4_7001:                             ;   in Loop: Header=BB4_6462 Depth=3
	s_or_b64 exec, exec, s[48:49]
.LBB4_7002:                             ;   in Loop: Header=BB4_6462 Depth=3
	s_or_b64 exec, exec, s[38:39]
.LBB4_7003:                             ;   in Loop: Header=BB4_6462 Depth=3
	s_or_b64 exec, exec, s[40:41]
	v_max_f32_e32 v0, v20, v20
	v_max_f32_e32 v5, v6, v6
	;; [unrolled: 1-line block ×3, first 2 shown]
	s_mov_b64 s[40:41], 0
.LBB4_7004:                             ;   in Loop: Header=BB4_6462 Depth=3
	s_and_b64 vcc, exec, s[40:41]
	s_cbranch_vccz .LBB4_7018
; %bb.7005:                             ;   in Loop: Header=BB4_6462 Depth=3
	v_mov_b32_e32 v20, 0
	v_mov_b32_e32 v6, 0
	s_and_saveexec_b64 s[40:41], s[28:29]
	s_cbranch_execz .LBB4_7011
; %bb.7006:                             ;   in Loop: Header=BB4_6462 Depth=3
	v_cmp_ne_u16_sdwa vcc, v23, s80 src0_sel:BYTE_0 src1_sel:DWORD
	v_bfrev_b32_e32 v6, 1
	s_and_saveexec_b64 s[28:29], vcc
	s_cbranch_execz .LBB4_7010
; %bb.7007:                             ;   in Loop: Header=BB4_6462 Depth=3
	v_and_b32_e32 v0, 0x7f, v23
	v_cmp_ne_u32_e32 vcc, s81, v0
	v_mov_b32_e32 v6, 0x7f800001
	s_and_saveexec_b64 s[38:39], vcc
	s_cbranch_execz .LBB4_7009
; %bb.7008:                             ;   in Loop: Header=BB4_6462 Depth=3
	v_and_b32_e32 v5, 7, v23
	v_lshrrev_b32_e32 v6, 3, v0
	v_cmp_gt_u32_e32 vcc, 8, v0
	v_ffbh_u32_e32 v0, v5
	v_min_u32_e32 v0, 32, v0
	v_subrev_u32_e32 v5, 28, v0
	v_sub_u32_e32 v0, 29, v0
	v_cndmask_b32_e32 v5, 0, v5, vcc
	v_cndmask_b32_e32 v0, v6, v0, vcc
	v_lshlrev_b64 v[5:6], v5, v[2:3]
	v_lshlrev_b32_e32 v6, 24, v2
	v_lshlrev_b32_e32 v5, 20, v5
	v_and_b32_e32 v5, 0x700000, v5
	v_and_b32_e32 v6, 0x80000000, v6
	v_lshl_add_u32 v0, v0, 23, v54
	v_or3_b32 v6, v6, v0, v5
.LBB4_7009:                             ;   in Loop: Header=BB4_6462 Depth=3
	s_or_b64 exec, exec, s[38:39]
.LBB4_7010:                             ;   in Loop: Header=BB4_6462 Depth=3
	s_or_b64 exec, exec, s[28:29]
.LBB4_7011:                             ;   in Loop: Header=BB4_6462 Depth=3
	s_or_b64 exec, exec, s[40:41]
	v_cmp_ne_u16_sdwa s[40:41], v19, v3 src0_sel:BYTE_0 src1_sel:DWORD
	s_and_saveexec_b64 s[28:29], s[40:41]
	s_cbranch_execz .LBB4_7017
; %bb.7012:                             ;   in Loop: Header=BB4_6462 Depth=3
	v_cmp_ne_u16_sdwa vcc, v19, s80 src0_sel:BYTE_0 src1_sel:DWORD
	v_bfrev_b32_e32 v20, 1
	s_and_saveexec_b64 s[40:41], vcc
	s_cbranch_execz .LBB4_7016
; %bb.7013:                             ;   in Loop: Header=BB4_6462 Depth=3
	v_and_b32_e32 v0, 0x7f, v19
	v_cmp_ne_u32_e32 vcc, s81, v0
	v_mov_b32_e32 v20, 0x7f800001
	s_and_saveexec_b64 s[38:39], vcc
	s_cbranch_execz .LBB4_7015
; %bb.7014:                             ;   in Loop: Header=BB4_6462 Depth=3
	v_and_b32_e32 v5, 7, v19
	v_lshrrev_b32_e32 v20, 3, v0
	v_cmp_gt_u32_e32 vcc, 8, v0
	v_ffbh_u32_e32 v0, v5
	v_min_u32_e32 v0, 32, v0
	v_subrev_u32_e32 v5, 28, v0
	v_sub_u32_e32 v0, 29, v0
	v_cndmask_b32_e32 v5, 0, v5, vcc
	v_cndmask_b32_e32 v0, v20, v0, vcc
	v_lshlrev_b64 v[20:21], v5, v[16:17]
	v_lshlrev_b32_e32 v17, 24, v16
	v_lshlrev_b32_e32 v5, 20, v20
	v_and_b32_e32 v5, 0x700000, v5
	v_and_b32_e32 v17, 0x80000000, v17
	v_lshl_add_u32 v0, v0, 23, v54
	v_or3_b32 v20, v17, v0, v5
.LBB4_7015:                             ;   in Loop: Header=BB4_6462 Depth=3
	s_or_b64 exec, exec, s[38:39]
.LBB4_7016:                             ;   in Loop: Header=BB4_6462 Depth=3
	s_or_b64 exec, exec, s[40:41]
.LBB4_7017:                             ;   in Loop: Header=BB4_6462 Depth=3
	s_or_b64 exec, exec, s[28:29]
	v_max_f32_e32 v0, v20, v20
	v_max_f32_e32 v5, v6, v6
	v_min_f32_e32 v20, v5, v0
.LBB4_7018:                             ;   in Loop: Header=BB4_6462 Depth=3
	v_and_b32_e32 v5, 0x7f800000, v20
	v_mov_b32_e32 v6, v3
	v_cmp_ne_u64_e32 vcc, s[76:77], v[5:6]
                                        ; implicit-def: $vgpr24
	s_and_saveexec_b64 s[28:29], vcc
	s_xor_b64 s[40:41], exec, s[28:29]
	s_cbranch_execz .LBB4_7032
; %bb.7019:                             ;   in Loop: Header=BB4_6462 Depth=3
	v_and_b32_e32 v5, 0x7fffffff, v20
	v_mov_b32_e32 v6, v3
	v_cmp_gt_u64_e32 vcc, s[78:79], v[5:6]
	v_and_b32_sdwa v6, v20, s80 dst_sel:DWORD dst_unused:UNUSED_PAD src0_sel:BYTE_3 src1_sel:DWORD
                                        ; implicit-def: $vgpr24
	s_and_saveexec_b64 s[28:29], vcc
	s_xor_b64 s[38:39], exec, s[28:29]
	s_cbranch_execz .LBB4_7029
; %bb.7020:                             ;   in Loop: Header=BB4_6462 Depth=3
	v_mov_b32_e32 v24, 0
	v_cmp_ne_u32_e32 vcc, 0, v20
	s_and_saveexec_b64 s[48:49], vcc
	s_cbranch_execz .LBB4_7028
; %bb.7021:                             ;   in Loop: Header=BB4_6462 Depth=3
	v_bfe_u32 v17, v20, 23, 8
	v_cmp_gt_u32_e64 s[28:29], s83, v17
	v_sub_u32_e32 v5, 0x79, v17
	v_and_b32_e32 v0, 0x7fffff, v20
	v_cmp_eq_u32_e32 vcc, 0, v17
	v_cndmask_b32_e64 v5, 0, v5, s[28:29]
	v_mov_b32_e32 v21, 0x78
	v_or_b32_e32 v20, 0x800000, v0
	v_cndmask_b32_e32 v36, v5, v21, vcc
	v_cndmask_b32_e32 v20, v20, v0, vcc
	v_add_u32_e32 v0, 20, v36
	v_lshlrev_b64 v[24:25], v0, -1
	v_mov_b32_e32 v21, v3
	v_add_u32_e32 v0, 19, v36
	v_bfi_b32 v24, v24, 0, v20
	v_lshlrev_b64 v[42:43], v0, 1
	v_lshrrev_b64 v[20:21], v36, v[20:21]
	v_bfi_b32 v25, v25, 0, 0
	v_cmp_eq_u64_e64 s[28:29], v[24:25], v[42:43]
	v_mov_b32_e32 v25, v21
	v_mov_b32_e32 v24, v20
	s_and_saveexec_b64 s[50:51], s[28:29]
; %bb.7022:                             ;   in Loop: Header=BB4_6462 Depth=3
	v_bfe_u32 v0, v20, 20, 1
	v_add_co_u32_e64 v0, s[28:29], v20, v0
	v_add_co_u32_e64 v24, s[28:29], -1, v0
; %bb.7023:                             ;   in Loop: Header=BB4_6462 Depth=3
	s_or_b64 exec, exec, s[50:51]
	v_add_u32_e32 v0, 0xffffff81, v17
	v_mov_b32_e32 v5, 0xffffff82
	v_cndmask_b32_e32 v0, v0, v5, vcc
	v_lshrrev_b32_e32 v5, 23, v20
	v_add3_u32 v5, v36, v0, v5
	v_add_u32_e32 v0, 6, v5
	v_and_b32_e32 v17, 0xfffff, v24
	v_add_u32_e32 v20, v17, v20
	v_mov_b32_e32 v21, v3
	v_cmp_ne_u32_e32 vcc, 0, v0
                                        ; implicit-def: $vgpr17
	s_and_saveexec_b64 s[28:29], vcc
	s_xor_b64 s[28:29], exec, s[28:29]
; %bb.7024:                             ;   in Loop: Header=BB4_6462 Depth=3
	v_cmp_lt_u64_e32 vcc, s[88:89], v[20:21]
	v_add_u32_e32 v5, 7, v5
	v_cndmask_b32_e32 v17, v0, v5, vcc
	v_cndmask_b32_e64 v0, 0, 1, vcc
	v_lshrrev_b64 v[20:21], v0, v[20:21]
; %bb.7025:                             ;   in Loop: Header=BB4_6462 Depth=3
	s_andn2_saveexec_b64 s[28:29], s[28:29]
; %bb.7026:                             ;   in Loop: Header=BB4_6462 Depth=3
	v_bfe_u32 v17, v20, 23, 1
; %bb.7027:                             ;   in Loop: Header=BB4_6462 Depth=3
	s_or_b64 exec, exec, s[28:29]
	v_lshrrev_b64 v[20:21], 20, v[20:21]
	v_cmp_gt_i32_e32 vcc, 16, v17
	v_cndmask_b32_e32 v21, 0, v21, vcc
	v_cndmask_b32_e32 v20, 7, v20, vcc
	v_min_i32_e32 v0, 15, v17
	v_cmp_eq_u64_e64 s[28:29], 0, v[20:21]
	v_lshlrev_b32_e32 v0, 3, v0
	v_cmp_eq_u32_e32 vcc, 0, v17
	v_and_b32_e32 v0, 0xf8, v0
	v_and_or_b32 v0, v20, 7, v0
	s_and_b64 s[28:29], vcc, s[28:29]
	v_cndmask_b32_e64 v0, v0, 0, s[28:29]
	v_or_b32_e32 v24, v0, v6
.LBB4_7028:                             ;   in Loop: Header=BB4_6462 Depth=3
	s_or_b64 exec, exec, s[48:49]
                                        ; implicit-def: $vgpr6
.LBB4_7029:                             ;   in Loop: Header=BB4_6462 Depth=3
	s_andn2_saveexec_b64 s[28:29], s[38:39]
; %bb.7030:                             ;   in Loop: Header=BB4_6462 Depth=3
	v_or_b32_e32 v24, 0x7e, v6
; %bb.7031:                             ;   in Loop: Header=BB4_6462 Depth=3
	s_or_b64 exec, exec, s[28:29]
                                        ; implicit-def: $vgpr20
.LBB4_7032:                             ;   in Loop: Header=BB4_6462 Depth=3
	s_andn2_saveexec_b64 s[28:29], s[40:41]
; %bb.7033:                             ;   in Loop: Header=BB4_6462 Depth=3
	v_or_b32_sdwa v24, v20, s81 dst_sel:DWORD dst_unused:UNUSED_PAD src0_sel:BYTE_3 src1_sel:DWORD
; %bb.7034:                             ;   in Loop: Header=BB4_6462 Depth=3
	s_or_b64 exec, exec, s[28:29]
	v_lshrrev_b16_e32 v20, 8, v2
	v_lshrrev_b16_e32 v17, 8, v16
	v_cmp_ne_u16_e64 s[28:29], 0, v20
	s_mov_b64 s[40:41], -1
	s_and_b64 vcc, exec, s[46:47]
                                        ; implicit-def: $vgpr21
	s_cbranch_vccz .LBB4_7048
; %bb.7035:                             ;   in Loop: Header=BB4_6462 Depth=3
	v_mov_b32_e32 v21, 0
	v_mov_b32_e32 v6, 0
	s_and_saveexec_b64 s[40:41], s[28:29]
	s_cbranch_execz .LBB4_7041
; %bb.7036:                             ;   in Loop: Header=BB4_6462 Depth=3
	v_cmp_ne_u16_e32 vcc, s80, v20
	v_bfrev_b32_e32 v6, 1
	s_and_saveexec_b64 s[38:39], vcc
	s_cbranch_execz .LBB4_7040
; %bb.7037:                             ;   in Loop: Header=BB4_6462 Depth=3
	v_and_b32_e32 v0, 0x7f, v20
	v_cmp_ne_u32_e32 vcc, s81, v0
	v_mov_b32_e32 v6, 0x7f800001
	s_and_saveexec_b64 s[48:49], vcc
	s_cbranch_execz .LBB4_7039
; %bb.7038:                             ;   in Loop: Header=BB4_6462 Depth=3
	v_and_b32_e32 v25, 7, v20
	v_lshrrev_b32_e32 v36, 3, v0
	v_cmp_gt_u32_e32 vcc, 8, v0
	v_ffbh_u32_e32 v0, v25
	v_min_u32_e32 v0, 32, v0
	v_subrev_u32_e32 v5, 28, v0
	v_lshlrev_b64 v[5:6], v5, v[20:21]
	v_sub_u32_e32 v0, 29, v0
	v_and_b32_e32 v5, 7, v5
	v_cndmask_b32_e32 v0, v36, v0, vcc
	v_cndmask_b32_e32 v5, v25, v5, vcc
	v_lshlrev_b32_e32 v6, 16, v2
	v_lshlrev_b32_e32 v5, 20, v5
	v_and_b32_e32 v6, 0x80000000, v6
	v_lshl_add_u32 v0, v0, 23, v54
	v_or3_b32 v6, v6, v0, v5
.LBB4_7039:                             ;   in Loop: Header=BB4_6462 Depth=3
	s_or_b64 exec, exec, s[48:49]
.LBB4_7040:                             ;   in Loop: Header=BB4_6462 Depth=3
	s_or_b64 exec, exec, s[38:39]
.LBB4_7041:                             ;   in Loop: Header=BB4_6462 Depth=3
	s_or_b64 exec, exec, s[40:41]
	v_cmp_ne_u16_e32 vcc, 0, v17
	s_and_saveexec_b64 s[40:41], vcc
	s_cbranch_execz .LBB4_7047
; %bb.7042:                             ;   in Loop: Header=BB4_6462 Depth=3
	v_cmp_ne_u16_e32 vcc, s80, v17
	v_bfrev_b32_e32 v21, 1
	s_and_saveexec_b64 s[38:39], vcc
	s_cbranch_execz .LBB4_7046
; %bb.7043:                             ;   in Loop: Header=BB4_6462 Depth=3
	v_and_b32_e32 v0, 0x7f, v17
	v_cmp_ne_u32_e32 vcc, s81, v0
	v_mov_b32_e32 v21, 0x7f800001
	s_and_saveexec_b64 s[48:49], vcc
	s_cbranch_execz .LBB4_7045
; %bb.7044:                             ;   in Loop: Header=BB4_6462 Depth=3
	v_and_b32_e32 v5, 7, v17
	v_lshrrev_b32_e32 v21, 3, v0
	v_cmp_gt_u32_e32 vcc, 8, v0
	v_ffbh_u32_e32 v0, v5
	v_min_u32_e32 v0, 32, v0
	v_subrev_u32_e32 v25, 28, v0
	v_lshlrev_b64 v[42:43], v25, v[17:18]
	v_sub_u32_e32 v0, 29, v0
	v_and_b32_e32 v25, 7, v42
	v_cndmask_b32_e32 v0, v21, v0, vcc
	v_cndmask_b32_e32 v5, v5, v25, vcc
	v_lshlrev_b32_e32 v21, 16, v16
	v_lshlrev_b32_e32 v5, 20, v5
	v_and_b32_e32 v21, 0x80000000, v21
	v_lshl_add_u32 v0, v0, 23, v54
	v_or3_b32 v21, v21, v0, v5
.LBB4_7045:                             ;   in Loop: Header=BB4_6462 Depth=3
	s_or_b64 exec, exec, s[48:49]
.LBB4_7046:                             ;   in Loop: Header=BB4_6462 Depth=3
	s_or_b64 exec, exec, s[38:39]
.LBB4_7047:                             ;   in Loop: Header=BB4_6462 Depth=3
	s_or_b64 exec, exec, s[40:41]
	v_max_f32_e32 v0, v21, v21
	v_max_f32_e32 v5, v6, v6
	v_max_f32_e32 v21, v5, v0
	s_mov_b64 s[40:41], 0
.LBB4_7048:                             ;   in Loop: Header=BB4_6462 Depth=3
	s_and_b64 vcc, exec, s[40:41]
	s_cbranch_vccz .LBB4_7062
; %bb.7049:                             ;   in Loop: Header=BB4_6462 Depth=3
	v_mov_b32_e32 v21, 0
	v_mov_b32_e32 v6, 0
	s_and_saveexec_b64 s[40:41], s[28:29]
	s_cbranch_execz .LBB4_7055
; %bb.7050:                             ;   in Loop: Header=BB4_6462 Depth=3
	v_cmp_ne_u16_e32 vcc, s80, v20
	v_bfrev_b32_e32 v6, 1
	s_and_saveexec_b64 s[28:29], vcc
	s_cbranch_execz .LBB4_7054
; %bb.7051:                             ;   in Loop: Header=BB4_6462 Depth=3
	v_and_b32_e32 v0, 0x7f, v20
	v_cmp_ne_u32_e32 vcc, s81, v0
	v_mov_b32_e32 v6, 0x7f800001
	s_and_saveexec_b64 s[38:39], vcc
	s_cbranch_execz .LBB4_7053
; %bb.7052:                             ;   in Loop: Header=BB4_6462 Depth=3
	v_and_b32_e32 v25, 7, v20
	v_lshrrev_b32_e32 v36, 3, v0
	v_cmp_gt_u32_e32 vcc, 8, v0
	v_ffbh_u32_e32 v0, v25
	v_min_u32_e32 v0, 32, v0
	v_subrev_u32_e32 v5, 28, v0
	v_lshlrev_b64 v[5:6], v5, v[20:21]
	v_sub_u32_e32 v0, 29, v0
	v_and_b32_e32 v5, 7, v5
	v_cndmask_b32_e32 v0, v36, v0, vcc
	v_cndmask_b32_e32 v5, v25, v5, vcc
	v_lshlrev_b32_e32 v2, 16, v2
	v_lshlrev_b32_e32 v5, 20, v5
	v_and_b32_e32 v2, 0x80000000, v2
	v_lshl_add_u32 v0, v0, 23, v54
	v_or3_b32 v6, v2, v0, v5
.LBB4_7053:                             ;   in Loop: Header=BB4_6462 Depth=3
	s_or_b64 exec, exec, s[38:39]
.LBB4_7054:                             ;   in Loop: Header=BB4_6462 Depth=3
	s_or_b64 exec, exec, s[28:29]
.LBB4_7055:                             ;   in Loop: Header=BB4_6462 Depth=3
	s_or_b64 exec, exec, s[40:41]
	v_cmp_ne_u16_e32 vcc, 0, v17
	s_and_saveexec_b64 s[28:29], vcc
	s_cbranch_execz .LBB4_7061
; %bb.7056:                             ;   in Loop: Header=BB4_6462 Depth=3
	v_cmp_ne_u16_e32 vcc, s80, v17
	v_bfrev_b32_e32 v21, 1
	s_and_saveexec_b64 s[40:41], vcc
	s_cbranch_execz .LBB4_7060
; %bb.7057:                             ;   in Loop: Header=BB4_6462 Depth=3
	v_and_b32_e32 v0, 0x7f, v17
	v_cmp_ne_u32_e32 vcc, s81, v0
	v_mov_b32_e32 v21, 0x7f800001
	s_and_saveexec_b64 s[38:39], vcc
	s_cbranch_execz .LBB4_7059
; %bb.7058:                             ;   in Loop: Header=BB4_6462 Depth=3
	v_and_b32_e32 v2, 7, v17
	v_lshrrev_b32_e32 v5, 3, v0
	v_cmp_gt_u32_e32 vcc, 8, v0
	v_ffbh_u32_e32 v0, v2
	v_min_u32_e32 v0, 32, v0
	v_subrev_u32_e32 v20, 28, v0
	v_lshlrev_b64 v[20:21], v20, v[17:18]
	v_sub_u32_e32 v0, 29, v0
	v_and_b32_e32 v17, 7, v20
	v_cndmask_b32_e32 v0, v5, v0, vcc
	v_cndmask_b32_e32 v2, v2, v17, vcc
	v_lshlrev_b32_e32 v5, 16, v16
	v_lshlrev_b32_e32 v2, 20, v2
	v_and_b32_e32 v5, 0x80000000, v5
	v_lshl_add_u32 v0, v0, 23, v54
	v_or3_b32 v21, v5, v0, v2
.LBB4_7059:                             ;   in Loop: Header=BB4_6462 Depth=3
	s_or_b64 exec, exec, s[38:39]
.LBB4_7060:                             ;   in Loop: Header=BB4_6462 Depth=3
	s_or_b64 exec, exec, s[40:41]
.LBB4_7061:                             ;   in Loop: Header=BB4_6462 Depth=3
	s_or_b64 exec, exec, s[28:29]
	v_max_f32_e32 v0, v21, v21
	v_max_f32_e32 v2, v6, v6
	v_min_f32_e32 v21, v2, v0
.LBB4_7062:                             ;   in Loop: Header=BB4_6462 Depth=3
	v_and_b32_e32 v2, 0x7f800000, v21
	v_cmp_ne_u64_e32 vcc, s[76:77], v[2:3]
                                        ; implicit-def: $vgpr25
	s_and_saveexec_b64 s[28:29], vcc
	s_xor_b64 s[40:41], exec, s[28:29]
	s_cbranch_execz .LBB4_7076
; %bb.7063:                             ;   in Loop: Header=BB4_6462 Depth=3
	v_and_b32_e32 v2, 0x7fffffff, v21
	v_cmp_gt_u64_e32 vcc, s[78:79], v[2:3]
	v_and_b32_sdwa v6, v21, s80 dst_sel:DWORD dst_unused:UNUSED_PAD src0_sel:BYTE_3 src1_sel:DWORD
                                        ; implicit-def: $vgpr25
	s_and_saveexec_b64 s[28:29], vcc
	s_xor_b64 s[38:39], exec, s[28:29]
	s_cbranch_execz .LBB4_7073
; %bb.7064:                             ;   in Loop: Header=BB4_6462 Depth=3
	v_mov_b32_e32 v25, 0
	v_cmp_ne_u32_e32 vcc, 0, v21
	s_and_saveexec_b64 s[48:49], vcc
	s_cbranch_execz .LBB4_7072
; %bb.7065:                             ;   in Loop: Header=BB4_6462 Depth=3
	v_bfe_u32 v25, v21, 23, 8
	v_cmp_gt_u32_e64 s[28:29], s83, v25
	v_sub_u32_e32 v2, 0x79, v25
	v_and_b32_e32 v0, 0x7fffff, v21
	v_cmp_eq_u32_e32 vcc, 0, v25
	v_cndmask_b32_e64 v2, 0, v2, s[28:29]
	v_mov_b32_e32 v16, 0x78
	v_or_b32_e32 v5, 0x800000, v0
	v_cndmask_b32_e32 v36, v2, v16, vcc
	v_cndmask_b32_e32 v2, v5, v0, vcc
	v_add_u32_e32 v0, 20, v36
	v_lshlrev_b64 v[16:17], v0, -1
	v_add_u32_e32 v0, 19, v36
	v_lshlrev_b64 v[20:21], v0, 1
	v_bfi_b32 v17, v17, 0, 0
	v_bfi_b32 v16, v16, 0, v2
	v_cmp_eq_u64_e64 s[28:29], v[16:17], v[20:21]
	v_lshrrev_b64 v[16:17], v36, v[2:3]
	v_mov_b32_e32 v21, v17
	v_mov_b32_e32 v20, v16
	s_and_saveexec_b64 s[50:51], s[28:29]
; %bb.7066:                             ;   in Loop: Header=BB4_6462 Depth=3
	v_bfe_u32 v0, v16, 20, 1
	v_add_co_u32_e64 v0, s[28:29], v16, v0
	v_add_co_u32_e64 v20, s[28:29], -1, v0
; %bb.7067:                             ;   in Loop: Header=BB4_6462 Depth=3
	s_or_b64 exec, exec, s[50:51]
	v_add_u32_e32 v0, 0xffffff81, v25
	v_mov_b32_e32 v2, 0xffffff82
	v_cndmask_b32_e32 v0, v0, v2, vcc
	v_lshrrev_b32_e32 v2, 23, v16
	v_add3_u32 v5, v36, v0, v2
	v_add_u32_e32 v0, 6, v5
	v_and_b32_e32 v2, 0xfffff, v20
	v_add_u32_e32 v2, v2, v16
	v_cmp_ne_u32_e32 vcc, 0, v0
                                        ; implicit-def: $vgpr16_vgpr17
                                        ; implicit-def: $vgpr20
	s_and_saveexec_b64 s[28:29], vcc
	s_xor_b64 s[28:29], exec, s[28:29]
; %bb.7068:                             ;   in Loop: Header=BB4_6462 Depth=3
	v_cmp_lt_u64_e32 vcc, s[88:89], v[2:3]
	v_add_u32_e32 v5, 7, v5
	v_cndmask_b32_e32 v20, v0, v5, vcc
	v_cndmask_b32_e64 v0, 0, 1, vcc
	v_lshrrev_b64 v[16:17], v0, v[2:3]
; %bb.7069:                             ;   in Loop: Header=BB4_6462 Depth=3
	s_andn2_saveexec_b64 s[28:29], s[28:29]
; %bb.7070:                             ;   in Loop: Header=BB4_6462 Depth=3
	v_mov_b32_e32 v17, v3
	v_bfe_u32 v20, v2, 23, 1
	v_mov_b32_e32 v16, v2
; %bb.7071:                             ;   in Loop: Header=BB4_6462 Depth=3
	s_or_b64 exec, exec, s[28:29]
	v_lshrrev_b64 v[16:17], 20, v[16:17]
	v_cmp_gt_i32_e32 vcc, 16, v20
	v_cndmask_b32_e32 v17, 0, v17, vcc
	v_cndmask_b32_e32 v16, 7, v16, vcc
	v_min_i32_e32 v0, 15, v20
	v_cmp_eq_u64_e64 s[28:29], 0, v[16:17]
	v_lshlrev_b32_e32 v0, 3, v0
	v_cmp_eq_u32_e32 vcc, 0, v20
	v_and_b32_e32 v0, 0xf8, v0
	v_and_or_b32 v0, v16, 7, v0
	s_and_b64 s[28:29], vcc, s[28:29]
	v_cndmask_b32_e64 v0, v0, 0, s[28:29]
	v_or_b32_e32 v25, v0, v6
.LBB4_7072:                             ;   in Loop: Header=BB4_6462 Depth=3
	s_or_b64 exec, exec, s[48:49]
                                        ; implicit-def: $vgpr6
.LBB4_7073:                             ;   in Loop: Header=BB4_6462 Depth=3
	s_andn2_saveexec_b64 s[28:29], s[38:39]
; %bb.7074:                             ;   in Loop: Header=BB4_6462 Depth=3
	v_or_b32_e32 v25, 0x7e, v6
; %bb.7075:                             ;   in Loop: Header=BB4_6462 Depth=3
	s_or_b64 exec, exec, s[28:29]
                                        ; implicit-def: $vgpr21
.LBB4_7076:                             ;   in Loop: Header=BB4_6462 Depth=3
	s_andn2_saveexec_b64 s[28:29], s[40:41]
; %bb.7077:                             ;   in Loop: Header=BB4_6462 Depth=3
	v_or_b32_sdwa v25, v21, s81 dst_sel:DWORD dst_unused:UNUSED_PAD src0_sel:BYTE_3 src1_sel:DWORD
; %bb.7078:                             ;   in Loop: Header=BB4_6462 Depth=3
	s_or_b64 exec, exec, s[28:29]
	v_lshrrev_b32_e32 v16, 16, v23
	v_lshrrev_b32_e32 v2, 16, v19
	v_cmp_ne_u16_sdwa s[28:29], v16, v3 src0_sel:BYTE_0 src1_sel:DWORD
	s_mov_b64 s[40:41], -1
	s_and_b64 vcc, exec, s[46:47]
                                        ; implicit-def: $vgpr17
	s_cbranch_vccz .LBB4_7092
; %bb.7079:                             ;   in Loop: Header=BB4_6462 Depth=3
	v_mov_b32_e32 v17, 0
	v_mov_b32_e32 v6, 0
	s_and_saveexec_b64 s[40:41], s[28:29]
	s_cbranch_execz .LBB4_7085
; %bb.7080:                             ;   in Loop: Header=BB4_6462 Depth=3
	v_cmp_ne_u16_sdwa vcc, v16, s80 src0_sel:BYTE_0 src1_sel:DWORD
	v_bfrev_b32_e32 v6, 1
	s_and_saveexec_b64 s[38:39], vcc
	s_cbranch_execz .LBB4_7084
; %bb.7081:                             ;   in Loop: Header=BB4_6462 Depth=3
	v_bfe_u32 v0, v23, 16, 7
	v_cmp_ne_u32_e32 vcc, s81, v0
	v_mov_b32_e32 v6, 0x7f800001
	s_and_saveexec_b64 s[48:49], vcc
	s_cbranch_execz .LBB4_7083
; %bb.7082:                             ;   in Loop: Header=BB4_6462 Depth=3
	v_and_b32_e32 v20, 7, v16
	v_lshrrev_b32_e32 v21, 3, v0
	v_cmp_gt_u32_e32 vcc, 8, v0
	v_ffbh_u32_e32 v0, v20
	v_min_u32_e32 v0, 32, v0
	v_subrev_u32_e32 v5, 28, v0
	v_lshlrev_b64 v[5:6], v5, v[16:17]
	v_sub_u32_e32 v0, 29, v0
	v_and_b32_e32 v5, 7, v5
	v_cndmask_b32_e32 v0, v21, v0, vcc
	v_cndmask_b32_e32 v5, v20, v5, vcc
	v_lshlrev_b32_e32 v6, 24, v16
	v_lshlrev_b32_e32 v5, 20, v5
	v_and_b32_e32 v6, 0x80000000, v6
	v_lshl_add_u32 v0, v0, 23, v54
	v_or3_b32 v6, v6, v0, v5
.LBB4_7083:                             ;   in Loop: Header=BB4_6462 Depth=3
	s_or_b64 exec, exec, s[48:49]
.LBB4_7084:                             ;   in Loop: Header=BB4_6462 Depth=3
	s_or_b64 exec, exec, s[38:39]
.LBB4_7085:                             ;   in Loop: Header=BB4_6462 Depth=3
	s_or_b64 exec, exec, s[40:41]
	v_cmp_ne_u16_sdwa vcc, v2, v3 src0_sel:BYTE_0 src1_sel:DWORD
	s_and_saveexec_b64 s[40:41], vcc
	s_cbranch_execz .LBB4_7091
; %bb.7086:                             ;   in Loop: Header=BB4_6462 Depth=3
	v_cmp_ne_u16_sdwa vcc, v2, s80 src0_sel:BYTE_0 src1_sel:DWORD
	v_bfrev_b32_e32 v17, 1
	s_and_saveexec_b64 s[38:39], vcc
	s_cbranch_execz .LBB4_7090
; %bb.7087:                             ;   in Loop: Header=BB4_6462 Depth=3
	v_bfe_u32 v0, v19, 16, 7
	v_cmp_ne_u32_e32 vcc, s81, v0
	v_mov_b32_e32 v17, 0x7f800001
	s_and_saveexec_b64 s[48:49], vcc
	s_cbranch_execz .LBB4_7089
; %bb.7088:                             ;   in Loop: Header=BB4_6462 Depth=3
	v_and_b32_e32 v5, 7, v2
	v_lshrrev_b32_e32 v17, 3, v0
	v_cmp_gt_u32_e32 vcc, 8, v0
	v_ffbh_u32_e32 v0, v5
	v_min_u32_e32 v0, 32, v0
	v_subrev_u32_e32 v20, 28, v0
	v_lshlrev_b64 v[20:21], v20, v[2:3]
	v_sub_u32_e32 v0, 29, v0
	v_and_b32_e32 v20, 7, v20
	v_cndmask_b32_e32 v0, v17, v0, vcc
	v_cndmask_b32_e32 v5, v5, v20, vcc
	v_lshlrev_b32_e32 v17, 24, v2
	v_lshlrev_b32_e32 v5, 20, v5
	v_and_b32_e32 v17, 0x80000000, v17
	v_lshl_add_u32 v0, v0, 23, v54
	v_or3_b32 v17, v17, v0, v5
.LBB4_7089:                             ;   in Loop: Header=BB4_6462 Depth=3
	s_or_b64 exec, exec, s[48:49]
.LBB4_7090:                             ;   in Loop: Header=BB4_6462 Depth=3
	s_or_b64 exec, exec, s[38:39]
.LBB4_7091:                             ;   in Loop: Header=BB4_6462 Depth=3
	s_or_b64 exec, exec, s[40:41]
	v_max_f32_e32 v0, v17, v17
	v_max_f32_e32 v5, v6, v6
	;; [unrolled: 1-line block ×3, first 2 shown]
	s_mov_b64 s[40:41], 0
.LBB4_7092:                             ;   in Loop: Header=BB4_6462 Depth=3
	s_and_b64 vcc, exec, s[40:41]
	s_cbranch_vccz .LBB4_7106
; %bb.7093:                             ;   in Loop: Header=BB4_6462 Depth=3
	v_mov_b32_e32 v17, 0
	v_mov_b32_e32 v6, 0
	s_and_saveexec_b64 s[40:41], s[28:29]
	s_cbranch_execz .LBB4_7099
; %bb.7094:                             ;   in Loop: Header=BB4_6462 Depth=3
	v_cmp_ne_u16_sdwa vcc, v16, s80 src0_sel:BYTE_0 src1_sel:DWORD
	v_bfrev_b32_e32 v6, 1
	s_and_saveexec_b64 s[28:29], vcc
	s_cbranch_execz .LBB4_7098
; %bb.7095:                             ;   in Loop: Header=BB4_6462 Depth=3
	v_bfe_u32 v0, v23, 16, 7
	v_cmp_ne_u32_e32 vcc, s81, v0
	v_mov_b32_e32 v6, 0x7f800001
	s_and_saveexec_b64 s[38:39], vcc
	s_cbranch_execz .LBB4_7097
; %bb.7096:                             ;   in Loop: Header=BB4_6462 Depth=3
	v_and_b32_e32 v20, 7, v16
	v_lshrrev_b32_e32 v21, 3, v0
	v_cmp_gt_u32_e32 vcc, 8, v0
	v_ffbh_u32_e32 v0, v20
	v_min_u32_e32 v0, 32, v0
	v_subrev_u32_e32 v5, 28, v0
	v_lshlrev_b64 v[5:6], v5, v[16:17]
	v_sub_u32_e32 v0, 29, v0
	v_and_b32_e32 v5, 7, v5
	v_cndmask_b32_e32 v0, v21, v0, vcc
	v_cndmask_b32_e32 v5, v20, v5, vcc
	v_lshlrev_b32_e32 v6, 24, v16
	v_lshlrev_b32_e32 v5, 20, v5
	v_and_b32_e32 v6, 0x80000000, v6
	v_lshl_add_u32 v0, v0, 23, v54
	v_or3_b32 v6, v6, v0, v5
.LBB4_7097:                             ;   in Loop: Header=BB4_6462 Depth=3
	s_or_b64 exec, exec, s[38:39]
.LBB4_7098:                             ;   in Loop: Header=BB4_6462 Depth=3
	s_or_b64 exec, exec, s[28:29]
.LBB4_7099:                             ;   in Loop: Header=BB4_6462 Depth=3
	s_or_b64 exec, exec, s[40:41]
	v_cmp_ne_u16_sdwa s[40:41], v2, v3 src0_sel:BYTE_0 src1_sel:DWORD
	s_and_saveexec_b64 s[28:29], s[40:41]
	s_cbranch_execz .LBB4_7105
; %bb.7100:                             ;   in Loop: Header=BB4_6462 Depth=3
	v_cmp_ne_u16_sdwa vcc, v2, s80 src0_sel:BYTE_0 src1_sel:DWORD
	v_bfrev_b32_e32 v17, 1
	s_and_saveexec_b64 s[40:41], vcc
	s_cbranch_execz .LBB4_7104
; %bb.7101:                             ;   in Loop: Header=BB4_6462 Depth=3
	v_bfe_u32 v0, v19, 16, 7
	v_cmp_ne_u32_e32 vcc, s81, v0
	v_mov_b32_e32 v17, 0x7f800001
	s_and_saveexec_b64 s[38:39], vcc
	s_cbranch_execz .LBB4_7103
; %bb.7102:                             ;   in Loop: Header=BB4_6462 Depth=3
	v_and_b32_e32 v5, 7, v2
	v_lshrrev_b32_e32 v20, 3, v0
	v_cmp_gt_u32_e32 vcc, 8, v0
	v_ffbh_u32_e32 v0, v5
	v_min_u32_e32 v0, 32, v0
	v_subrev_u32_e32 v16, 28, v0
	v_lshlrev_b64 v[16:17], v16, v[2:3]
	v_sub_u32_e32 v0, 29, v0
	v_and_b32_e32 v16, 7, v16
	v_cndmask_b32_e32 v0, v20, v0, vcc
	v_cndmask_b32_e32 v5, v5, v16, vcc
	v_lshlrev_b32_e32 v2, 24, v2
	v_lshlrev_b32_e32 v5, 20, v5
	v_and_b32_e32 v2, 0x80000000, v2
	v_lshl_add_u32 v0, v0, 23, v54
	v_or3_b32 v17, v2, v0, v5
.LBB4_7103:                             ;   in Loop: Header=BB4_6462 Depth=3
	s_or_b64 exec, exec, s[38:39]
.LBB4_7104:                             ;   in Loop: Header=BB4_6462 Depth=3
	s_or_b64 exec, exec, s[40:41]
.LBB4_7105:                             ;   in Loop: Header=BB4_6462 Depth=3
	s_or_b64 exec, exec, s[28:29]
	v_max_f32_e32 v0, v17, v17
	v_max_f32_e32 v2, v6, v6
	v_min_f32_e32 v17, v2, v0
.LBB4_7106:                             ;   in Loop: Header=BB4_6462 Depth=3
	v_and_b32_e32 v2, 0x7f800000, v17
	v_cmp_ne_u64_e32 vcc, s[76:77], v[2:3]
                                        ; implicit-def: $vgpr20
	s_and_saveexec_b64 s[28:29], vcc
	s_xor_b64 s[40:41], exec, s[28:29]
	s_cbranch_execz .LBB4_7120
; %bb.7107:                             ;   in Loop: Header=BB4_6462 Depth=3
	v_and_b32_e32 v2, 0x7fffffff, v17
	v_cmp_gt_u64_e32 vcc, s[78:79], v[2:3]
	v_and_b32_sdwa v6, v17, s80 dst_sel:DWORD dst_unused:UNUSED_PAD src0_sel:BYTE_3 src1_sel:DWORD
                                        ; implicit-def: $vgpr20
	s_and_saveexec_b64 s[28:29], vcc
	s_xor_b64 s[38:39], exec, s[28:29]
	s_cbranch_execz .LBB4_7117
; %bb.7108:                             ;   in Loop: Header=BB4_6462 Depth=3
	v_mov_b32_e32 v20, 0
	v_cmp_ne_u32_e32 vcc, 0, v17
	s_and_saveexec_b64 s[48:49], vcc
	s_cbranch_execz .LBB4_7116
; %bb.7109:                             ;   in Loop: Header=BB4_6462 Depth=3
	v_bfe_u32 v36, v17, 23, 8
	v_cmp_gt_u32_e64 s[28:29], s83, v36
	v_sub_u32_e32 v2, 0x79, v36
	v_and_b32_e32 v0, 0x7fffff, v17
	v_cmp_eq_u32_e32 vcc, 0, v36
	v_cndmask_b32_e64 v2, 0, v2, s[28:29]
	v_mov_b32_e32 v16, 0x78
	v_or_b32_e32 v5, 0x800000, v0
	v_cndmask_b32_e32 v55, v2, v16, vcc
	v_cndmask_b32_e32 v2, v5, v0, vcc
	v_add_u32_e32 v0, 20, v55
	v_lshlrev_b64 v[16:17], v0, -1
	v_add_u32_e32 v0, 19, v55
	v_lshlrev_b64 v[20:21], v0, 1
	v_bfi_b32 v17, v17, 0, 0
	v_bfi_b32 v16, v16, 0, v2
	v_cmp_eq_u64_e64 s[28:29], v[16:17], v[20:21]
	v_lshrrev_b64 v[16:17], v55, v[2:3]
	v_mov_b32_e32 v21, v17
	v_mov_b32_e32 v20, v16
	s_and_saveexec_b64 s[50:51], s[28:29]
; %bb.7110:                             ;   in Loop: Header=BB4_6462 Depth=3
	v_bfe_u32 v0, v16, 20, 1
	v_add_co_u32_e64 v0, s[28:29], v16, v0
	v_add_co_u32_e64 v20, s[28:29], -1, v0
; %bb.7111:                             ;   in Loop: Header=BB4_6462 Depth=3
	s_or_b64 exec, exec, s[50:51]
	v_add_u32_e32 v0, 0xffffff81, v36
	v_mov_b32_e32 v2, 0xffffff82
	v_cndmask_b32_e32 v0, v0, v2, vcc
	v_lshrrev_b32_e32 v2, 23, v16
	v_add3_u32 v5, v55, v0, v2
	v_add_u32_e32 v0, 6, v5
	v_and_b32_e32 v2, 0xfffff, v20
	v_add_u32_e32 v2, v2, v16
	v_cmp_ne_u32_e32 vcc, 0, v0
                                        ; implicit-def: $vgpr16_vgpr17
                                        ; implicit-def: $vgpr20
	s_and_saveexec_b64 s[28:29], vcc
	s_xor_b64 s[28:29], exec, s[28:29]
; %bb.7112:                             ;   in Loop: Header=BB4_6462 Depth=3
	v_cmp_lt_u64_e32 vcc, s[88:89], v[2:3]
	v_add_u32_e32 v5, 7, v5
	v_cndmask_b32_e32 v20, v0, v5, vcc
	v_cndmask_b32_e64 v0, 0, 1, vcc
	v_lshrrev_b64 v[16:17], v0, v[2:3]
; %bb.7113:                             ;   in Loop: Header=BB4_6462 Depth=3
	s_andn2_saveexec_b64 s[28:29], s[28:29]
; %bb.7114:                             ;   in Loop: Header=BB4_6462 Depth=3
	v_mov_b32_e32 v17, v3
	v_bfe_u32 v20, v2, 23, 1
	v_mov_b32_e32 v16, v2
; %bb.7115:                             ;   in Loop: Header=BB4_6462 Depth=3
	s_or_b64 exec, exec, s[28:29]
	v_lshrrev_b64 v[16:17], 20, v[16:17]
	v_cmp_gt_i32_e32 vcc, 16, v20
	v_cndmask_b32_e32 v17, 0, v17, vcc
	v_cndmask_b32_e32 v16, 7, v16, vcc
	v_min_i32_e32 v0, 15, v20
	v_cmp_eq_u64_e64 s[28:29], 0, v[16:17]
	v_lshlrev_b32_e32 v0, 3, v0
	v_cmp_eq_u32_e32 vcc, 0, v20
	v_and_b32_e32 v0, 0xf8, v0
	v_and_or_b32 v0, v16, 7, v0
	s_and_b64 s[28:29], vcc, s[28:29]
	v_cndmask_b32_e64 v0, v0, 0, s[28:29]
	v_or_b32_e32 v20, v0, v6
.LBB4_7116:                             ;   in Loop: Header=BB4_6462 Depth=3
	s_or_b64 exec, exec, s[48:49]
                                        ; implicit-def: $vgpr6
.LBB4_7117:                             ;   in Loop: Header=BB4_6462 Depth=3
	s_andn2_saveexec_b64 s[28:29], s[38:39]
; %bb.7118:                             ;   in Loop: Header=BB4_6462 Depth=3
	v_or_b32_e32 v20, 0x7e, v6
; %bb.7119:                             ;   in Loop: Header=BB4_6462 Depth=3
	s_or_b64 exec, exec, s[28:29]
                                        ; implicit-def: $vgpr17
.LBB4_7120:                             ;   in Loop: Header=BB4_6462 Depth=3
	s_andn2_saveexec_b64 s[28:29], s[40:41]
; %bb.7121:                             ;   in Loop: Header=BB4_6462 Depth=3
	v_or_b32_sdwa v20, v17, s81 dst_sel:DWORD dst_unused:UNUSED_PAD src0_sel:BYTE_3 src1_sel:DWORD
; %bb.7122:                             ;   in Loop: Header=BB4_6462 Depth=3
	s_or_b64 exec, exec, s[28:29]
	v_cmp_lt_u64_e64 s[28:29], s[62:63], v[22:23]
	v_lshrrev_b32_e32 v16, 24, v23
	v_lshrrev_b32_e32 v2, 24, v19
	s_mov_b64 s[40:41], -1
	s_and_b64 vcc, exec, s[46:47]
                                        ; implicit-def: $vgpr17
	s_cbranch_vccz .LBB4_7136
; %bb.7123:                             ;   in Loop: Header=BB4_6462 Depth=3
	v_mov_b32_e32 v17, 0
	v_mov_b32_e32 v6, 0
	s_and_saveexec_b64 s[40:41], s[28:29]
	s_cbranch_execz .LBB4_7129
; %bb.7124:                             ;   in Loop: Header=BB4_6462 Depth=3
	v_cmp_ne_u32_e32 vcc, s80, v16
	v_bfrev_b32_e32 v6, 1
	s_and_saveexec_b64 s[38:39], vcc
	s_cbranch_execz .LBB4_7128
; %bb.7125:                             ;   in Loop: Header=BB4_6462 Depth=3
	v_bfe_u32 v0, v23, 24, 7
	v_cmp_ne_u32_e32 vcc, s81, v0
	v_mov_b32_e32 v6, 0x7f800001
	s_and_saveexec_b64 s[48:49], vcc
	s_cbranch_execz .LBB4_7127
; %bb.7126:                             ;   in Loop: Header=BB4_6462 Depth=3
	v_and_b32_e32 v21, 7, v16
	v_lshrrev_b32_e32 v22, 3, v0
	v_cmp_gt_u32_e32 vcc, 8, v0
	v_ffbh_u32_e32 v0, v21
	v_min_u32_e32 v0, 32, v0
	v_subrev_u32_e32 v5, 28, v0
	v_lshlrev_b64 v[5:6], v5, v[16:17]
	v_sub_u32_e32 v0, 29, v0
	v_and_b32_e32 v5, 7, v5
	v_cndmask_b32_e32 v0, v22, v0, vcc
	v_cndmask_b32_e32 v5, v21, v5, vcc
	v_lshlrev_b32_e32 v6, 24, v16
	v_lshlrev_b32_e32 v5, 20, v5
	v_and_b32_e32 v6, 0x80000000, v6
	v_lshl_add_u32 v0, v0, 23, v54
	v_or3_b32 v6, v6, v0, v5
.LBB4_7127:                             ;   in Loop: Header=BB4_6462 Depth=3
	s_or_b64 exec, exec, s[48:49]
.LBB4_7128:                             ;   in Loop: Header=BB4_6462 Depth=3
	s_or_b64 exec, exec, s[38:39]
.LBB4_7129:                             ;   in Loop: Header=BB4_6462 Depth=3
	s_or_b64 exec, exec, s[40:41]
	v_cmp_lt_u64_e32 vcc, s[62:63], v[18:19]
	s_and_saveexec_b64 s[40:41], vcc
	s_cbranch_execz .LBB4_7135
; %bb.7130:                             ;   in Loop: Header=BB4_6462 Depth=3
	v_cmp_ne_u32_e32 vcc, s80, v2
	v_bfrev_b32_e32 v17, 1
	s_and_saveexec_b64 s[38:39], vcc
	s_cbranch_execz .LBB4_7134
; %bb.7131:                             ;   in Loop: Header=BB4_6462 Depth=3
	v_bfe_u32 v0, v19, 24, 7
	v_cmp_ne_u32_e32 vcc, s81, v0
	v_mov_b32_e32 v17, 0x7f800001
	s_and_saveexec_b64 s[48:49], vcc
	s_cbranch_execz .LBB4_7133
; %bb.7132:                             ;   in Loop: Header=BB4_6462 Depth=3
	v_and_b32_e32 v5, 7, v2
	v_lshrrev_b32_e32 v17, 3, v0
	v_cmp_gt_u32_e32 vcc, 8, v0
	v_ffbh_u32_e32 v0, v5
	v_min_u32_e32 v0, 32, v0
	v_subrev_u32_e32 v21, 28, v0
	v_lshlrev_b64 v[21:22], v21, v[2:3]
	v_sub_u32_e32 v0, 29, v0
	v_and_b32_e32 v21, 7, v21
	v_cndmask_b32_e32 v0, v17, v0, vcc
	v_cndmask_b32_e32 v5, v5, v21, vcc
	v_lshlrev_b32_e32 v17, 24, v2
	v_lshlrev_b32_e32 v5, 20, v5
	v_and_b32_e32 v17, 0x80000000, v17
	v_lshl_add_u32 v0, v0, 23, v54
	v_or3_b32 v17, v17, v0, v5
.LBB4_7133:                             ;   in Loop: Header=BB4_6462 Depth=3
	s_or_b64 exec, exec, s[48:49]
.LBB4_7134:                             ;   in Loop: Header=BB4_6462 Depth=3
	s_or_b64 exec, exec, s[38:39]
.LBB4_7135:                             ;   in Loop: Header=BB4_6462 Depth=3
	s_or_b64 exec, exec, s[40:41]
	v_max_f32_e32 v0, v17, v17
	v_max_f32_e32 v5, v6, v6
	;; [unrolled: 1-line block ×3, first 2 shown]
	s_mov_b64 s[40:41], 0
.LBB4_7136:                             ;   in Loop: Header=BB4_6462 Depth=3
	s_and_b64 vcc, exec, s[40:41]
	s_cbranch_vccz .LBB4_7150
; %bb.7137:                             ;   in Loop: Header=BB4_6462 Depth=3
	v_mov_b32_e32 v17, 0
	v_mov_b32_e32 v6, 0
	s_and_saveexec_b64 s[40:41], s[28:29]
	s_cbranch_execz .LBB4_7143
; %bb.7138:                             ;   in Loop: Header=BB4_6462 Depth=3
	v_cmp_ne_u32_e32 vcc, s80, v16
	v_bfrev_b32_e32 v6, 1
	s_and_saveexec_b64 s[28:29], vcc
	s_cbranch_execz .LBB4_7142
; %bb.7139:                             ;   in Loop: Header=BB4_6462 Depth=3
	v_bfe_u32 v0, v23, 24, 7
	v_cmp_ne_u32_e32 vcc, s81, v0
	v_mov_b32_e32 v6, 0x7f800001
	s_and_saveexec_b64 s[38:39], vcc
	s_cbranch_execz .LBB4_7141
; %bb.7140:                             ;   in Loop: Header=BB4_6462 Depth=3
	v_and_b32_e32 v21, 7, v16
	v_lshrrev_b32_e32 v22, 3, v0
	v_cmp_gt_u32_e32 vcc, 8, v0
	v_ffbh_u32_e32 v0, v21
	v_min_u32_e32 v0, 32, v0
	v_subrev_u32_e32 v5, 28, v0
	v_lshlrev_b64 v[5:6], v5, v[16:17]
	v_sub_u32_e32 v0, 29, v0
	v_and_b32_e32 v5, 7, v5
	v_cndmask_b32_e32 v0, v22, v0, vcc
	v_cndmask_b32_e32 v5, v21, v5, vcc
	v_lshlrev_b32_e32 v6, 24, v16
	v_lshlrev_b32_e32 v5, 20, v5
	v_and_b32_e32 v6, 0x80000000, v6
	v_lshl_add_u32 v0, v0, 23, v54
	v_or3_b32 v6, v6, v0, v5
.LBB4_7141:                             ;   in Loop: Header=BB4_6462 Depth=3
	s_or_b64 exec, exec, s[38:39]
.LBB4_7142:                             ;   in Loop: Header=BB4_6462 Depth=3
	s_or_b64 exec, exec, s[28:29]
.LBB4_7143:                             ;   in Loop: Header=BB4_6462 Depth=3
	s_or_b64 exec, exec, s[40:41]
	v_cmp_lt_u64_e32 vcc, s[62:63], v[18:19]
	s_and_saveexec_b64 s[28:29], vcc
	s_cbranch_execz .LBB4_7149
; %bb.7144:                             ;   in Loop: Header=BB4_6462 Depth=3
	v_cmp_ne_u32_e32 vcc, s80, v2
	v_bfrev_b32_e32 v17, 1
	s_and_saveexec_b64 s[40:41], vcc
	s_cbranch_execz .LBB4_7148
; %bb.7145:                             ;   in Loop: Header=BB4_6462 Depth=3
	v_bfe_u32 v0, v19, 24, 7
	v_cmp_ne_u32_e32 vcc, s81, v0
	v_mov_b32_e32 v17, 0x7f800001
	s_and_saveexec_b64 s[38:39], vcc
	s_cbranch_execz .LBB4_7147
; %bb.7146:                             ;   in Loop: Header=BB4_6462 Depth=3
	v_and_b32_e32 v5, 7, v2
	v_lshrrev_b32_e32 v18, 3, v0
	v_cmp_gt_u32_e32 vcc, 8, v0
	v_ffbh_u32_e32 v0, v5
	v_min_u32_e32 v0, 32, v0
	v_subrev_u32_e32 v16, 28, v0
	v_lshlrev_b64 v[16:17], v16, v[2:3]
	v_sub_u32_e32 v0, 29, v0
	v_and_b32_e32 v16, 7, v16
	v_cndmask_b32_e32 v0, v18, v0, vcc
	v_cndmask_b32_e32 v5, v5, v16, vcc
	v_lshlrev_b32_e32 v2, 24, v2
	v_lshlrev_b32_e32 v5, 20, v5
	v_and_b32_e32 v2, 0x80000000, v2
	v_lshl_add_u32 v0, v0, 23, v54
	v_or3_b32 v17, v2, v0, v5
.LBB4_7147:                             ;   in Loop: Header=BB4_6462 Depth=3
	s_or_b64 exec, exec, s[38:39]
.LBB4_7148:                             ;   in Loop: Header=BB4_6462 Depth=3
	s_or_b64 exec, exec, s[40:41]
.LBB4_7149:                             ;   in Loop: Header=BB4_6462 Depth=3
	s_or_b64 exec, exec, s[28:29]
	v_max_f32_e32 v0, v17, v17
	v_max_f32_e32 v2, v6, v6
	v_min_f32_e32 v17, v2, v0
.LBB4_7150:                             ;   in Loop: Header=BB4_6462 Depth=3
	v_and_b32_e32 v2, 0x7f800000, v17
	v_cmp_ne_u64_e32 vcc, s[76:77], v[2:3]
                                        ; implicit-def: $vgpr21
	s_and_saveexec_b64 s[28:29], vcc
	s_xor_b64 s[40:41], exec, s[28:29]
	s_cbranch_execz .LBB4_7164
; %bb.7151:                             ;   in Loop: Header=BB4_6462 Depth=3
	v_and_b32_e32 v2, 0x7fffffff, v17
	v_cmp_gt_u64_e32 vcc, s[78:79], v[2:3]
	v_and_b32_sdwa v6, v17, s80 dst_sel:DWORD dst_unused:UNUSED_PAD src0_sel:BYTE_3 src1_sel:DWORD
                                        ; implicit-def: $vgpr21
	s_and_saveexec_b64 s[28:29], vcc
	s_xor_b64 s[38:39], exec, s[28:29]
	s_cbranch_execz .LBB4_7161
; %bb.7152:                             ;   in Loop: Header=BB4_6462 Depth=3
	v_mov_b32_e32 v21, 0
	v_cmp_ne_u32_e32 vcc, 0, v17
	s_and_saveexec_b64 s[48:49], vcc
	s_cbranch_execz .LBB4_7160
; %bb.7153:                             ;   in Loop: Header=BB4_6462 Depth=3
	v_bfe_u32 v19, v17, 23, 8
	v_cmp_gt_u32_e64 s[28:29], s83, v19
	v_sub_u32_e32 v2, 0x79, v19
	v_and_b32_e32 v0, 0x7fffff, v17
	v_cmp_eq_u32_e32 vcc, 0, v19
	v_cndmask_b32_e64 v2, 0, v2, s[28:29]
	v_mov_b32_e32 v16, 0x78
	v_or_b32_e32 v5, 0x800000, v0
	v_cndmask_b32_e32 v21, v2, v16, vcc
	v_cndmask_b32_e32 v2, v5, v0, vcc
	v_add_u32_e32 v0, 20, v21
	v_lshlrev_b64 v[16:17], v0, -1
	v_add_u32_e32 v0, 19, v21
	v_lshlrev_b64 v[22:23], v0, 1
	v_bfi_b32 v17, v17, 0, 0
	v_bfi_b32 v16, v16, 0, v2
	v_cmp_eq_u64_e64 s[28:29], v[16:17], v[22:23]
	v_lshrrev_b64 v[16:17], v21, v[2:3]
	v_mov_b32_e32 v18, v17
	v_mov_b32_e32 v17, v16
	s_and_saveexec_b64 s[50:51], s[28:29]
; %bb.7154:                             ;   in Loop: Header=BB4_6462 Depth=3
	v_bfe_u32 v0, v16, 20, 1
	v_add_co_u32_e64 v0, s[28:29], v16, v0
	v_add_co_u32_e64 v17, s[28:29], -1, v0
; %bb.7155:                             ;   in Loop: Header=BB4_6462 Depth=3
	s_or_b64 exec, exec, s[50:51]
	v_add_u32_e32 v0, 0xffffff81, v19
	v_mov_b32_e32 v2, 0xffffff82
	v_cndmask_b32_e32 v0, v0, v2, vcc
	v_lshrrev_b32_e32 v2, 23, v16
	v_add3_u32 v5, v21, v0, v2
	v_add_u32_e32 v0, 6, v5
	v_and_b32_e32 v2, 0xfffff, v17
	v_add_u32_e32 v2, v2, v16
	v_cmp_ne_u32_e32 vcc, 0, v0
                                        ; implicit-def: $vgpr16_vgpr17
                                        ; implicit-def: $vgpr18
	s_and_saveexec_b64 s[28:29], vcc
	s_xor_b64 s[28:29], exec, s[28:29]
; %bb.7156:                             ;   in Loop: Header=BB4_6462 Depth=3
	v_cmp_lt_u64_e32 vcc, s[88:89], v[2:3]
	v_add_u32_e32 v5, 7, v5
	v_cndmask_b32_e32 v18, v0, v5, vcc
	v_cndmask_b32_e64 v0, 0, 1, vcc
	v_lshrrev_b64 v[16:17], v0, v[2:3]
; %bb.7157:                             ;   in Loop: Header=BB4_6462 Depth=3
	s_andn2_saveexec_b64 s[28:29], s[28:29]
; %bb.7158:                             ;   in Loop: Header=BB4_6462 Depth=3
	v_mov_b32_e32 v17, v3
	v_bfe_u32 v18, v2, 23, 1
	v_mov_b32_e32 v16, v2
; %bb.7159:                             ;   in Loop: Header=BB4_6462 Depth=3
	s_or_b64 exec, exec, s[28:29]
	v_lshrrev_b64 v[16:17], 20, v[16:17]
	v_cmp_gt_i32_e32 vcc, 16, v18
	v_cndmask_b32_e32 v17, 0, v17, vcc
	v_cndmask_b32_e32 v16, 7, v16, vcc
	v_min_i32_e32 v0, 15, v18
	v_cmp_eq_u64_e64 s[28:29], 0, v[16:17]
	v_lshlrev_b32_e32 v0, 3, v0
	v_cmp_eq_u32_e32 vcc, 0, v18
	v_and_b32_e32 v0, 0xf8, v0
	v_and_or_b32 v0, v16, 7, v0
	s_and_b64 s[28:29], vcc, s[28:29]
	v_cndmask_b32_e64 v0, v0, 0, s[28:29]
	v_or_b32_e32 v21, v0, v6
.LBB4_7160:                             ;   in Loop: Header=BB4_6462 Depth=3
	s_or_b64 exec, exec, s[48:49]
                                        ; implicit-def: $vgpr6
.LBB4_7161:                             ;   in Loop: Header=BB4_6462 Depth=3
	s_andn2_saveexec_b64 s[28:29], s[38:39]
; %bb.7162:                             ;   in Loop: Header=BB4_6462 Depth=3
	v_or_b32_e32 v21, 0x7e, v6
; %bb.7163:                             ;   in Loop: Header=BB4_6462 Depth=3
	s_or_b64 exec, exec, s[28:29]
                                        ; implicit-def: $vgpr17
.LBB4_7164:                             ;   in Loop: Header=BB4_6462 Depth=3
	s_andn2_saveexec_b64 s[28:29], s[40:41]
; %bb.7165:                             ;   in Loop: Header=BB4_6462 Depth=3
	v_or_b32_sdwa v21, v17, s81 dst_sel:DWORD dst_unused:UNUSED_PAD src0_sel:BYTE_3 src1_sel:DWORD
; %bb.7166:                             ;   in Loop: Header=BB4_6462 Depth=3
	s_or_b64 exec, exec, s[28:29]
	v_cndmask_b32_e64 v0, 0, 1, s[46:47]
	v_cmp_ne_u16_sdwa s[40:41], v12, v3 src0_sel:BYTE_0 src1_sel:DWORD
	v_cmp_ne_u32_e64 s[28:29], 1, v0
	s_andn2_b64 vcc, exec, s[46:47]
	s_mov_b64 s[38:39], -1
                                        ; implicit-def: $vgpr16
	s_cbranch_vccnz .LBB4_7180
; %bb.7167:                             ;   in Loop: Header=BB4_6462 Depth=3
	v_mov_b32_e32 v6, 0
	v_mov_b32_e32 v2, 0
	s_and_saveexec_b64 s[38:39], s[40:41]
	s_cbranch_execz .LBB4_7173
; %bb.7168:                             ;   in Loop: Header=BB4_6462 Depth=3
	v_cmp_ne_u16_sdwa vcc, v12, s80 src0_sel:BYTE_0 src1_sel:DWORD
	v_bfrev_b32_e32 v2, 1
	s_and_saveexec_b64 s[48:49], vcc
	s_cbranch_execz .LBB4_7172
; %bb.7169:                             ;   in Loop: Header=BB4_6462 Depth=3
	v_and_b32_e32 v0, 0x7f, v12
	v_cmp_ne_u32_e32 vcc, s81, v0
	v_mov_b32_e32 v2, 0x7f800001
	s_and_saveexec_b64 s[50:51], vcc
	s_cbranch_execz .LBB4_7171
; %bb.7170:                             ;   in Loop: Header=BB4_6462 Depth=3
	v_and_b32_e32 v2, 7, v12
	v_lshrrev_b32_e32 v5, 3, v0
	v_cmp_gt_u32_e32 vcc, 8, v0
	v_ffbh_u32_e32 v0, v2
	v_min_u32_e32 v0, 32, v0
	v_subrev_u32_e32 v2, 28, v0
	v_cndmask_b32_e32 v2, 0, v2, vcc
	v_lshlrev_b64 v[16:17], v2, v[12:13]
	v_sub_u32_e32 v0, 29, v0
	v_cndmask_b32_e32 v0, v5, v0, vcc
	v_lshlrev_b32_e32 v2, 20, v16
	v_lshlrev_b32_e32 v5, 24, v12
	v_and_b32_e32 v2, 0x700000, v2
	v_and_b32_e32 v5, 0x80000000, v5
	v_lshl_add_u32 v0, v0, 23, v54
	v_or3_b32 v2, v5, v0, v2
.LBB4_7171:                             ;   in Loop: Header=BB4_6462 Depth=3
	s_or_b64 exec, exec, s[50:51]
.LBB4_7172:                             ;   in Loop: Header=BB4_6462 Depth=3
	s_or_b64 exec, exec, s[48:49]
.LBB4_7173:                             ;   in Loop: Header=BB4_6462 Depth=3
	s_or_b64 exec, exec, s[38:39]
	s_waitcnt vmcnt(0)
	v_cmp_ne_u16_sdwa vcc, v8, v3 src0_sel:BYTE_0 src1_sel:DWORD
	s_and_saveexec_b64 s[38:39], vcc
	s_cbranch_execz .LBB4_7179
; %bb.7174:                             ;   in Loop: Header=BB4_6462 Depth=3
	v_cmp_ne_u16_sdwa vcc, v8, s80 src0_sel:BYTE_0 src1_sel:DWORD
	v_bfrev_b32_e32 v6, 1
	s_and_saveexec_b64 s[48:49], vcc
	s_cbranch_execz .LBB4_7178
; %bb.7175:                             ;   in Loop: Header=BB4_6462 Depth=3
	v_and_b32_e32 v0, 0x7f, v8
	v_cmp_ne_u32_e32 vcc, s81, v0
	v_mov_b32_e32 v6, 0x7f800001
	s_and_saveexec_b64 s[50:51], vcc
	s_cbranch_execz .LBB4_7177
; %bb.7176:                             ;   in Loop: Header=BB4_6462 Depth=3
	v_and_b32_e32 v5, 7, v8
	v_lshrrev_b32_e32 v6, 3, v0
	v_cmp_gt_u32_e32 vcc, 8, v0
	v_ffbh_u32_e32 v0, v5
	v_min_u32_e32 v0, 32, v0
	v_subrev_u32_e32 v5, 28, v0
	v_sub_u32_e32 v0, 29, v0
	v_cndmask_b32_e32 v5, 0, v5, vcc
	v_cndmask_b32_e32 v0, v6, v0, vcc
	v_lshlrev_b64 v[5:6], v5, v[8:9]
	v_lshlrev_b32_e32 v6, 24, v8
	v_lshlrev_b32_e32 v5, 20, v5
	v_and_b32_e32 v5, 0x700000, v5
	v_and_b32_e32 v6, 0x80000000, v6
	v_lshl_add_u32 v0, v0, 23, v54
	v_or3_b32 v6, v6, v0, v5
.LBB4_7177:                             ;   in Loop: Header=BB4_6462 Depth=3
	s_or_b64 exec, exec, s[50:51]
.LBB4_7178:                             ;   in Loop: Header=BB4_6462 Depth=3
	s_or_b64 exec, exec, s[48:49]
.LBB4_7179:                             ;   in Loop: Header=BB4_6462 Depth=3
	s_or_b64 exec, exec, s[38:39]
	v_max_f32_e32 v0, v6, v6
	v_max_f32_e32 v2, v2, v2
	;; [unrolled: 1-line block ×3, first 2 shown]
	s_mov_b64 s[38:39], 0
.LBB4_7180:                             ;   in Loop: Header=BB4_6462 Depth=3
	s_and_b64 vcc, exec, s[38:39]
	s_cbranch_vccz .LBB4_7194
; %bb.7181:                             ;   in Loop: Header=BB4_6462 Depth=3
	v_mov_b32_e32 v6, 0
	v_mov_b32_e32 v2, 0
	s_and_saveexec_b64 s[38:39], s[40:41]
	s_cbranch_execz .LBB4_7187
; %bb.7182:                             ;   in Loop: Header=BB4_6462 Depth=3
	v_cmp_ne_u16_sdwa vcc, v12, s80 src0_sel:BYTE_0 src1_sel:DWORD
	v_bfrev_b32_e32 v2, 1
	s_and_saveexec_b64 s[40:41], vcc
	s_cbranch_execz .LBB4_7186
; %bb.7183:                             ;   in Loop: Header=BB4_6462 Depth=3
	v_and_b32_e32 v0, 0x7f, v12
	v_cmp_ne_u32_e32 vcc, s81, v0
	v_mov_b32_e32 v2, 0x7f800001
	s_and_saveexec_b64 s[48:49], vcc
	s_cbranch_execz .LBB4_7185
; %bb.7184:                             ;   in Loop: Header=BB4_6462 Depth=3
	v_and_b32_e32 v2, 7, v12
	v_lshrrev_b32_e32 v5, 3, v0
	v_cmp_gt_u32_e32 vcc, 8, v0
	v_ffbh_u32_e32 v0, v2
	v_min_u32_e32 v0, 32, v0
	v_subrev_u32_e32 v2, 28, v0
	v_cndmask_b32_e32 v2, 0, v2, vcc
	v_lshlrev_b64 v[16:17], v2, v[12:13]
	v_sub_u32_e32 v0, 29, v0
	v_cndmask_b32_e32 v0, v5, v0, vcc
	v_lshlrev_b32_e32 v2, 20, v16
	v_lshlrev_b32_e32 v5, 24, v12
	v_and_b32_e32 v2, 0x700000, v2
	v_and_b32_e32 v5, 0x80000000, v5
	v_lshl_add_u32 v0, v0, 23, v54
	v_or3_b32 v2, v5, v0, v2
.LBB4_7185:                             ;   in Loop: Header=BB4_6462 Depth=3
	s_or_b64 exec, exec, s[48:49]
.LBB4_7186:                             ;   in Loop: Header=BB4_6462 Depth=3
	s_or_b64 exec, exec, s[40:41]
.LBB4_7187:                             ;   in Loop: Header=BB4_6462 Depth=3
	s_or_b64 exec, exec, s[38:39]
	s_waitcnt vmcnt(0)
	v_cmp_ne_u16_sdwa vcc, v8, v3 src0_sel:BYTE_0 src1_sel:DWORD
	s_and_saveexec_b64 s[40:41], vcc
	s_cbranch_execz .LBB4_7193
; %bb.7188:                             ;   in Loop: Header=BB4_6462 Depth=3
	v_cmp_ne_u16_sdwa vcc, v8, s80 src0_sel:BYTE_0 src1_sel:DWORD
	v_bfrev_b32_e32 v6, 1
	s_and_saveexec_b64 s[38:39], vcc
	s_cbranch_execz .LBB4_7192
; %bb.7189:                             ;   in Loop: Header=BB4_6462 Depth=3
	v_and_b32_e32 v0, 0x7f, v8
	v_cmp_ne_u32_e32 vcc, s81, v0
	v_mov_b32_e32 v6, 0x7f800001
	s_and_saveexec_b64 s[48:49], vcc
	s_cbranch_execz .LBB4_7191
; %bb.7190:                             ;   in Loop: Header=BB4_6462 Depth=3
	v_and_b32_e32 v5, 7, v8
	v_lshrrev_b32_e32 v6, 3, v0
	v_cmp_gt_u32_e32 vcc, 8, v0
	v_ffbh_u32_e32 v0, v5
	v_min_u32_e32 v0, 32, v0
	v_subrev_u32_e32 v5, 28, v0
	v_sub_u32_e32 v0, 29, v0
	v_cndmask_b32_e32 v5, 0, v5, vcc
	v_cndmask_b32_e32 v0, v6, v0, vcc
	v_lshlrev_b64 v[5:6], v5, v[8:9]
	v_lshlrev_b32_e32 v6, 24, v8
	v_lshlrev_b32_e32 v5, 20, v5
	v_and_b32_e32 v5, 0x700000, v5
	v_and_b32_e32 v6, 0x80000000, v6
	v_lshl_add_u32 v0, v0, 23, v54
	v_or3_b32 v6, v6, v0, v5
.LBB4_7191:                             ;   in Loop: Header=BB4_6462 Depth=3
	s_or_b64 exec, exec, s[48:49]
.LBB4_7192:                             ;   in Loop: Header=BB4_6462 Depth=3
	s_or_b64 exec, exec, s[38:39]
.LBB4_7193:                             ;   in Loop: Header=BB4_6462 Depth=3
	s_or_b64 exec, exec, s[40:41]
	v_max_f32_e32 v0, v6, v6
	v_max_f32_e32 v2, v2, v2
	v_min_f32_e32 v16, v2, v0
.LBB4_7194:                             ;   in Loop: Header=BB4_6462 Depth=3
	v_and_b32_e32 v2, 0x7f800000, v16
	v_cmp_ne_u64_e32 vcc, s[76:77], v[2:3]
                                        ; implicit-def: $vgpr22
	s_and_saveexec_b64 s[40:41], vcc
	s_xor_b64 s[38:39], exec, s[40:41]
	s_cbranch_execz .LBB4_7208
; %bb.7195:                             ;   in Loop: Header=BB4_6462 Depth=3
	v_and_b32_e32 v2, 0x7fffffff, v16
	v_cmp_gt_u64_e32 vcc, s[78:79], v[2:3]
	v_and_b32_sdwa v6, v16, s80 dst_sel:DWORD dst_unused:UNUSED_PAD src0_sel:BYTE_3 src1_sel:DWORD
                                        ; implicit-def: $vgpr22
	s_and_saveexec_b64 s[40:41], vcc
	s_xor_b64 s[48:49], exec, s[40:41]
	s_cbranch_execz .LBB4_7205
; %bb.7196:                             ;   in Loop: Header=BB4_6462 Depth=3
	v_mov_b32_e32 v22, 0
	v_cmp_ne_u32_e32 vcc, 0, v16
	s_and_saveexec_b64 s[50:51], vcc
	s_cbranch_execz .LBB4_7204
; %bb.7197:                             ;   in Loop: Header=BB4_6462 Depth=3
	v_bfe_u32 v19, v16, 23, 8
	v_cmp_gt_u32_e64 s[40:41], s83, v19
	v_sub_u32_e32 v2, 0x79, v19
	v_and_b32_e32 v0, 0x7fffff, v16
	v_cmp_eq_u32_e32 vcc, 0, v19
	v_cndmask_b32_e64 v2, 0, v2, s[40:41]
	v_mov_b32_e32 v16, 0x78
	v_or_b32_e32 v5, 0x800000, v0
	v_cndmask_b32_e32 v22, v2, v16, vcc
	v_cndmask_b32_e32 v2, v5, v0, vcc
	v_add_u32_e32 v0, 20, v22
	v_lshlrev_b64 v[16:17], v0, -1
	v_add_u32_e32 v0, 19, v22
	v_lshlrev_b64 v[42:43], v0, 1
	v_bfi_b32 v17, v17, 0, 0
	v_bfi_b32 v16, v16, 0, v2
	v_cmp_eq_u64_e64 s[40:41], v[16:17], v[42:43]
	v_lshrrev_b64 v[16:17], v22, v[2:3]
	v_mov_b32_e32 v18, v17
	v_mov_b32_e32 v17, v16
	s_and_saveexec_b64 s[52:53], s[40:41]
; %bb.7198:                             ;   in Loop: Header=BB4_6462 Depth=3
	v_bfe_u32 v0, v16, 20, 1
	v_add_co_u32_e64 v0, s[40:41], v16, v0
	v_add_co_u32_e64 v17, s[40:41], -1, v0
; %bb.7199:                             ;   in Loop: Header=BB4_6462 Depth=3
	s_or_b64 exec, exec, s[52:53]
	v_add_u32_e32 v0, 0xffffff81, v19
	v_mov_b32_e32 v2, 0xffffff82
	v_cndmask_b32_e32 v0, v0, v2, vcc
	v_lshrrev_b32_e32 v2, 23, v16
	v_add3_u32 v18, v22, v0, v2
	v_add_u32_e32 v5, 6, v18
	v_and_b32_e32 v0, 0xfffff, v17
	v_add_u32_e32 v2, v0, v16
	v_cmp_ne_u32_e32 vcc, 0, v5
                                        ; implicit-def: $vgpr16_vgpr17
                                        ; implicit-def: $vgpr0
	s_and_saveexec_b64 s[40:41], vcc
	s_xor_b64 s[40:41], exec, s[40:41]
; %bb.7200:                             ;   in Loop: Header=BB4_6462 Depth=3
	v_cmp_lt_u64_e32 vcc, s[88:89], v[2:3]
	v_add_u32_e32 v0, 7, v18
	v_cndmask_b32_e32 v0, v5, v0, vcc
	v_cndmask_b32_e64 v5, 0, 1, vcc
	v_lshrrev_b64 v[16:17], v5, v[2:3]
; %bb.7201:                             ;   in Loop: Header=BB4_6462 Depth=3
	s_andn2_saveexec_b64 s[40:41], s[40:41]
; %bb.7202:                             ;   in Loop: Header=BB4_6462 Depth=3
	v_mov_b32_e32 v17, v3
	v_bfe_u32 v0, v2, 23, 1
	v_mov_b32_e32 v16, v2
; %bb.7203:                             ;   in Loop: Header=BB4_6462 Depth=3
	s_or_b64 exec, exec, s[40:41]
	v_lshrrev_b64 v[16:17], 20, v[16:17]
	v_cmp_gt_i32_e32 vcc, 16, v0
	v_cndmask_b32_e32 v17, 0, v17, vcc
	v_cndmask_b32_e32 v16, 7, v16, vcc
	v_cmp_eq_u32_e32 vcc, 0, v0
	v_min_i32_e32 v0, 15, v0
	v_cmp_eq_u64_e64 s[40:41], 0, v[16:17]
	v_lshlrev_b32_e32 v0, 3, v0
	v_and_b32_e32 v0, 0xf8, v0
	v_and_or_b32 v0, v16, 7, v0
	s_and_b64 s[40:41], vcc, s[40:41]
	v_cndmask_b32_e64 v0, v0, 0, s[40:41]
	v_or_b32_e32 v22, v0, v6
.LBB4_7204:                             ;   in Loop: Header=BB4_6462 Depth=3
	s_or_b64 exec, exec, s[50:51]
                                        ; implicit-def: $vgpr6
.LBB4_7205:                             ;   in Loop: Header=BB4_6462 Depth=3
	s_andn2_saveexec_b64 s[40:41], s[48:49]
; %bb.7206:                             ;   in Loop: Header=BB4_6462 Depth=3
	v_or_b32_e32 v22, 0x7e, v6
; %bb.7207:                             ;   in Loop: Header=BB4_6462 Depth=3
	s_or_b64 exec, exec, s[40:41]
                                        ; implicit-def: $vgpr16
.LBB4_7208:                             ;   in Loop: Header=BB4_6462 Depth=3
	s_andn2_saveexec_b64 s[40:41], s[38:39]
; %bb.7209:                             ;   in Loop: Header=BB4_6462 Depth=3
	v_or_b32_sdwa v22, v16, s81 dst_sel:DWORD dst_unused:UNUSED_PAD src0_sel:BYTE_3 src1_sel:DWORD
; %bb.7210:                             ;   in Loop: Header=BB4_6462 Depth=3
	s_or_b64 exec, exec, s[40:41]
	v_lshrrev_b16_e32 v16, 8, v12
	s_waitcnt vmcnt(0)
	v_lshrrev_b16_e32 v2, 8, v8
	v_cmp_ne_u16_e64 s[40:41], 0, v16
	s_and_b64 vcc, exec, s[28:29]
	s_mov_b64 s[38:39], -1
                                        ; implicit-def: $vgpr17
	s_cbranch_vccnz .LBB4_7224
; %bb.7211:                             ;   in Loop: Header=BB4_6462 Depth=3
	v_mov_b32_e32 v17, 0
	v_mov_b32_e32 v6, 0
	s_and_saveexec_b64 s[38:39], s[40:41]
	s_cbranch_execz .LBB4_7217
; %bb.7212:                             ;   in Loop: Header=BB4_6462 Depth=3
	v_cmp_ne_u16_e32 vcc, s80, v16
	v_bfrev_b32_e32 v6, 1
	s_and_saveexec_b64 s[48:49], vcc
	s_cbranch_execz .LBB4_7216
; %bb.7213:                             ;   in Loop: Header=BB4_6462 Depth=3
	v_and_b32_e32 v0, 0x7f, v16
	v_cmp_ne_u32_e32 vcc, s81, v0
	v_mov_b32_e32 v6, 0x7f800001
	s_and_saveexec_b64 s[50:51], vcc
	s_cbranch_execz .LBB4_7215
; %bb.7214:                             ;   in Loop: Header=BB4_6462 Depth=3
	v_and_b32_e32 v18, 7, v16
	v_lshrrev_b32_e32 v19, 3, v0
	v_cmp_gt_u32_e32 vcc, 8, v0
	v_ffbh_u32_e32 v0, v18
	v_min_u32_e32 v0, 32, v0
	v_subrev_u32_e32 v5, 28, v0
	v_lshlrev_b64 v[5:6], v5, v[16:17]
	v_sub_u32_e32 v0, 29, v0
	v_and_b32_e32 v5, 7, v5
	v_cndmask_b32_e32 v0, v19, v0, vcc
	v_cndmask_b32_e32 v5, v18, v5, vcc
	v_lshlrev_b32_e32 v6, 16, v12
	v_lshlrev_b32_e32 v5, 20, v5
	v_and_b32_e32 v6, 0x80000000, v6
	v_lshl_add_u32 v0, v0, 23, v54
	v_or3_b32 v6, v6, v0, v5
.LBB4_7215:                             ;   in Loop: Header=BB4_6462 Depth=3
	s_or_b64 exec, exec, s[50:51]
.LBB4_7216:                             ;   in Loop: Header=BB4_6462 Depth=3
	s_or_b64 exec, exec, s[48:49]
.LBB4_7217:                             ;   in Loop: Header=BB4_6462 Depth=3
	s_or_b64 exec, exec, s[38:39]
	v_cmp_ne_u16_e32 vcc, 0, v2
	s_and_saveexec_b64 s[38:39], vcc
	s_cbranch_execz .LBB4_7223
; %bb.7218:                             ;   in Loop: Header=BB4_6462 Depth=3
	v_cmp_ne_u16_e32 vcc, s80, v2
	v_bfrev_b32_e32 v17, 1
	s_and_saveexec_b64 s[48:49], vcc
	s_cbranch_execz .LBB4_7222
; %bb.7219:                             ;   in Loop: Header=BB4_6462 Depth=3
	v_and_b32_e32 v0, 0x7f, v2
	v_cmp_ne_u32_e32 vcc, s81, v0
	v_mov_b32_e32 v17, 0x7f800001
	s_and_saveexec_b64 s[50:51], vcc
	s_cbranch_execz .LBB4_7221
; %bb.7220:                             ;   in Loop: Header=BB4_6462 Depth=3
	v_and_b32_e32 v5, 7, v2
	v_lshrrev_b32_e32 v19, 3, v0
	v_cmp_gt_u32_e32 vcc, 8, v0
	v_ffbh_u32_e32 v0, v5
	v_min_u32_e32 v0, 32, v0
	v_subrev_u32_e32 v17, 28, v0
	v_lshlrev_b64 v[17:18], v17, v[2:3]
	v_sub_u32_e32 v0, 29, v0
	v_and_b32_e32 v17, 7, v17
	v_cndmask_b32_e32 v0, v19, v0, vcc
	v_cndmask_b32_e32 v5, v5, v17, vcc
	v_lshlrev_b32_e32 v17, 16, v8
	v_lshlrev_b32_e32 v5, 20, v5
	v_and_b32_e32 v17, 0x80000000, v17
	v_lshl_add_u32 v0, v0, 23, v54
	v_or3_b32 v17, v17, v0, v5
.LBB4_7221:                             ;   in Loop: Header=BB4_6462 Depth=3
	s_or_b64 exec, exec, s[50:51]
.LBB4_7222:                             ;   in Loop: Header=BB4_6462 Depth=3
	s_or_b64 exec, exec, s[48:49]
.LBB4_7223:                             ;   in Loop: Header=BB4_6462 Depth=3
	s_or_b64 exec, exec, s[38:39]
	v_max_f32_e32 v0, v17, v17
	v_max_f32_e32 v5, v6, v6
	;; [unrolled: 1-line block ×3, first 2 shown]
	s_mov_b64 s[38:39], 0
.LBB4_7224:                             ;   in Loop: Header=BB4_6462 Depth=3
	s_and_b64 vcc, exec, s[38:39]
	s_cbranch_vccz .LBB4_7238
; %bb.7225:                             ;   in Loop: Header=BB4_6462 Depth=3
	v_mov_b32_e32 v17, 0
	v_mov_b32_e32 v6, 0
	s_and_saveexec_b64 s[38:39], s[40:41]
	s_cbranch_execz .LBB4_7231
; %bb.7226:                             ;   in Loop: Header=BB4_6462 Depth=3
	v_cmp_ne_u16_e32 vcc, s80, v16
	v_bfrev_b32_e32 v6, 1
	s_and_saveexec_b64 s[40:41], vcc
	s_cbranch_execz .LBB4_7230
; %bb.7227:                             ;   in Loop: Header=BB4_6462 Depth=3
	v_and_b32_e32 v0, 0x7f, v16
	v_cmp_ne_u32_e32 vcc, s81, v0
	v_mov_b32_e32 v6, 0x7f800001
	s_and_saveexec_b64 s[48:49], vcc
	s_cbranch_execz .LBB4_7229
; %bb.7228:                             ;   in Loop: Header=BB4_6462 Depth=3
	v_and_b32_e32 v18, 7, v16
	v_lshrrev_b32_e32 v19, 3, v0
	v_cmp_gt_u32_e32 vcc, 8, v0
	v_ffbh_u32_e32 v0, v18
	v_min_u32_e32 v0, 32, v0
	v_subrev_u32_e32 v5, 28, v0
	v_lshlrev_b64 v[5:6], v5, v[16:17]
	v_sub_u32_e32 v0, 29, v0
	v_and_b32_e32 v5, 7, v5
	v_cndmask_b32_e32 v0, v19, v0, vcc
	v_cndmask_b32_e32 v5, v18, v5, vcc
	v_lshlrev_b32_e32 v6, 16, v12
	v_lshlrev_b32_e32 v5, 20, v5
	v_and_b32_e32 v6, 0x80000000, v6
	v_lshl_add_u32 v0, v0, 23, v54
	v_or3_b32 v6, v6, v0, v5
.LBB4_7229:                             ;   in Loop: Header=BB4_6462 Depth=3
	s_or_b64 exec, exec, s[48:49]
.LBB4_7230:                             ;   in Loop: Header=BB4_6462 Depth=3
	s_or_b64 exec, exec, s[40:41]
.LBB4_7231:                             ;   in Loop: Header=BB4_6462 Depth=3
	s_or_b64 exec, exec, s[38:39]
	v_cmp_ne_u16_e32 vcc, 0, v2
	s_and_saveexec_b64 s[40:41], vcc
	s_cbranch_execz .LBB4_7237
; %bb.7232:                             ;   in Loop: Header=BB4_6462 Depth=3
	v_cmp_ne_u16_e32 vcc, s80, v2
	v_bfrev_b32_e32 v17, 1
	s_and_saveexec_b64 s[38:39], vcc
	s_cbranch_execz .LBB4_7236
; %bb.7233:                             ;   in Loop: Header=BB4_6462 Depth=3
	v_and_b32_e32 v0, 0x7f, v2
	v_cmp_ne_u32_e32 vcc, s81, v0
	v_mov_b32_e32 v17, 0x7f800001
	s_and_saveexec_b64 s[48:49], vcc
	s_cbranch_execz .LBB4_7235
; %bb.7234:                             ;   in Loop: Header=BB4_6462 Depth=3
	v_and_b32_e32 v5, 7, v2
	v_lshrrev_b32_e32 v18, 3, v0
	v_cmp_gt_u32_e32 vcc, 8, v0
	v_ffbh_u32_e32 v0, v5
	v_min_u32_e32 v0, 32, v0
	v_subrev_u32_e32 v16, 28, v0
	v_lshlrev_b64 v[16:17], v16, v[2:3]
	v_sub_u32_e32 v0, 29, v0
	v_and_b32_e32 v2, 7, v16
	v_cndmask_b32_e32 v0, v18, v0, vcc
	v_cndmask_b32_e32 v2, v5, v2, vcc
	v_lshlrev_b32_e32 v5, 16, v8
	v_lshlrev_b32_e32 v2, 20, v2
	v_and_b32_e32 v5, 0x80000000, v5
	v_lshl_add_u32 v0, v0, 23, v54
	v_or3_b32 v17, v5, v0, v2
.LBB4_7235:                             ;   in Loop: Header=BB4_6462 Depth=3
	s_or_b64 exec, exec, s[48:49]
.LBB4_7236:                             ;   in Loop: Header=BB4_6462 Depth=3
	s_or_b64 exec, exec, s[38:39]
.LBB4_7237:                             ;   in Loop: Header=BB4_6462 Depth=3
	s_or_b64 exec, exec, s[40:41]
	v_max_f32_e32 v0, v17, v17
	v_max_f32_e32 v2, v6, v6
	v_min_f32_e32 v17, v2, v0
.LBB4_7238:                             ;   in Loop: Header=BB4_6462 Depth=3
	v_and_b32_e32 v2, 0x7f800000, v17
	v_cmp_ne_u64_e32 vcc, s[76:77], v[2:3]
                                        ; implicit-def: $vgpr23
	s_and_saveexec_b64 s[40:41], vcc
	s_xor_b64 s[38:39], exec, s[40:41]
	s_cbranch_execz .LBB4_7252
; %bb.7239:                             ;   in Loop: Header=BB4_6462 Depth=3
	v_and_b32_e32 v2, 0x7fffffff, v17
	v_cmp_gt_u64_e32 vcc, s[78:79], v[2:3]
	v_and_b32_sdwa v6, v17, s80 dst_sel:DWORD dst_unused:UNUSED_PAD src0_sel:BYTE_3 src1_sel:DWORD
                                        ; implicit-def: $vgpr23
	s_and_saveexec_b64 s[40:41], vcc
	s_xor_b64 s[48:49], exec, s[40:41]
	s_cbranch_execz .LBB4_7249
; %bb.7240:                             ;   in Loop: Header=BB4_6462 Depth=3
	v_mov_b32_e32 v23, 0
	v_cmp_ne_u32_e32 vcc, 0, v17
	s_and_saveexec_b64 s[50:51], vcc
	s_cbranch_execz .LBB4_7248
; %bb.7241:                             ;   in Loop: Header=BB4_6462 Depth=3
	v_bfe_u32 v19, v17, 23, 8
	v_cmp_gt_u32_e64 s[40:41], s83, v19
	v_sub_u32_e32 v2, 0x79, v19
	v_and_b32_e32 v0, 0x7fffff, v17
	v_cmp_eq_u32_e32 vcc, 0, v19
	v_cndmask_b32_e64 v2, 0, v2, s[40:41]
	v_mov_b32_e32 v16, 0x78
	v_or_b32_e32 v5, 0x800000, v0
	v_cndmask_b32_e32 v23, v2, v16, vcc
	v_cndmask_b32_e32 v2, v5, v0, vcc
	v_add_u32_e32 v0, 20, v23
	v_lshlrev_b64 v[16:17], v0, -1
	v_add_u32_e32 v0, 19, v23
	v_lshlrev_b64 v[42:43], v0, 1
	v_bfi_b32 v17, v17, 0, 0
	v_bfi_b32 v16, v16, 0, v2
	v_cmp_eq_u64_e64 s[40:41], v[16:17], v[42:43]
	v_lshrrev_b64 v[16:17], v23, v[2:3]
	v_mov_b32_e32 v18, v17
	v_mov_b32_e32 v17, v16
	s_and_saveexec_b64 s[52:53], s[40:41]
; %bb.7242:                             ;   in Loop: Header=BB4_6462 Depth=3
	v_bfe_u32 v0, v16, 20, 1
	v_add_co_u32_e64 v0, s[40:41], v16, v0
	v_add_co_u32_e64 v17, s[40:41], -1, v0
; %bb.7243:                             ;   in Loop: Header=BB4_6462 Depth=3
	s_or_b64 exec, exec, s[52:53]
	v_add_u32_e32 v0, 0xffffff81, v19
	v_mov_b32_e32 v2, 0xffffff82
	v_cndmask_b32_e32 v0, v0, v2, vcc
	v_lshrrev_b32_e32 v2, 23, v16
	v_add3_u32 v18, v23, v0, v2
	v_add_u32_e32 v5, 6, v18
	v_and_b32_e32 v0, 0xfffff, v17
	v_add_u32_e32 v2, v0, v16
	v_cmp_ne_u32_e32 vcc, 0, v5
                                        ; implicit-def: $vgpr16_vgpr17
                                        ; implicit-def: $vgpr0
	s_and_saveexec_b64 s[40:41], vcc
	s_xor_b64 s[40:41], exec, s[40:41]
; %bb.7244:                             ;   in Loop: Header=BB4_6462 Depth=3
	v_cmp_lt_u64_e32 vcc, s[88:89], v[2:3]
	v_add_u32_e32 v0, 7, v18
	v_cndmask_b32_e32 v0, v5, v0, vcc
	v_cndmask_b32_e64 v5, 0, 1, vcc
	v_lshrrev_b64 v[16:17], v5, v[2:3]
; %bb.7245:                             ;   in Loop: Header=BB4_6462 Depth=3
	s_andn2_saveexec_b64 s[40:41], s[40:41]
; %bb.7246:                             ;   in Loop: Header=BB4_6462 Depth=3
	v_mov_b32_e32 v17, v3
	v_bfe_u32 v0, v2, 23, 1
	v_mov_b32_e32 v16, v2
; %bb.7247:                             ;   in Loop: Header=BB4_6462 Depth=3
	s_or_b64 exec, exec, s[40:41]
	v_lshrrev_b64 v[16:17], 20, v[16:17]
	v_cmp_gt_i32_e32 vcc, 16, v0
	v_cndmask_b32_e32 v17, 0, v17, vcc
	v_cndmask_b32_e32 v16, 7, v16, vcc
	v_cmp_eq_u32_e32 vcc, 0, v0
	v_min_i32_e32 v0, 15, v0
	v_cmp_eq_u64_e64 s[40:41], 0, v[16:17]
	v_lshlrev_b32_e32 v0, 3, v0
	v_and_b32_e32 v0, 0xf8, v0
	v_and_or_b32 v0, v16, 7, v0
	s_and_b64 s[40:41], vcc, s[40:41]
	v_cndmask_b32_e64 v0, v0, 0, s[40:41]
	v_or_b32_e32 v23, v0, v6
.LBB4_7248:                             ;   in Loop: Header=BB4_6462 Depth=3
	s_or_b64 exec, exec, s[50:51]
                                        ; implicit-def: $vgpr6
.LBB4_7249:                             ;   in Loop: Header=BB4_6462 Depth=3
	s_andn2_saveexec_b64 s[40:41], s[48:49]
; %bb.7250:                             ;   in Loop: Header=BB4_6462 Depth=3
	v_or_b32_e32 v23, 0x7e, v6
; %bb.7251:                             ;   in Loop: Header=BB4_6462 Depth=3
	s_or_b64 exec, exec, s[40:41]
                                        ; implicit-def: $vgpr17
.LBB4_7252:                             ;   in Loop: Header=BB4_6462 Depth=3
	s_andn2_saveexec_b64 s[40:41], s[38:39]
; %bb.7253:                             ;   in Loop: Header=BB4_6462 Depth=3
	v_or_b32_sdwa v23, v17, s81 dst_sel:DWORD dst_unused:UNUSED_PAD src0_sel:BYTE_3 src1_sel:DWORD
; %bb.7254:                             ;   in Loop: Header=BB4_6462 Depth=3
	s_or_b64 exec, exec, s[40:41]
	v_lshrrev_b32_e32 v16, 16, v12
	v_lshrrev_b32_e32 v2, 16, v8
	v_cmp_ne_u16_sdwa s[40:41], v16, v3 src0_sel:BYTE_0 src1_sel:DWORD
	s_and_b64 vcc, exec, s[28:29]
	s_mov_b64 s[38:39], -1
                                        ; implicit-def: $vgpr17
	s_cbranch_vccnz .LBB4_7268
; %bb.7255:                             ;   in Loop: Header=BB4_6462 Depth=3
	v_mov_b32_e32 v17, 0
	v_mov_b32_e32 v6, 0
	s_and_saveexec_b64 s[38:39], s[40:41]
	s_cbranch_execz .LBB4_7261
; %bb.7256:                             ;   in Loop: Header=BB4_6462 Depth=3
	v_cmp_ne_u16_sdwa vcc, v16, s80 src0_sel:BYTE_0 src1_sel:DWORD
	v_bfrev_b32_e32 v6, 1
	s_and_saveexec_b64 s[48:49], vcc
	s_cbranch_execz .LBB4_7260
; %bb.7257:                             ;   in Loop: Header=BB4_6462 Depth=3
	v_bfe_u32 v0, v12, 16, 7
	v_cmp_ne_u32_e32 vcc, s81, v0
	v_mov_b32_e32 v6, 0x7f800001
	s_and_saveexec_b64 s[50:51], vcc
	s_cbranch_execz .LBB4_7259
; %bb.7258:                             ;   in Loop: Header=BB4_6462 Depth=3
	v_and_b32_e32 v18, 7, v16
	v_lshrrev_b32_e32 v19, 3, v0
	v_cmp_gt_u32_e32 vcc, 8, v0
	v_ffbh_u32_e32 v0, v18
	v_min_u32_e32 v0, 32, v0
	v_subrev_u32_e32 v5, 28, v0
	v_lshlrev_b64 v[5:6], v5, v[16:17]
	v_sub_u32_e32 v0, 29, v0
	v_and_b32_e32 v5, 7, v5
	v_cndmask_b32_e32 v0, v19, v0, vcc
	v_cndmask_b32_e32 v5, v18, v5, vcc
	v_lshlrev_b32_e32 v6, 24, v16
	v_lshlrev_b32_e32 v5, 20, v5
	v_and_b32_e32 v6, 0x80000000, v6
	v_lshl_add_u32 v0, v0, 23, v54
	v_or3_b32 v6, v6, v0, v5
.LBB4_7259:                             ;   in Loop: Header=BB4_6462 Depth=3
	s_or_b64 exec, exec, s[50:51]
.LBB4_7260:                             ;   in Loop: Header=BB4_6462 Depth=3
	s_or_b64 exec, exec, s[48:49]
.LBB4_7261:                             ;   in Loop: Header=BB4_6462 Depth=3
	s_or_b64 exec, exec, s[38:39]
	v_cmp_ne_u16_sdwa vcc, v2, v3 src0_sel:BYTE_0 src1_sel:DWORD
	s_and_saveexec_b64 s[38:39], vcc
	s_cbranch_execz .LBB4_7267
; %bb.7262:                             ;   in Loop: Header=BB4_6462 Depth=3
	v_cmp_ne_u16_sdwa vcc, v2, s80 src0_sel:BYTE_0 src1_sel:DWORD
	v_bfrev_b32_e32 v17, 1
	s_and_saveexec_b64 s[48:49], vcc
	s_cbranch_execz .LBB4_7266
; %bb.7263:                             ;   in Loop: Header=BB4_6462 Depth=3
	v_bfe_u32 v0, v8, 16, 7
	v_cmp_ne_u32_e32 vcc, s81, v0
	v_mov_b32_e32 v17, 0x7f800001
	s_and_saveexec_b64 s[50:51], vcc
	s_cbranch_execz .LBB4_7265
; %bb.7264:                             ;   in Loop: Header=BB4_6462 Depth=3
	v_and_b32_e32 v5, 7, v2
	v_lshrrev_b32_e32 v19, 3, v0
	v_cmp_gt_u32_e32 vcc, 8, v0
	v_ffbh_u32_e32 v0, v5
	v_min_u32_e32 v0, 32, v0
	v_subrev_u32_e32 v17, 28, v0
	v_lshlrev_b64 v[17:18], v17, v[2:3]
	v_sub_u32_e32 v0, 29, v0
	v_and_b32_e32 v17, 7, v17
	v_cndmask_b32_e32 v0, v19, v0, vcc
	v_cndmask_b32_e32 v5, v5, v17, vcc
	v_lshlrev_b32_e32 v17, 24, v2
	v_lshlrev_b32_e32 v5, 20, v5
	v_and_b32_e32 v17, 0x80000000, v17
	v_lshl_add_u32 v0, v0, 23, v54
	v_or3_b32 v17, v17, v0, v5
.LBB4_7265:                             ;   in Loop: Header=BB4_6462 Depth=3
	s_or_b64 exec, exec, s[50:51]
.LBB4_7266:                             ;   in Loop: Header=BB4_6462 Depth=3
	s_or_b64 exec, exec, s[48:49]
.LBB4_7267:                             ;   in Loop: Header=BB4_6462 Depth=3
	s_or_b64 exec, exec, s[38:39]
	v_max_f32_e32 v0, v17, v17
	v_max_f32_e32 v5, v6, v6
	;; [unrolled: 1-line block ×3, first 2 shown]
	s_mov_b64 s[38:39], 0
.LBB4_7268:                             ;   in Loop: Header=BB4_6462 Depth=3
	s_and_b64 vcc, exec, s[38:39]
	s_cbranch_vccz .LBB4_7282
; %bb.7269:                             ;   in Loop: Header=BB4_6462 Depth=3
	v_mov_b32_e32 v17, 0
	v_mov_b32_e32 v6, 0
	s_and_saveexec_b64 s[38:39], s[40:41]
	s_cbranch_execz .LBB4_7275
; %bb.7270:                             ;   in Loop: Header=BB4_6462 Depth=3
	v_cmp_ne_u16_sdwa vcc, v16, s80 src0_sel:BYTE_0 src1_sel:DWORD
	v_bfrev_b32_e32 v6, 1
	s_and_saveexec_b64 s[40:41], vcc
	s_cbranch_execz .LBB4_7274
; %bb.7271:                             ;   in Loop: Header=BB4_6462 Depth=3
	v_bfe_u32 v0, v12, 16, 7
	v_cmp_ne_u32_e32 vcc, s81, v0
	v_mov_b32_e32 v6, 0x7f800001
	s_and_saveexec_b64 s[48:49], vcc
	s_cbranch_execz .LBB4_7273
; %bb.7272:                             ;   in Loop: Header=BB4_6462 Depth=3
	v_and_b32_e32 v18, 7, v16
	v_lshrrev_b32_e32 v19, 3, v0
	v_cmp_gt_u32_e32 vcc, 8, v0
	v_ffbh_u32_e32 v0, v18
	v_min_u32_e32 v0, 32, v0
	v_subrev_u32_e32 v5, 28, v0
	v_lshlrev_b64 v[5:6], v5, v[16:17]
	v_sub_u32_e32 v0, 29, v0
	v_and_b32_e32 v5, 7, v5
	v_cndmask_b32_e32 v0, v19, v0, vcc
	v_cndmask_b32_e32 v5, v18, v5, vcc
	v_lshlrev_b32_e32 v6, 24, v16
	v_lshlrev_b32_e32 v5, 20, v5
	v_and_b32_e32 v6, 0x80000000, v6
	v_lshl_add_u32 v0, v0, 23, v54
	v_or3_b32 v6, v6, v0, v5
.LBB4_7273:                             ;   in Loop: Header=BB4_6462 Depth=3
	s_or_b64 exec, exec, s[48:49]
.LBB4_7274:                             ;   in Loop: Header=BB4_6462 Depth=3
	s_or_b64 exec, exec, s[40:41]
.LBB4_7275:                             ;   in Loop: Header=BB4_6462 Depth=3
	s_or_b64 exec, exec, s[38:39]
	v_cmp_ne_u16_sdwa vcc, v2, v3 src0_sel:BYTE_0 src1_sel:DWORD
	s_and_saveexec_b64 s[40:41], vcc
	s_cbranch_execz .LBB4_7281
; %bb.7276:                             ;   in Loop: Header=BB4_6462 Depth=3
	v_cmp_ne_u16_sdwa vcc, v2, s80 src0_sel:BYTE_0 src1_sel:DWORD
	v_bfrev_b32_e32 v17, 1
	s_and_saveexec_b64 s[38:39], vcc
	s_cbranch_execz .LBB4_7280
; %bb.7277:                             ;   in Loop: Header=BB4_6462 Depth=3
	v_bfe_u32 v0, v8, 16, 7
	v_cmp_ne_u32_e32 vcc, s81, v0
	v_mov_b32_e32 v17, 0x7f800001
	s_and_saveexec_b64 s[48:49], vcc
	s_cbranch_execz .LBB4_7279
; %bb.7278:                             ;   in Loop: Header=BB4_6462 Depth=3
	v_and_b32_e32 v5, 7, v2
	v_lshrrev_b32_e32 v18, 3, v0
	v_cmp_gt_u32_e32 vcc, 8, v0
	v_ffbh_u32_e32 v0, v5
	v_min_u32_e32 v0, 32, v0
	v_subrev_u32_e32 v16, 28, v0
	v_lshlrev_b64 v[16:17], v16, v[2:3]
	v_sub_u32_e32 v0, 29, v0
	v_and_b32_e32 v16, 7, v16
	v_cndmask_b32_e32 v0, v18, v0, vcc
	v_cndmask_b32_e32 v5, v5, v16, vcc
	v_lshlrev_b32_e32 v2, 24, v2
	v_lshlrev_b32_e32 v5, 20, v5
	v_and_b32_e32 v2, 0x80000000, v2
	v_lshl_add_u32 v0, v0, 23, v54
	v_or3_b32 v17, v2, v0, v5
.LBB4_7279:                             ;   in Loop: Header=BB4_6462 Depth=3
	s_or_b64 exec, exec, s[48:49]
.LBB4_7280:                             ;   in Loop: Header=BB4_6462 Depth=3
	s_or_b64 exec, exec, s[38:39]
.LBB4_7281:                             ;   in Loop: Header=BB4_6462 Depth=3
	s_or_b64 exec, exec, s[40:41]
	v_max_f32_e32 v0, v17, v17
	v_max_f32_e32 v2, v6, v6
	v_min_f32_e32 v17, v2, v0
.LBB4_7282:                             ;   in Loop: Header=BB4_6462 Depth=3
	v_and_b32_e32 v2, 0x7f800000, v17
	v_cmp_ne_u64_e32 vcc, s[76:77], v[2:3]
                                        ; implicit-def: $vgpr36
	s_and_saveexec_b64 s[40:41], vcc
	s_xor_b64 s[38:39], exec, s[40:41]
	s_cbranch_execz .LBB4_7296
; %bb.7283:                             ;   in Loop: Header=BB4_6462 Depth=3
	v_and_b32_e32 v2, 0x7fffffff, v17
	v_cmp_gt_u64_e32 vcc, s[78:79], v[2:3]
	v_and_b32_sdwa v6, v17, s80 dst_sel:DWORD dst_unused:UNUSED_PAD src0_sel:BYTE_3 src1_sel:DWORD
                                        ; implicit-def: $vgpr36
	s_and_saveexec_b64 s[40:41], vcc
	s_xor_b64 s[48:49], exec, s[40:41]
	s_cbranch_execz .LBB4_7293
; %bb.7284:                             ;   in Loop: Header=BB4_6462 Depth=3
	v_mov_b32_e32 v36, 0
	v_cmp_ne_u32_e32 vcc, 0, v17
	s_and_saveexec_b64 s[50:51], vcc
	s_cbranch_execz .LBB4_7292
; %bb.7285:                             ;   in Loop: Header=BB4_6462 Depth=3
	v_bfe_u32 v19, v17, 23, 8
	v_cmp_gt_u32_e64 s[40:41], s83, v19
	v_sub_u32_e32 v2, 0x79, v19
	v_and_b32_e32 v0, 0x7fffff, v17
	v_cmp_eq_u32_e32 vcc, 0, v19
	v_cndmask_b32_e64 v2, 0, v2, s[40:41]
	v_mov_b32_e32 v16, 0x78
	v_or_b32_e32 v5, 0x800000, v0
	v_cndmask_b32_e32 v36, v2, v16, vcc
	v_cndmask_b32_e32 v2, v5, v0, vcc
	v_add_u32_e32 v0, 20, v36
	v_lshlrev_b64 v[16:17], v0, -1
	v_add_u32_e32 v0, 19, v36
	v_lshlrev_b64 v[42:43], v0, 1
	v_bfi_b32 v17, v17, 0, 0
	v_bfi_b32 v16, v16, 0, v2
	v_cmp_eq_u64_e64 s[40:41], v[16:17], v[42:43]
	v_lshrrev_b64 v[16:17], v36, v[2:3]
	v_mov_b32_e32 v18, v17
	v_mov_b32_e32 v17, v16
	s_and_saveexec_b64 s[52:53], s[40:41]
; %bb.7286:                             ;   in Loop: Header=BB4_6462 Depth=3
	v_bfe_u32 v0, v16, 20, 1
	v_add_co_u32_e64 v0, s[40:41], v16, v0
	v_add_co_u32_e64 v17, s[40:41], -1, v0
; %bb.7287:                             ;   in Loop: Header=BB4_6462 Depth=3
	s_or_b64 exec, exec, s[52:53]
	v_add_u32_e32 v0, 0xffffff81, v19
	v_mov_b32_e32 v2, 0xffffff82
	v_cndmask_b32_e32 v0, v0, v2, vcc
	v_lshrrev_b32_e32 v2, 23, v16
	v_add3_u32 v18, v36, v0, v2
	v_add_u32_e32 v5, 6, v18
	v_and_b32_e32 v0, 0xfffff, v17
	v_add_u32_e32 v2, v0, v16
	v_cmp_ne_u32_e32 vcc, 0, v5
                                        ; implicit-def: $vgpr16_vgpr17
                                        ; implicit-def: $vgpr0
	s_and_saveexec_b64 s[40:41], vcc
	s_xor_b64 s[40:41], exec, s[40:41]
; %bb.7288:                             ;   in Loop: Header=BB4_6462 Depth=3
	v_cmp_lt_u64_e32 vcc, s[88:89], v[2:3]
	v_add_u32_e32 v0, 7, v18
	v_cndmask_b32_e32 v0, v5, v0, vcc
	v_cndmask_b32_e64 v5, 0, 1, vcc
	v_lshrrev_b64 v[16:17], v5, v[2:3]
; %bb.7289:                             ;   in Loop: Header=BB4_6462 Depth=3
	s_andn2_saveexec_b64 s[40:41], s[40:41]
; %bb.7290:                             ;   in Loop: Header=BB4_6462 Depth=3
	v_mov_b32_e32 v17, v3
	v_bfe_u32 v0, v2, 23, 1
	v_mov_b32_e32 v16, v2
; %bb.7291:                             ;   in Loop: Header=BB4_6462 Depth=3
	s_or_b64 exec, exec, s[40:41]
	v_lshrrev_b64 v[16:17], 20, v[16:17]
	v_cmp_gt_i32_e32 vcc, 16, v0
	v_cndmask_b32_e32 v17, 0, v17, vcc
	v_cndmask_b32_e32 v16, 7, v16, vcc
	v_cmp_eq_u32_e32 vcc, 0, v0
	v_min_i32_e32 v0, 15, v0
	v_cmp_eq_u64_e64 s[40:41], 0, v[16:17]
	v_lshlrev_b32_e32 v0, 3, v0
	v_and_b32_e32 v0, 0xf8, v0
	v_and_or_b32 v0, v16, 7, v0
	s_and_b64 s[40:41], vcc, s[40:41]
	v_cndmask_b32_e64 v0, v0, 0, s[40:41]
	v_or_b32_e32 v36, v0, v6
.LBB4_7292:                             ;   in Loop: Header=BB4_6462 Depth=3
	s_or_b64 exec, exec, s[50:51]
                                        ; implicit-def: $vgpr6
.LBB4_7293:                             ;   in Loop: Header=BB4_6462 Depth=3
	s_andn2_saveexec_b64 s[40:41], s[48:49]
; %bb.7294:                             ;   in Loop: Header=BB4_6462 Depth=3
	v_or_b32_e32 v36, 0x7e, v6
; %bb.7295:                             ;   in Loop: Header=BB4_6462 Depth=3
	s_or_b64 exec, exec, s[40:41]
                                        ; implicit-def: $vgpr17
.LBB4_7296:                             ;   in Loop: Header=BB4_6462 Depth=3
	s_andn2_saveexec_b64 s[40:41], s[38:39]
; %bb.7297:                             ;   in Loop: Header=BB4_6462 Depth=3
	v_or_b32_sdwa v36, v17, s81 dst_sel:DWORD dst_unused:UNUSED_PAD src0_sel:BYTE_3 src1_sel:DWORD
; %bb.7298:                             ;   in Loop: Header=BB4_6462 Depth=3
	s_or_b64 exec, exec, s[40:41]
	v_lshrrev_b32_e32 v16, 24, v12
	v_lshrrev_b32_e32 v2, 24, v8
	v_cmp_lt_u32_e64 s[40:41], s63, v12
	s_and_b64 vcc, exec, s[28:29]
	s_mov_b64 s[38:39], -1
                                        ; implicit-def: $vgpr17
	s_cbranch_vccnz .LBB4_7312
; %bb.7299:                             ;   in Loop: Header=BB4_6462 Depth=3
	v_mov_b32_e32 v17, 0
	v_mov_b32_e32 v6, 0
	s_and_saveexec_b64 s[38:39], s[40:41]
	s_cbranch_execz .LBB4_7305
; %bb.7300:                             ;   in Loop: Header=BB4_6462 Depth=3
	v_cmp_ne_u32_e32 vcc, s80, v16
	v_bfrev_b32_e32 v6, 1
	s_and_saveexec_b64 s[48:49], vcc
	s_cbranch_execz .LBB4_7304
; %bb.7301:                             ;   in Loop: Header=BB4_6462 Depth=3
	v_bfe_u32 v0, v12, 24, 7
	v_cmp_ne_u32_e32 vcc, s81, v0
	v_mov_b32_e32 v6, 0x7f800001
	s_and_saveexec_b64 s[50:51], vcc
	s_cbranch_execz .LBB4_7303
; %bb.7302:                             ;   in Loop: Header=BB4_6462 Depth=3
	v_and_b32_e32 v18, 7, v16
	v_lshrrev_b32_e32 v19, 3, v0
	v_cmp_gt_u32_e32 vcc, 8, v0
	v_ffbh_u32_e32 v0, v18
	v_min_u32_e32 v0, 32, v0
	v_subrev_u32_e32 v5, 28, v0
	v_lshlrev_b64 v[5:6], v5, v[16:17]
	v_sub_u32_e32 v0, 29, v0
	v_and_b32_e32 v5, 7, v5
	v_cndmask_b32_e32 v0, v19, v0, vcc
	v_cndmask_b32_e32 v5, v18, v5, vcc
	v_lshlrev_b32_e32 v6, 24, v16
	v_lshlrev_b32_e32 v5, 20, v5
	v_and_b32_e32 v6, 0x80000000, v6
	v_lshl_add_u32 v0, v0, 23, v54
	v_or3_b32 v6, v6, v0, v5
.LBB4_7303:                             ;   in Loop: Header=BB4_6462 Depth=3
	s_or_b64 exec, exec, s[50:51]
.LBB4_7304:                             ;   in Loop: Header=BB4_6462 Depth=3
	s_or_b64 exec, exec, s[48:49]
.LBB4_7305:                             ;   in Loop: Header=BB4_6462 Depth=3
	s_or_b64 exec, exec, s[38:39]
	v_cmp_lt_u32_e32 vcc, s63, v8
	s_and_saveexec_b64 s[38:39], vcc
	s_cbranch_execz .LBB4_7311
; %bb.7306:                             ;   in Loop: Header=BB4_6462 Depth=3
	v_cmp_ne_u32_e32 vcc, s80, v2
	v_bfrev_b32_e32 v17, 1
	s_and_saveexec_b64 s[48:49], vcc
	s_cbranch_execz .LBB4_7310
; %bb.7307:                             ;   in Loop: Header=BB4_6462 Depth=3
	v_bfe_u32 v0, v8, 24, 7
	v_cmp_ne_u32_e32 vcc, s81, v0
	v_mov_b32_e32 v17, 0x7f800001
	s_and_saveexec_b64 s[50:51], vcc
	s_cbranch_execz .LBB4_7309
; %bb.7308:                             ;   in Loop: Header=BB4_6462 Depth=3
	v_and_b32_e32 v5, 7, v2
	v_lshrrev_b32_e32 v19, 3, v0
	v_cmp_gt_u32_e32 vcc, 8, v0
	v_ffbh_u32_e32 v0, v5
	v_min_u32_e32 v0, 32, v0
	v_subrev_u32_e32 v17, 28, v0
	v_lshlrev_b64 v[17:18], v17, v[2:3]
	v_sub_u32_e32 v0, 29, v0
	v_and_b32_e32 v17, 7, v17
	v_cndmask_b32_e32 v0, v19, v0, vcc
	v_cndmask_b32_e32 v5, v5, v17, vcc
	v_lshlrev_b32_e32 v17, 24, v2
	v_lshlrev_b32_e32 v5, 20, v5
	v_and_b32_e32 v17, 0x80000000, v17
	v_lshl_add_u32 v0, v0, 23, v54
	v_or3_b32 v17, v17, v0, v5
.LBB4_7309:                             ;   in Loop: Header=BB4_6462 Depth=3
	s_or_b64 exec, exec, s[50:51]
.LBB4_7310:                             ;   in Loop: Header=BB4_6462 Depth=3
	s_or_b64 exec, exec, s[48:49]
.LBB4_7311:                             ;   in Loop: Header=BB4_6462 Depth=3
	s_or_b64 exec, exec, s[38:39]
	v_max_f32_e32 v0, v17, v17
	v_max_f32_e32 v5, v6, v6
	;; [unrolled: 1-line block ×3, first 2 shown]
	s_mov_b64 s[38:39], 0
.LBB4_7312:                             ;   in Loop: Header=BB4_6462 Depth=3
	s_and_b64 vcc, exec, s[38:39]
	s_cbranch_vccz .LBB4_7326
; %bb.7313:                             ;   in Loop: Header=BB4_6462 Depth=3
	v_mov_b32_e32 v17, 0
	v_mov_b32_e32 v6, 0
	s_and_saveexec_b64 s[38:39], s[40:41]
	s_cbranch_execz .LBB4_7319
; %bb.7314:                             ;   in Loop: Header=BB4_6462 Depth=3
	v_cmp_ne_u32_e32 vcc, s80, v16
	v_bfrev_b32_e32 v6, 1
	s_and_saveexec_b64 s[40:41], vcc
	s_cbranch_execz .LBB4_7318
; %bb.7315:                             ;   in Loop: Header=BB4_6462 Depth=3
	v_bfe_u32 v0, v12, 24, 7
	v_cmp_ne_u32_e32 vcc, s81, v0
	v_mov_b32_e32 v6, 0x7f800001
	s_and_saveexec_b64 s[48:49], vcc
	s_cbranch_execz .LBB4_7317
; %bb.7316:                             ;   in Loop: Header=BB4_6462 Depth=3
	v_and_b32_e32 v18, 7, v16
	v_lshrrev_b32_e32 v19, 3, v0
	v_cmp_gt_u32_e32 vcc, 8, v0
	v_ffbh_u32_e32 v0, v18
	v_min_u32_e32 v0, 32, v0
	v_subrev_u32_e32 v5, 28, v0
	v_lshlrev_b64 v[5:6], v5, v[16:17]
	v_sub_u32_e32 v0, 29, v0
	v_and_b32_e32 v5, 7, v5
	v_cndmask_b32_e32 v0, v19, v0, vcc
	v_cndmask_b32_e32 v5, v18, v5, vcc
	v_lshlrev_b32_e32 v6, 24, v16
	v_lshlrev_b32_e32 v5, 20, v5
	v_and_b32_e32 v6, 0x80000000, v6
	v_lshl_add_u32 v0, v0, 23, v54
	v_or3_b32 v6, v6, v0, v5
.LBB4_7317:                             ;   in Loop: Header=BB4_6462 Depth=3
	s_or_b64 exec, exec, s[48:49]
.LBB4_7318:                             ;   in Loop: Header=BB4_6462 Depth=3
	s_or_b64 exec, exec, s[40:41]
.LBB4_7319:                             ;   in Loop: Header=BB4_6462 Depth=3
	s_or_b64 exec, exec, s[38:39]
	v_cmp_lt_u32_e32 vcc, s63, v8
	s_and_saveexec_b64 s[40:41], vcc
	s_cbranch_execz .LBB4_7325
; %bb.7320:                             ;   in Loop: Header=BB4_6462 Depth=3
	v_cmp_ne_u32_e32 vcc, s80, v2
	v_bfrev_b32_e32 v17, 1
	s_and_saveexec_b64 s[38:39], vcc
	s_cbranch_execz .LBB4_7324
; %bb.7321:                             ;   in Loop: Header=BB4_6462 Depth=3
	v_bfe_u32 v0, v8, 24, 7
	v_cmp_ne_u32_e32 vcc, s81, v0
	v_mov_b32_e32 v17, 0x7f800001
	s_and_saveexec_b64 s[48:49], vcc
	s_cbranch_execz .LBB4_7323
; %bb.7322:                             ;   in Loop: Header=BB4_6462 Depth=3
	v_and_b32_e32 v5, 7, v2
	v_lshrrev_b32_e32 v18, 3, v0
	v_cmp_gt_u32_e32 vcc, 8, v0
	v_ffbh_u32_e32 v0, v5
	v_min_u32_e32 v0, 32, v0
	v_subrev_u32_e32 v16, 28, v0
	v_lshlrev_b64 v[16:17], v16, v[2:3]
	v_sub_u32_e32 v0, 29, v0
	v_and_b32_e32 v16, 7, v16
	v_cndmask_b32_e32 v0, v18, v0, vcc
	v_cndmask_b32_e32 v5, v5, v16, vcc
	v_lshlrev_b32_e32 v2, 24, v2
	v_lshlrev_b32_e32 v5, 20, v5
	v_and_b32_e32 v2, 0x80000000, v2
	v_lshl_add_u32 v0, v0, 23, v54
	v_or3_b32 v17, v2, v0, v5
.LBB4_7323:                             ;   in Loop: Header=BB4_6462 Depth=3
	s_or_b64 exec, exec, s[48:49]
.LBB4_7324:                             ;   in Loop: Header=BB4_6462 Depth=3
	s_or_b64 exec, exec, s[38:39]
.LBB4_7325:                             ;   in Loop: Header=BB4_6462 Depth=3
	s_or_b64 exec, exec, s[40:41]
	v_max_f32_e32 v0, v17, v17
	v_max_f32_e32 v2, v6, v6
	v_min_f32_e32 v17, v2, v0
.LBB4_7326:                             ;   in Loop: Header=BB4_6462 Depth=3
	v_and_b32_e32 v2, 0x7f800000, v17
	v_cmp_ne_u64_e32 vcc, s[76:77], v[2:3]
                                        ; implicit-def: $vgpr6
	s_and_saveexec_b64 s[40:41], vcc
	s_xor_b64 s[38:39], exec, s[40:41]
	s_cbranch_execz .LBB4_7340
; %bb.7327:                             ;   in Loop: Header=BB4_6462 Depth=3
	v_and_b32_e32 v2, 0x7fffffff, v17
	v_cmp_gt_u64_e32 vcc, s[78:79], v[2:3]
	v_and_b32_sdwa v19, v17, s80 dst_sel:DWORD dst_unused:UNUSED_PAD src0_sel:BYTE_3 src1_sel:DWORD
                                        ; implicit-def: $vgpr6
	s_and_saveexec_b64 s[40:41], vcc
	s_xor_b64 s[48:49], exec, s[40:41]
	s_cbranch_execz .LBB4_7337
; %bb.7328:                             ;   in Loop: Header=BB4_6462 Depth=3
	v_mov_b32_e32 v6, 0
	v_cmp_ne_u32_e32 vcc, 0, v17
	s_and_saveexec_b64 s[50:51], vcc
	s_cbranch_execz .LBB4_7336
; %bb.7329:                             ;   in Loop: Header=BB4_6462 Depth=3
	v_bfe_u32 v6, v17, 23, 8
	v_cmp_gt_u32_e64 s[40:41], s83, v6
	v_sub_u32_e32 v2, 0x79, v6
	v_and_b32_e32 v0, 0x7fffff, v17
	v_cmp_eq_u32_e32 vcc, 0, v6
	v_cndmask_b32_e64 v2, 0, v2, s[40:41]
	v_mov_b32_e32 v16, 0x78
	v_or_b32_e32 v5, 0x800000, v0
	v_cndmask_b32_e32 v55, v2, v16, vcc
	v_cndmask_b32_e32 v2, v5, v0, vcc
	v_add_u32_e32 v0, 20, v55
	v_lshlrev_b64 v[16:17], v0, -1
	v_add_u32_e32 v0, 19, v55
	v_lshlrev_b64 v[42:43], v0, 1
	v_bfi_b32 v17, v17, 0, 0
	v_bfi_b32 v16, v16, 0, v2
	v_cmp_eq_u64_e64 s[40:41], v[16:17], v[42:43]
	v_lshrrev_b64 v[16:17], v55, v[2:3]
	v_mov_b32_e32 v18, v17
	v_mov_b32_e32 v17, v16
	s_and_saveexec_b64 s[52:53], s[40:41]
; %bb.7330:                             ;   in Loop: Header=BB4_6462 Depth=3
	v_bfe_u32 v0, v16, 20, 1
	v_add_co_u32_e64 v0, s[40:41], v16, v0
	v_add_co_u32_e64 v17, s[40:41], -1, v0
; %bb.7331:                             ;   in Loop: Header=BB4_6462 Depth=3
	s_or_b64 exec, exec, s[52:53]
	v_add_u32_e32 v0, 0xffffff81, v6
	v_mov_b32_e32 v2, 0xffffff82
	v_cndmask_b32_e32 v0, v0, v2, vcc
	v_lshrrev_b32_e32 v2, 23, v16
	v_add3_u32 v6, v55, v0, v2
	v_add_u32_e32 v5, 6, v6
	v_and_b32_e32 v0, 0xfffff, v17
	v_add_u32_e32 v2, v0, v16
	v_cmp_ne_u32_e32 vcc, 0, v5
                                        ; implicit-def: $vgpr16_vgpr17
                                        ; implicit-def: $vgpr0
	s_and_saveexec_b64 s[40:41], vcc
	s_xor_b64 s[40:41], exec, s[40:41]
; %bb.7332:                             ;   in Loop: Header=BB4_6462 Depth=3
	v_cmp_lt_u64_e32 vcc, s[88:89], v[2:3]
	v_add_u32_e32 v0, 7, v6
	v_cndmask_b32_e32 v0, v5, v0, vcc
	v_cndmask_b32_e64 v5, 0, 1, vcc
	v_lshrrev_b64 v[16:17], v5, v[2:3]
; %bb.7333:                             ;   in Loop: Header=BB4_6462 Depth=3
	s_andn2_saveexec_b64 s[40:41], s[40:41]
; %bb.7334:                             ;   in Loop: Header=BB4_6462 Depth=3
	v_mov_b32_e32 v17, v3
	v_bfe_u32 v0, v2, 23, 1
	v_mov_b32_e32 v16, v2
; %bb.7335:                             ;   in Loop: Header=BB4_6462 Depth=3
	s_or_b64 exec, exec, s[40:41]
	v_lshrrev_b64 v[5:6], 20, v[16:17]
	v_cmp_gt_i32_e32 vcc, 16, v0
	v_cndmask_b32_e32 v6, 0, v6, vcc
	v_cndmask_b32_e32 v5, 7, v5, vcc
	v_cmp_eq_u32_e32 vcc, 0, v0
	v_min_i32_e32 v0, 15, v0
	v_cmp_eq_u64_e64 s[40:41], 0, v[5:6]
	v_lshlrev_b32_e32 v0, 3, v0
	v_and_b32_e32 v0, 0xf8, v0
	v_and_or_b32 v0, v5, 7, v0
	s_and_b64 s[40:41], vcc, s[40:41]
	v_cndmask_b32_e64 v0, v0, 0, s[40:41]
	v_or_b32_e32 v6, v0, v19
.LBB4_7336:                             ;   in Loop: Header=BB4_6462 Depth=3
	s_or_b64 exec, exec, s[50:51]
                                        ; implicit-def: $vgpr19
.LBB4_7337:                             ;   in Loop: Header=BB4_6462 Depth=3
	s_andn2_saveexec_b64 s[40:41], s[48:49]
; %bb.7338:                             ;   in Loop: Header=BB4_6462 Depth=3
	v_or_b32_e32 v6, 0x7e, v19
; %bb.7339:                             ;   in Loop: Header=BB4_6462 Depth=3
	s_or_b64 exec, exec, s[40:41]
                                        ; implicit-def: $vgpr17
.LBB4_7340:                             ;   in Loop: Header=BB4_6462 Depth=3
	s_andn2_saveexec_b64 s[40:41], s[38:39]
; %bb.7341:                             ;   in Loop: Header=BB4_6462 Depth=3
	v_or_b32_sdwa v6, v17, s81 dst_sel:DWORD dst_unused:UNUSED_PAD src0_sel:BYTE_3 src1_sel:DWORD
; %bb.7342:                             ;   in Loop: Header=BB4_6462 Depth=3
	s_or_b64 exec, exec, s[40:41]
	v_mov_b32_e32 v2, v13
	v_mov_b32_e32 v16, v9
	;; [unrolled: 1-line block ×3, first 2 shown]
	v_cmp_ne_u16_sdwa s[40:41], v13, v3 src0_sel:BYTE_0 src1_sel:DWORD
	s_and_b64 vcc, exec, s[28:29]
	s_mov_b64 s[38:39], -1
                                        ; implicit-def: $vgpr18
	s_cbranch_vccnz .LBB4_7356
; %bb.7343:                             ;   in Loop: Header=BB4_6462 Depth=3
	v_mov_b32_e32 v19, 0
	v_mov_b32_e32 v18, 0
	s_and_saveexec_b64 s[38:39], s[40:41]
	s_cbranch_execz .LBB4_7349
; %bb.7344:                             ;   in Loop: Header=BB4_6462 Depth=3
	v_cmp_ne_u16_sdwa vcc, v13, s80 src0_sel:BYTE_0 src1_sel:DWORD
	v_bfrev_b32_e32 v18, 1
	s_and_saveexec_b64 s[48:49], vcc
	s_cbranch_execz .LBB4_7348
; %bb.7345:                             ;   in Loop: Header=BB4_6462 Depth=3
	v_and_b32_e32 v0, 0x7f, v13
	v_cmp_ne_u32_e32 vcc, s81, v0
	v_mov_b32_e32 v18, 0x7f800001
	s_and_saveexec_b64 s[50:51], vcc
	s_cbranch_execz .LBB4_7347
; %bb.7346:                             ;   in Loop: Header=BB4_6462 Depth=3
	v_and_b32_e32 v5, 7, v13
	v_lshrrev_b32_e32 v18, 3, v0
	v_cmp_gt_u32_e32 vcc, 8, v0
	v_ffbh_u32_e32 v0, v5
	v_min_u32_e32 v0, 32, v0
	v_subrev_u32_e32 v5, 28, v0
	v_cndmask_b32_e32 v5, 0, v5, vcc
	v_lshlrev_b64 v[42:43], v5, v[2:3]
	v_sub_u32_e32 v0, 29, v0
	v_cndmask_b32_e32 v0, v18, v0, vcc
	v_lshlrev_b32_e32 v5, 20, v42
	v_lshlrev_b32_e32 v18, 24, v2
	v_and_b32_e32 v5, 0x700000, v5
	v_and_b32_e32 v18, 0x80000000, v18
	v_lshl_add_u32 v0, v0, 23, v54
	v_or3_b32 v18, v18, v0, v5
.LBB4_7347:                             ;   in Loop: Header=BB4_6462 Depth=3
	s_or_b64 exec, exec, s[50:51]
.LBB4_7348:                             ;   in Loop: Header=BB4_6462 Depth=3
	s_or_b64 exec, exec, s[48:49]
.LBB4_7349:                             ;   in Loop: Header=BB4_6462 Depth=3
	s_or_b64 exec, exec, s[38:39]
	v_cmp_ne_u16_sdwa vcc, v9, v3 src0_sel:BYTE_0 src1_sel:DWORD
	s_and_saveexec_b64 s[38:39], vcc
	s_cbranch_execz .LBB4_7355
; %bb.7350:                             ;   in Loop: Header=BB4_6462 Depth=3
	v_cmp_ne_u16_sdwa vcc, v9, s80 src0_sel:BYTE_0 src1_sel:DWORD
	v_bfrev_b32_e32 v19, 1
	s_and_saveexec_b64 s[48:49], vcc
	s_cbranch_execz .LBB4_7354
; %bb.7351:                             ;   in Loop: Header=BB4_6462 Depth=3
	v_and_b32_e32 v0, 0x7f, v9
	v_cmp_ne_u32_e32 vcc, s81, v0
	v_mov_b32_e32 v19, 0x7f800001
	s_and_saveexec_b64 s[50:51], vcc
	s_cbranch_execz .LBB4_7353
; %bb.7352:                             ;   in Loop: Header=BB4_6462 Depth=3
	v_and_b32_e32 v5, 7, v9
	v_lshrrev_b32_e32 v19, 3, v0
	v_cmp_gt_u32_e32 vcc, 8, v0
	v_ffbh_u32_e32 v0, v5
	v_min_u32_e32 v0, 32, v0
	v_subrev_u32_e32 v5, 28, v0
	v_cndmask_b32_e32 v5, 0, v5, vcc
	v_lshlrev_b64 v[42:43], v5, v[16:17]
	v_sub_u32_e32 v0, 29, v0
	v_cndmask_b32_e32 v0, v19, v0, vcc
	v_lshlrev_b32_e32 v5, 20, v42
	v_lshlrev_b32_e32 v19, 24, v16
	v_and_b32_e32 v5, 0x700000, v5
	v_and_b32_e32 v19, 0x80000000, v19
	v_lshl_add_u32 v0, v0, 23, v54
	v_or3_b32 v19, v19, v0, v5
.LBB4_7353:                             ;   in Loop: Header=BB4_6462 Depth=3
	s_or_b64 exec, exec, s[50:51]
.LBB4_7354:                             ;   in Loop: Header=BB4_6462 Depth=3
	s_or_b64 exec, exec, s[48:49]
.LBB4_7355:                             ;   in Loop: Header=BB4_6462 Depth=3
	s_or_b64 exec, exec, s[38:39]
	v_max_f32_e32 v0, v19, v19
	v_max_f32_e32 v5, v18, v18
	;; [unrolled: 1-line block ×3, first 2 shown]
	s_mov_b64 s[38:39], 0
.LBB4_7356:                             ;   in Loop: Header=BB4_6462 Depth=3
	s_and_b64 vcc, exec, s[38:39]
	s_cbranch_vccz .LBB4_7370
; %bb.7357:                             ;   in Loop: Header=BB4_6462 Depth=3
	v_mov_b32_e32 v19, 0
	v_mov_b32_e32 v18, 0
	s_and_saveexec_b64 s[38:39], s[40:41]
	s_cbranch_execz .LBB4_7363
; %bb.7358:                             ;   in Loop: Header=BB4_6462 Depth=3
	v_cmp_ne_u16_sdwa vcc, v13, s80 src0_sel:BYTE_0 src1_sel:DWORD
	v_bfrev_b32_e32 v18, 1
	s_and_saveexec_b64 s[40:41], vcc
	s_cbranch_execz .LBB4_7362
; %bb.7359:                             ;   in Loop: Header=BB4_6462 Depth=3
	v_and_b32_e32 v0, 0x7f, v13
	v_cmp_ne_u32_e32 vcc, s81, v0
	v_mov_b32_e32 v18, 0x7f800001
	s_and_saveexec_b64 s[48:49], vcc
	s_cbranch_execz .LBB4_7361
; %bb.7360:                             ;   in Loop: Header=BB4_6462 Depth=3
	v_and_b32_e32 v5, 7, v13
	v_lshrrev_b32_e32 v18, 3, v0
	v_cmp_gt_u32_e32 vcc, 8, v0
	v_ffbh_u32_e32 v0, v5
	v_min_u32_e32 v0, 32, v0
	v_subrev_u32_e32 v5, 28, v0
	v_cndmask_b32_e32 v5, 0, v5, vcc
	v_lshlrev_b64 v[42:43], v5, v[2:3]
	v_sub_u32_e32 v0, 29, v0
	v_cndmask_b32_e32 v0, v18, v0, vcc
	v_lshlrev_b32_e32 v5, 20, v42
	v_lshlrev_b32_e32 v18, 24, v2
	v_and_b32_e32 v5, 0x700000, v5
	v_and_b32_e32 v18, 0x80000000, v18
	v_lshl_add_u32 v0, v0, 23, v54
	v_or3_b32 v18, v18, v0, v5
.LBB4_7361:                             ;   in Loop: Header=BB4_6462 Depth=3
	s_or_b64 exec, exec, s[48:49]
.LBB4_7362:                             ;   in Loop: Header=BB4_6462 Depth=3
	s_or_b64 exec, exec, s[40:41]
.LBB4_7363:                             ;   in Loop: Header=BB4_6462 Depth=3
	s_or_b64 exec, exec, s[38:39]
	v_cmp_ne_u16_sdwa vcc, v9, v3 src0_sel:BYTE_0 src1_sel:DWORD
	s_and_saveexec_b64 s[40:41], vcc
	s_cbranch_execz .LBB4_7369
; %bb.7364:                             ;   in Loop: Header=BB4_6462 Depth=3
	v_cmp_ne_u16_sdwa vcc, v9, s80 src0_sel:BYTE_0 src1_sel:DWORD
	v_bfrev_b32_e32 v19, 1
	s_and_saveexec_b64 s[38:39], vcc
	s_cbranch_execz .LBB4_7368
; %bb.7365:                             ;   in Loop: Header=BB4_6462 Depth=3
	v_and_b32_e32 v0, 0x7f, v9
	v_cmp_ne_u32_e32 vcc, s81, v0
	v_mov_b32_e32 v19, 0x7f800001
	s_and_saveexec_b64 s[48:49], vcc
	s_cbranch_execz .LBB4_7367
; %bb.7366:                             ;   in Loop: Header=BB4_6462 Depth=3
	v_and_b32_e32 v5, 7, v9
	v_lshrrev_b32_e32 v19, 3, v0
	v_cmp_gt_u32_e32 vcc, 8, v0
	v_ffbh_u32_e32 v0, v5
	v_min_u32_e32 v0, 32, v0
	v_subrev_u32_e32 v5, 28, v0
	v_cndmask_b32_e32 v5, 0, v5, vcc
	v_lshlrev_b64 v[42:43], v5, v[16:17]
	v_sub_u32_e32 v0, 29, v0
	v_cndmask_b32_e32 v0, v19, v0, vcc
	v_lshlrev_b32_e32 v5, 20, v42
	v_lshlrev_b32_e32 v17, 24, v16
	v_and_b32_e32 v5, 0x700000, v5
	v_and_b32_e32 v17, 0x80000000, v17
	v_lshl_add_u32 v0, v0, 23, v54
	v_or3_b32 v19, v17, v0, v5
.LBB4_7367:                             ;   in Loop: Header=BB4_6462 Depth=3
	s_or_b64 exec, exec, s[48:49]
.LBB4_7368:                             ;   in Loop: Header=BB4_6462 Depth=3
	s_or_b64 exec, exec, s[38:39]
.LBB4_7369:                             ;   in Loop: Header=BB4_6462 Depth=3
	s_or_b64 exec, exec, s[40:41]
	v_max_f32_e32 v0, v19, v19
	v_max_f32_e32 v5, v18, v18
	v_min_f32_e32 v18, v5, v0
.LBB4_7370:                             ;   in Loop: Header=BB4_6462 Depth=3
	v_and_b32_e32 v42, 0x7f800000, v18
	v_mov_b32_e32 v43, v3
	v_cmp_ne_u64_e32 vcc, s[76:77], v[42:43]
                                        ; implicit-def: $vgpr19
	s_and_saveexec_b64 s[40:41], vcc
	s_xor_b64 s[38:39], exec, s[40:41]
	s_cbranch_execz .LBB4_7384
; %bb.7371:                             ;   in Loop: Header=BB4_6462 Depth=3
	v_and_b32_e32 v42, 0x7fffffff, v18
	v_mov_b32_e32 v43, v3
	v_cmp_gt_u64_e32 vcc, s[78:79], v[42:43]
	v_and_b32_sdwa v55, v18, s80 dst_sel:DWORD dst_unused:UNUSED_PAD src0_sel:BYTE_3 src1_sel:DWORD
                                        ; implicit-def: $vgpr19
	s_and_saveexec_b64 s[40:41], vcc
	s_xor_b64 s[48:49], exec, s[40:41]
	s_cbranch_execz .LBB4_7381
; %bb.7372:                             ;   in Loop: Header=BB4_6462 Depth=3
	v_mov_b32_e32 v19, 0
	v_cmp_ne_u32_e32 vcc, 0, v18
	s_and_saveexec_b64 s[50:51], vcc
	s_cbranch_execz .LBB4_7380
; %bb.7373:                             ;   in Loop: Header=BB4_6462 Depth=3
	v_bfe_u32 v42, v18, 23, 8
	v_cmp_gt_u32_e64 s[40:41], s83, v42
	v_sub_u32_e32 v5, 0x79, v42
	v_and_b32_e32 v0, 0x7fffff, v18
	v_cmp_eq_u32_e32 vcc, 0, v42
	v_cndmask_b32_e64 v5, 0, v5, s[40:41]
	v_mov_b32_e32 v18, 0x78
	v_or_b32_e32 v17, 0x800000, v0
	v_cndmask_b32_e32 v43, v5, v18, vcc
	v_cndmask_b32_e32 v17, v17, v0, vcc
	v_add_u32_e32 v0, 20, v43
	v_lshlrev_b64 v[59:60], v0, -1
	v_mov_b32_e32 v18, v3
	v_add_u32_e32 v0, 19, v43
	v_mov_b32_e32 v50, v45
	v_bfi_b32 v59, v59, 0, v17
	v_lshlrev_b64 v[44:45], v0, 1
	v_lshrrev_b64 v[17:18], v43, v[17:18]
	v_bfi_b32 v60, v60, 0, 0
	v_cmp_eq_u64_e64 s[40:41], v[59:60], v[44:45]
	v_mov_b32_e32 v19, v18
	v_mov_b32_e32 v18, v17
	s_and_saveexec_b64 s[52:53], s[40:41]
; %bb.7374:                             ;   in Loop: Header=BB4_6462 Depth=3
	v_bfe_u32 v0, v17, 20, 1
	v_add_co_u32_e64 v0, s[40:41], v17, v0
	v_add_co_u32_e64 v18, s[40:41], -1, v0
; %bb.7375:                             ;   in Loop: Header=BB4_6462 Depth=3
	s_or_b64 exec, exec, s[52:53]
	v_add_u32_e32 v0, 0xffffff81, v42
	v_mov_b32_e32 v5, 0xffffff82
	v_cndmask_b32_e32 v0, v0, v5, vcc
	v_lshrrev_b32_e32 v5, 23, v17
	v_add3_u32 v19, v43, v0, v5
	v_add_u32_e32 v5, 6, v19
	v_and_b32_e32 v0, 0xfffff, v18
	v_add_u32_e32 v17, v0, v17
	v_mov_b32_e32 v18, v3
	v_cmp_ne_u32_e32 vcc, 0, v5
                                        ; implicit-def: $vgpr0
	s_and_saveexec_b64 s[40:41], vcc
	s_xor_b64 s[40:41], exec, s[40:41]
; %bb.7376:                             ;   in Loop: Header=BB4_6462 Depth=3
	v_cmp_lt_u64_e32 vcc, s[88:89], v[17:18]
	v_add_u32_e32 v0, 7, v19
	v_cndmask_b32_e32 v0, v5, v0, vcc
	v_cndmask_b32_e64 v5, 0, 1, vcc
	v_lshrrev_b64 v[17:18], v5, v[17:18]
; %bb.7377:                             ;   in Loop: Header=BB4_6462 Depth=3
	s_or_saveexec_b64 s[40:41], s[40:41]
	v_mov_b32_e32 v45, v50
	s_xor_b64 exec, exec, s[40:41]
; %bb.7378:                             ;   in Loop: Header=BB4_6462 Depth=3
	v_bfe_u32 v0, v17, 23, 1
; %bb.7379:                             ;   in Loop: Header=BB4_6462 Depth=3
	s_or_b64 exec, exec, s[40:41]
	v_lshrrev_b64 v[17:18], 20, v[17:18]
	v_cmp_gt_i32_e32 vcc, 16, v0
	v_cndmask_b32_e32 v18, 0, v18, vcc
	v_cndmask_b32_e32 v17, 7, v17, vcc
	v_cmp_eq_u32_e32 vcc, 0, v0
	v_min_i32_e32 v0, 15, v0
	v_cmp_eq_u64_e64 s[40:41], 0, v[17:18]
	v_lshlrev_b32_e32 v0, 3, v0
	v_and_b32_e32 v0, 0xf8, v0
	v_and_or_b32 v0, v17, 7, v0
	s_and_b64 s[40:41], vcc, s[40:41]
	v_cndmask_b32_e64 v0, v0, 0, s[40:41]
	v_or_b32_e32 v19, v0, v55
.LBB4_7380:                             ;   in Loop: Header=BB4_6462 Depth=3
	s_or_b64 exec, exec, s[50:51]
                                        ; implicit-def: $vgpr55
.LBB4_7381:                             ;   in Loop: Header=BB4_6462 Depth=3
	s_andn2_saveexec_b64 s[40:41], s[48:49]
; %bb.7382:                             ;   in Loop: Header=BB4_6462 Depth=3
	v_or_b32_e32 v19, 0x7e, v55
; %bb.7383:                             ;   in Loop: Header=BB4_6462 Depth=3
	s_or_b64 exec, exec, s[40:41]
                                        ; implicit-def: $vgpr18
.LBB4_7384:                             ;   in Loop: Header=BB4_6462 Depth=3
	s_andn2_saveexec_b64 s[40:41], s[38:39]
; %bb.7385:                             ;   in Loop: Header=BB4_6462 Depth=3
	v_or_b32_sdwa v19, v18, s81 dst_sel:DWORD dst_unused:UNUSED_PAD src0_sel:BYTE_3 src1_sel:DWORD
; %bb.7386:                             ;   in Loop: Header=BB4_6462 Depth=3
	s_or_b64 exec, exec, s[40:41]
	v_lshrrev_b16_e32 v18, 8, v2
	v_lshrrev_b16_e32 v17, 8, v16
	v_cmp_ne_u16_e64 s[40:41], 0, v18
	s_and_b64 vcc, exec, s[28:29]
	s_mov_b64 s[38:39], -1
                                        ; implicit-def: $vgpr42
	s_cbranch_vccnz .LBB4_7400
; %bb.7387:                             ;   in Loop: Header=BB4_6462 Depth=3
	v_mov_b32_e32 v42, 0
	v_mov_b32_e32 v55, 0
	s_and_saveexec_b64 s[38:39], s[40:41]
	s_cbranch_execz .LBB4_7393
; %bb.7388:                             ;   in Loop: Header=BB4_6462 Depth=3
	v_cmp_ne_u16_e32 vcc, s80, v18
	v_bfrev_b32_e32 v55, 1
	s_and_saveexec_b64 s[48:49], vcc
	s_cbranch_execz .LBB4_7392
; %bb.7389:                             ;   in Loop: Header=BB4_6462 Depth=3
	v_and_b32_e32 v0, 0x7f, v18
	v_cmp_ne_u32_e32 vcc, s81, v0
	v_mov_b32_e32 v55, 0x7f800001
	s_and_saveexec_b64 s[50:51], vcc
	s_cbranch_execz .LBB4_7391
; %bb.7390:                             ;   in Loop: Header=BB4_6462 Depth=3
	v_and_b32_e32 v5, 7, v18
	v_lshrrev_b32_e32 v50, 3, v0
	v_cmp_gt_u32_e32 vcc, 8, v0
	v_ffbh_u32_e32 v0, v5
	v_min_u32_e32 v0, 32, v0
	v_subrev_u32_e32 v51, 28, v0
	v_lshlrev_b64 v[43:44], v51, v[18:19]
	v_sub_u32_e32 v0, 29, v0
	v_and_b32_e32 v51, 7, v43
	v_cndmask_b32_e32 v0, v50, v0, vcc
	v_cndmask_b32_e32 v5, v5, v51, vcc
	v_lshlrev_b32_e32 v50, 16, v2
	v_lshlrev_b32_e32 v5, 20, v5
	v_and_b32_e32 v50, 0x80000000, v50
	v_lshl_add_u32 v0, v0, 23, v54
	v_or3_b32 v55, v50, v0, v5
.LBB4_7391:                             ;   in Loop: Header=BB4_6462 Depth=3
	s_or_b64 exec, exec, s[50:51]
.LBB4_7392:                             ;   in Loop: Header=BB4_6462 Depth=3
	s_or_b64 exec, exec, s[48:49]
.LBB4_7393:                             ;   in Loop: Header=BB4_6462 Depth=3
	s_or_b64 exec, exec, s[38:39]
	v_cmp_ne_u16_e32 vcc, 0, v17
	s_and_saveexec_b64 s[38:39], vcc
	s_cbranch_execz .LBB4_7399
; %bb.7394:                             ;   in Loop: Header=BB4_6462 Depth=3
	v_cmp_ne_u16_e32 vcc, s80, v17
	v_bfrev_b32_e32 v42, 1
	s_and_saveexec_b64 s[48:49], vcc
	s_cbranch_execz .LBB4_7398
; %bb.7395:                             ;   in Loop: Header=BB4_6462 Depth=3
	v_and_b32_e32 v0, 0x7f, v17
	v_cmp_ne_u32_e32 vcc, s81, v0
	v_mov_b32_e32 v42, 0x7f800001
	s_and_saveexec_b64 s[50:51], vcc
	s_cbranch_execz .LBB4_7397
; %bb.7396:                             ;   in Loop: Header=BB4_6462 Depth=3
	v_and_b32_e32 v5, 7, v17
	v_lshrrev_b32_e32 v50, 3, v0
	v_cmp_gt_u32_e32 vcc, 8, v0
	v_ffbh_u32_e32 v0, v5
	v_min_u32_e32 v0, 32, v0
	v_subrev_u32_e32 v51, 28, v0
	v_lshlrev_b64 v[42:43], v51, v[17:18]
	v_sub_u32_e32 v0, 29, v0
	v_and_b32_e32 v51, 7, v42
	v_cndmask_b32_e32 v0, v50, v0, vcc
	v_cndmask_b32_e32 v5, v5, v51, vcc
	v_lshlrev_b32_e32 v50, 16, v16
	v_lshlrev_b32_e32 v5, 20, v5
	v_and_b32_e32 v50, 0x80000000, v50
	v_lshl_add_u32 v0, v0, 23, v54
	v_or3_b32 v42, v50, v0, v5
.LBB4_7397:                             ;   in Loop: Header=BB4_6462 Depth=3
	s_or_b64 exec, exec, s[50:51]
.LBB4_7398:                             ;   in Loop: Header=BB4_6462 Depth=3
	s_or_b64 exec, exec, s[48:49]
.LBB4_7399:                             ;   in Loop: Header=BB4_6462 Depth=3
	s_or_b64 exec, exec, s[38:39]
	v_max_f32_e32 v0, v42, v42
	v_max_f32_e32 v5, v55, v55
	;; [unrolled: 1-line block ×3, first 2 shown]
	s_mov_b64 s[38:39], 0
.LBB4_7400:                             ;   in Loop: Header=BB4_6462 Depth=3
	s_and_b64 vcc, exec, s[38:39]
	s_cbranch_vccz .LBB4_7414
; %bb.7401:                             ;   in Loop: Header=BB4_6462 Depth=3
	v_mov_b32_e32 v42, 0
	v_mov_b32_e32 v55, 0
	s_and_saveexec_b64 s[38:39], s[40:41]
	s_cbranch_execz .LBB4_7407
; %bb.7402:                             ;   in Loop: Header=BB4_6462 Depth=3
	v_cmp_ne_u16_e32 vcc, s80, v18
	v_bfrev_b32_e32 v55, 1
	s_and_saveexec_b64 s[40:41], vcc
	s_cbranch_execz .LBB4_7406
; %bb.7403:                             ;   in Loop: Header=BB4_6462 Depth=3
	v_and_b32_e32 v0, 0x7f, v18
	v_cmp_ne_u32_e32 vcc, s81, v0
	v_mov_b32_e32 v55, 0x7f800001
	s_and_saveexec_b64 s[48:49], vcc
	s_cbranch_execz .LBB4_7405
; %bb.7404:                             ;   in Loop: Header=BB4_6462 Depth=3
	v_and_b32_e32 v5, 7, v18
	v_lshrrev_b32_e32 v50, 3, v0
	v_cmp_gt_u32_e32 vcc, 8, v0
	v_ffbh_u32_e32 v0, v5
	v_min_u32_e32 v0, 32, v0
	v_subrev_u32_e32 v51, 28, v0
	v_lshlrev_b64 v[43:44], v51, v[18:19]
	v_sub_u32_e32 v0, 29, v0
	v_and_b32_e32 v18, 7, v43
	v_cndmask_b32_e32 v0, v50, v0, vcc
	v_cndmask_b32_e32 v5, v5, v18, vcc
	v_lshlrev_b32_e32 v2, 16, v2
	v_lshlrev_b32_e32 v5, 20, v5
	v_and_b32_e32 v2, 0x80000000, v2
	v_lshl_add_u32 v0, v0, 23, v54
	v_or3_b32 v55, v2, v0, v5
.LBB4_7405:                             ;   in Loop: Header=BB4_6462 Depth=3
	s_or_b64 exec, exec, s[48:49]
.LBB4_7406:                             ;   in Loop: Header=BB4_6462 Depth=3
	s_or_b64 exec, exec, s[40:41]
.LBB4_7407:                             ;   in Loop: Header=BB4_6462 Depth=3
	s_or_b64 exec, exec, s[38:39]
	v_cmp_ne_u16_e32 vcc, 0, v17
	s_and_saveexec_b64 s[40:41], vcc
	s_cbranch_execz .LBB4_7413
; %bb.7408:                             ;   in Loop: Header=BB4_6462 Depth=3
	v_cmp_ne_u16_e32 vcc, s80, v17
	v_bfrev_b32_e32 v42, 1
	s_and_saveexec_b64 s[38:39], vcc
	s_cbranch_execz .LBB4_7412
; %bb.7409:                             ;   in Loop: Header=BB4_6462 Depth=3
	v_and_b32_e32 v0, 0x7f, v17
	v_cmp_ne_u32_e32 vcc, s81, v0
	v_mov_b32_e32 v42, 0x7f800001
	s_and_saveexec_b64 s[48:49], vcc
	s_cbranch_execz .LBB4_7411
; %bb.7410:                             ;   in Loop: Header=BB4_6462 Depth=3
	v_and_b32_e32 v2, 7, v17
	v_lshrrev_b32_e32 v5, 3, v0
	v_cmp_gt_u32_e32 vcc, 8, v0
	v_ffbh_u32_e32 v0, v2
	v_min_u32_e32 v0, 32, v0
	v_subrev_u32_e32 v18, 28, v0
	v_lshlrev_b64 v[17:18], v18, v[17:18]
	v_sub_u32_e32 v0, 29, v0
	v_and_b32_e32 v17, 7, v17
	v_cndmask_b32_e32 v0, v5, v0, vcc
	v_cndmask_b32_e32 v2, v2, v17, vcc
	v_lshlrev_b32_e32 v5, 16, v16
	v_lshlrev_b32_e32 v2, 20, v2
	v_and_b32_e32 v5, 0x80000000, v5
	v_lshl_add_u32 v0, v0, 23, v54
	v_or3_b32 v42, v5, v0, v2
.LBB4_7411:                             ;   in Loop: Header=BB4_6462 Depth=3
	s_or_b64 exec, exec, s[48:49]
.LBB4_7412:                             ;   in Loop: Header=BB4_6462 Depth=3
	s_or_b64 exec, exec, s[38:39]
.LBB4_7413:                             ;   in Loop: Header=BB4_6462 Depth=3
	s_or_b64 exec, exec, s[40:41]
	v_max_f32_e32 v0, v42, v42
	v_max_f32_e32 v2, v55, v55
	v_min_f32_e32 v42, v2, v0
.LBB4_7414:                             ;   in Loop: Header=BB4_6462 Depth=3
	v_and_b32_e32 v2, 0x7f800000, v42
	v_cmp_ne_u64_e32 vcc, s[76:77], v[2:3]
                                        ; implicit-def: $vgpr46
	s_and_saveexec_b64 s[40:41], vcc
	s_xor_b64 s[38:39], exec, s[40:41]
	s_cbranch_execz .LBB4_7428
; %bb.7415:                             ;   in Loop: Header=BB4_6462 Depth=3
	v_and_b32_e32 v2, 0x7fffffff, v42
	v_cmp_gt_u64_e32 vcc, s[78:79], v[2:3]
	v_and_b32_sdwa v55, v42, s80 dst_sel:DWORD dst_unused:UNUSED_PAD src0_sel:BYTE_3 src1_sel:DWORD
                                        ; implicit-def: $vgpr46
	s_and_saveexec_b64 s[40:41], vcc
	s_xor_b64 s[48:49], exec, s[40:41]
	s_cbranch_execz .LBB4_7425
; %bb.7416:                             ;   in Loop: Header=BB4_6462 Depth=3
	v_mov_b32_e32 v46, 0
	v_cmp_ne_u32_e32 vcc, 0, v42
	s_and_saveexec_b64 s[50:51], vcc
	s_cbranch_execz .LBB4_7424
; %bb.7417:                             ;   in Loop: Header=BB4_6462 Depth=3
	v_and_b32_e32 v0, 0x7fffff, v42
	v_bfe_u32 v42, v42, 23, 8
	v_cmp_gt_u32_e64 s[40:41], s83, v42
	v_sub_u32_e32 v2, 0x79, v42
	v_cmp_eq_u32_e32 vcc, 0, v42
	v_cndmask_b32_e64 v2, 0, v2, s[40:41]
	v_mov_b32_e32 v16, 0x78
	v_or_b32_e32 v5, 0x800000, v0
	v_cndmask_b32_e32 v43, v2, v16, vcc
	v_cndmask_b32_e32 v2, v5, v0, vcc
	v_add_u32_e32 v0, 20, v43
	v_lshlrev_b64 v[16:17], v0, -1
	v_add_u32_e32 v0, 19, v43
	v_mov_b32_e32 v50, v45
	v_lshlrev_b64 v[44:45], v0, 1
	v_bfi_b32 v17, v17, 0, 0
	v_bfi_b32 v16, v16, 0, v2
	v_cmp_eq_u64_e64 s[40:41], v[16:17], v[44:45]
	v_lshrrev_b64 v[16:17], v43, v[2:3]
	v_mov_b32_e32 v18, v17
	v_mov_b32_e32 v17, v16
	s_and_saveexec_b64 s[52:53], s[40:41]
; %bb.7418:                             ;   in Loop: Header=BB4_6462 Depth=3
	v_bfe_u32 v0, v16, 20, 1
	v_add_co_u32_e64 v0, s[40:41], v16, v0
	v_add_co_u32_e64 v17, s[40:41], -1, v0
; %bb.7419:                             ;   in Loop: Header=BB4_6462 Depth=3
	s_or_b64 exec, exec, s[52:53]
	v_add_u32_e32 v0, 0xffffff81, v42
	v_mov_b32_e32 v2, 0xffffff82
	v_cndmask_b32_e32 v0, v0, v2, vcc
	v_lshrrev_b32_e32 v2, 23, v16
	v_add3_u32 v18, v43, v0, v2
	v_add_u32_e32 v5, 6, v18
	v_and_b32_e32 v0, 0xfffff, v17
	v_add_u32_e32 v2, v0, v16
	v_cmp_ne_u32_e32 vcc, 0, v5
                                        ; implicit-def: $vgpr16_vgpr17
                                        ; implicit-def: $vgpr0
	s_and_saveexec_b64 s[40:41], vcc
	s_xor_b64 s[40:41], exec, s[40:41]
; %bb.7420:                             ;   in Loop: Header=BB4_6462 Depth=3
	v_cmp_lt_u64_e32 vcc, s[88:89], v[2:3]
	v_add_u32_e32 v0, 7, v18
	v_cndmask_b32_e32 v0, v5, v0, vcc
	v_cndmask_b32_e64 v5, 0, 1, vcc
	v_lshrrev_b64 v[16:17], v5, v[2:3]
; %bb.7421:                             ;   in Loop: Header=BB4_6462 Depth=3
	s_or_saveexec_b64 s[40:41], s[40:41]
	v_mov_b32_e32 v45, v50
	s_xor_b64 exec, exec, s[40:41]
; %bb.7422:                             ;   in Loop: Header=BB4_6462 Depth=3
	v_mov_b32_e32 v17, v3
	v_bfe_u32 v0, v2, 23, 1
	v_mov_b32_e32 v16, v2
; %bb.7423:                             ;   in Loop: Header=BB4_6462 Depth=3
	s_or_b64 exec, exec, s[40:41]
	v_lshrrev_b64 v[16:17], 20, v[16:17]
	v_cmp_gt_i32_e32 vcc, 16, v0
	v_cndmask_b32_e32 v17, 0, v17, vcc
	v_cndmask_b32_e32 v16, 7, v16, vcc
	v_cmp_eq_u32_e32 vcc, 0, v0
	v_min_i32_e32 v0, 15, v0
	v_cmp_eq_u64_e64 s[40:41], 0, v[16:17]
	v_lshlrev_b32_e32 v0, 3, v0
	v_and_b32_e32 v0, 0xf8, v0
	v_and_or_b32 v0, v16, 7, v0
	s_and_b64 s[40:41], vcc, s[40:41]
	v_cndmask_b32_e64 v0, v0, 0, s[40:41]
	v_or_b32_e32 v46, v0, v55
.LBB4_7424:                             ;   in Loop: Header=BB4_6462 Depth=3
	s_or_b64 exec, exec, s[50:51]
                                        ; implicit-def: $vgpr55
.LBB4_7425:                             ;   in Loop: Header=BB4_6462 Depth=3
	s_andn2_saveexec_b64 s[40:41], s[48:49]
; %bb.7426:                             ;   in Loop: Header=BB4_6462 Depth=3
	v_or_b32_e32 v46, 0x7e, v55
; %bb.7427:                             ;   in Loop: Header=BB4_6462 Depth=3
	s_or_b64 exec, exec, s[40:41]
                                        ; implicit-def: $vgpr42
.LBB4_7428:                             ;   in Loop: Header=BB4_6462 Depth=3
	s_andn2_saveexec_b64 s[40:41], s[38:39]
; %bb.7429:                             ;   in Loop: Header=BB4_6462 Depth=3
	v_or_b32_sdwa v46, v42, s81 dst_sel:DWORD dst_unused:UNUSED_PAD src0_sel:BYTE_3 src1_sel:DWORD
; %bb.7430:                             ;   in Loop: Header=BB4_6462 Depth=3
	s_or_b64 exec, exec, s[40:41]
	v_lshrrev_b32_e32 v16, 16, v13
	v_lshrrev_b32_e32 v2, 16, v9
	v_cmp_ne_u16_sdwa s[40:41], v16, v3 src0_sel:BYTE_0 src1_sel:DWORD
	s_and_b64 vcc, exec, s[28:29]
	s_mov_b64 s[38:39], -1
                                        ; implicit-def: $vgpr17
	s_cbranch_vccnz .LBB4_7444
; %bb.7431:                             ;   in Loop: Header=BB4_6462 Depth=3
	v_mov_b32_e32 v18, 0
	v_mov_b32_e32 v17, 0
	s_and_saveexec_b64 s[38:39], s[40:41]
	s_cbranch_execz .LBB4_7437
; %bb.7432:                             ;   in Loop: Header=BB4_6462 Depth=3
	v_cmp_ne_u16_sdwa vcc, v16, s80 src0_sel:BYTE_0 src1_sel:DWORD
	v_bfrev_b32_e32 v17, 1
	s_and_saveexec_b64 s[48:49], vcc
	s_cbranch_execz .LBB4_7436
; %bb.7433:                             ;   in Loop: Header=BB4_6462 Depth=3
	v_bfe_u32 v0, v13, 16, 7
	v_cmp_ne_u32_e32 vcc, s81, v0
	v_mov_b32_e32 v17, 0x7f800001
	s_and_saveexec_b64 s[50:51], vcc
	s_cbranch_execz .LBB4_7435
; %bb.7434:                             ;   in Loop: Header=BB4_6462 Depth=3
	v_and_b32_e32 v5, 7, v16
	v_lshrrev_b32_e32 v17, 3, v0
	v_cmp_gt_u32_e32 vcc, 8, v0
	v_ffbh_u32_e32 v0, v5
	v_min_u32_e32 v0, 32, v0
	v_subrev_u32_e32 v50, 28, v0
	v_lshlrev_b64 v[42:43], v50, v[16:17]
	v_sub_u32_e32 v0, 29, v0
	v_and_b32_e32 v50, 7, v42
	v_cndmask_b32_e32 v0, v17, v0, vcc
	v_cndmask_b32_e32 v5, v5, v50, vcc
	v_lshlrev_b32_e32 v17, 24, v16
	v_lshlrev_b32_e32 v5, 20, v5
	v_and_b32_e32 v17, 0x80000000, v17
	v_lshl_add_u32 v0, v0, 23, v54
	v_or3_b32 v17, v17, v0, v5
.LBB4_7435:                             ;   in Loop: Header=BB4_6462 Depth=3
	s_or_b64 exec, exec, s[50:51]
.LBB4_7436:                             ;   in Loop: Header=BB4_6462 Depth=3
	s_or_b64 exec, exec, s[48:49]
.LBB4_7437:                             ;   in Loop: Header=BB4_6462 Depth=3
	s_or_b64 exec, exec, s[38:39]
	v_cmp_ne_u16_sdwa vcc, v2, v3 src0_sel:BYTE_0 src1_sel:DWORD
	s_and_saveexec_b64 s[38:39], vcc
	s_cbranch_execz .LBB4_7443
; %bb.7438:                             ;   in Loop: Header=BB4_6462 Depth=3
	v_cmp_ne_u16_sdwa vcc, v2, s80 src0_sel:BYTE_0 src1_sel:DWORD
	v_bfrev_b32_e32 v18, 1
	s_and_saveexec_b64 s[48:49], vcc
	s_cbranch_execz .LBB4_7442
; %bb.7439:                             ;   in Loop: Header=BB4_6462 Depth=3
	v_bfe_u32 v0, v9, 16, 7
	v_cmp_ne_u32_e32 vcc, s81, v0
	v_mov_b32_e32 v18, 0x7f800001
	s_and_saveexec_b64 s[50:51], vcc
	s_cbranch_execz .LBB4_7441
; %bb.7440:                             ;   in Loop: Header=BB4_6462 Depth=3
	v_and_b32_e32 v5, 7, v2
	v_lshrrev_b32_e32 v18, 3, v0
	v_cmp_gt_u32_e32 vcc, 8, v0
	v_ffbh_u32_e32 v0, v5
	v_min_u32_e32 v0, 32, v0
	v_subrev_u32_e32 v50, 28, v0
	v_lshlrev_b64 v[42:43], v50, v[2:3]
	v_sub_u32_e32 v0, 29, v0
	v_and_b32_e32 v50, 7, v42
	v_cndmask_b32_e32 v0, v18, v0, vcc
	v_cndmask_b32_e32 v5, v5, v50, vcc
	v_lshlrev_b32_e32 v18, 24, v2
	v_lshlrev_b32_e32 v5, 20, v5
	v_and_b32_e32 v18, 0x80000000, v18
	v_lshl_add_u32 v0, v0, 23, v54
	v_or3_b32 v18, v18, v0, v5
.LBB4_7441:                             ;   in Loop: Header=BB4_6462 Depth=3
	s_or_b64 exec, exec, s[50:51]
.LBB4_7442:                             ;   in Loop: Header=BB4_6462 Depth=3
	s_or_b64 exec, exec, s[48:49]
.LBB4_7443:                             ;   in Loop: Header=BB4_6462 Depth=3
	s_or_b64 exec, exec, s[38:39]
	v_max_f32_e32 v0, v18, v18
	v_max_f32_e32 v5, v17, v17
	;; [unrolled: 1-line block ×3, first 2 shown]
	s_mov_b64 s[38:39], 0
.LBB4_7444:                             ;   in Loop: Header=BB4_6462 Depth=3
	s_and_b64 vcc, exec, s[38:39]
	s_cbranch_vccz .LBB4_7458
; %bb.7445:                             ;   in Loop: Header=BB4_6462 Depth=3
	v_mov_b32_e32 v18, 0
	v_mov_b32_e32 v17, 0
	s_and_saveexec_b64 s[38:39], s[40:41]
	s_cbranch_execz .LBB4_7451
; %bb.7446:                             ;   in Loop: Header=BB4_6462 Depth=3
	v_cmp_ne_u16_sdwa vcc, v16, s80 src0_sel:BYTE_0 src1_sel:DWORD
	v_bfrev_b32_e32 v17, 1
	s_and_saveexec_b64 s[40:41], vcc
	s_cbranch_execz .LBB4_7450
; %bb.7447:                             ;   in Loop: Header=BB4_6462 Depth=3
	v_bfe_u32 v0, v13, 16, 7
	v_cmp_ne_u32_e32 vcc, s81, v0
	v_mov_b32_e32 v17, 0x7f800001
	s_and_saveexec_b64 s[48:49], vcc
	s_cbranch_execz .LBB4_7449
; %bb.7448:                             ;   in Loop: Header=BB4_6462 Depth=3
	v_and_b32_e32 v5, 7, v16
	v_lshrrev_b32_e32 v17, 3, v0
	v_cmp_gt_u32_e32 vcc, 8, v0
	v_ffbh_u32_e32 v0, v5
	v_min_u32_e32 v0, 32, v0
	v_subrev_u32_e32 v50, 28, v0
	v_lshlrev_b64 v[42:43], v50, v[16:17]
	v_sub_u32_e32 v0, 29, v0
	v_and_b32_e32 v50, 7, v42
	v_cndmask_b32_e32 v0, v17, v0, vcc
	v_cndmask_b32_e32 v5, v5, v50, vcc
	v_lshlrev_b32_e32 v16, 24, v16
	v_lshlrev_b32_e32 v5, 20, v5
	v_and_b32_e32 v16, 0x80000000, v16
	v_lshl_add_u32 v0, v0, 23, v54
	v_or3_b32 v17, v16, v0, v5
.LBB4_7449:                             ;   in Loop: Header=BB4_6462 Depth=3
	s_or_b64 exec, exec, s[48:49]
.LBB4_7450:                             ;   in Loop: Header=BB4_6462 Depth=3
	s_or_b64 exec, exec, s[40:41]
.LBB4_7451:                             ;   in Loop: Header=BB4_6462 Depth=3
	s_or_b64 exec, exec, s[38:39]
	v_cmp_ne_u16_sdwa vcc, v2, v3 src0_sel:BYTE_0 src1_sel:DWORD
	s_and_saveexec_b64 s[40:41], vcc
	s_cbranch_execz .LBB4_7457
; %bb.7452:                             ;   in Loop: Header=BB4_6462 Depth=3
	v_cmp_ne_u16_sdwa vcc, v2, s80 src0_sel:BYTE_0 src1_sel:DWORD
	v_bfrev_b32_e32 v18, 1
	s_and_saveexec_b64 s[38:39], vcc
	s_cbranch_execz .LBB4_7456
; %bb.7453:                             ;   in Loop: Header=BB4_6462 Depth=3
	v_bfe_u32 v0, v9, 16, 7
	v_cmp_ne_u32_e32 vcc, s81, v0
	v_mov_b32_e32 v18, 0x7f800001
	s_and_saveexec_b64 s[48:49], vcc
	s_cbranch_execz .LBB4_7455
; %bb.7454:                             ;   in Loop: Header=BB4_6462 Depth=3
	v_and_b32_e32 v5, 7, v2
	v_lshrrev_b32_e32 v16, 3, v0
	v_cmp_gt_u32_e32 vcc, 8, v0
	v_ffbh_u32_e32 v0, v5
	v_min_u32_e32 v0, 32, v0
	v_subrev_u32_e32 v18, 28, v0
	v_lshlrev_b64 v[42:43], v18, v[2:3]
	v_sub_u32_e32 v0, 29, v0
	v_and_b32_e32 v18, 7, v42
	v_cndmask_b32_e32 v0, v16, v0, vcc
	v_cndmask_b32_e32 v5, v5, v18, vcc
	v_lshlrev_b32_e32 v2, 24, v2
	v_lshlrev_b32_e32 v5, 20, v5
	v_and_b32_e32 v2, 0x80000000, v2
	v_lshl_add_u32 v0, v0, 23, v54
	v_or3_b32 v18, v2, v0, v5
.LBB4_7455:                             ;   in Loop: Header=BB4_6462 Depth=3
	s_or_b64 exec, exec, s[48:49]
.LBB4_7456:                             ;   in Loop: Header=BB4_6462 Depth=3
	s_or_b64 exec, exec, s[38:39]
.LBB4_7457:                             ;   in Loop: Header=BB4_6462 Depth=3
	s_or_b64 exec, exec, s[40:41]
	v_max_f32_e32 v0, v18, v18
	v_max_f32_e32 v2, v17, v17
	v_min_f32_e32 v17, v2, v0
.LBB4_7458:                             ;   in Loop: Header=BB4_6462 Depth=3
	v_and_b32_e32 v2, 0x7f800000, v17
	v_cmp_ne_u64_e32 vcc, s[76:77], v[2:3]
                                        ; implicit-def: $vgpr18
	s_and_saveexec_b64 s[40:41], vcc
	s_xor_b64 s[38:39], exec, s[40:41]
	s_cbranch_execz .LBB4_7472
; %bb.7459:                             ;   in Loop: Header=BB4_6462 Depth=3
	v_and_b32_e32 v2, 0x7fffffff, v17
	v_cmp_gt_u64_e32 vcc, s[78:79], v[2:3]
	v_and_b32_sdwa v55, v17, s80 dst_sel:DWORD dst_unused:UNUSED_PAD src0_sel:BYTE_3 src1_sel:DWORD
                                        ; implicit-def: $vgpr18
	s_and_saveexec_b64 s[40:41], vcc
	s_xor_b64 s[48:49], exec, s[40:41]
	s_cbranch_execz .LBB4_7469
; %bb.7460:                             ;   in Loop: Header=BB4_6462 Depth=3
	v_mov_b32_e32 v18, 0
	v_cmp_ne_u32_e32 vcc, 0, v17
	s_and_saveexec_b64 s[50:51], vcc
	s_cbranch_execz .LBB4_7468
; %bb.7461:                             ;   in Loop: Header=BB4_6462 Depth=3
	v_bfe_u32 v42, v17, 23, 8
	v_cmp_gt_u32_e64 s[40:41], s83, v42
	v_sub_u32_e32 v2, 0x79, v42
	v_and_b32_e32 v0, 0x7fffff, v17
	v_cmp_eq_u32_e32 vcc, 0, v42
	v_cndmask_b32_e64 v2, 0, v2, s[40:41]
	v_mov_b32_e32 v16, 0x78
	v_or_b32_e32 v5, 0x800000, v0
	v_cndmask_b32_e32 v43, v2, v16, vcc
	v_cndmask_b32_e32 v2, v5, v0, vcc
	v_add_u32_e32 v0, 20, v43
	v_lshlrev_b64 v[16:17], v0, -1
	v_add_u32_e32 v0, 19, v43
	v_mov_b32_e32 v50, v45
	v_lshlrev_b64 v[44:45], v0, 1
	v_bfi_b32 v17, v17, 0, 0
	v_bfi_b32 v16, v16, 0, v2
	v_cmp_eq_u64_e64 s[40:41], v[16:17], v[44:45]
	v_lshrrev_b64 v[16:17], v43, v[2:3]
	v_mov_b32_e32 v18, v17
	v_mov_b32_e32 v17, v16
	s_and_saveexec_b64 s[52:53], s[40:41]
; %bb.7462:                             ;   in Loop: Header=BB4_6462 Depth=3
	v_bfe_u32 v0, v16, 20, 1
	v_add_co_u32_e64 v0, s[40:41], v16, v0
	v_add_co_u32_e64 v17, s[40:41], -1, v0
; %bb.7463:                             ;   in Loop: Header=BB4_6462 Depth=3
	s_or_b64 exec, exec, s[52:53]
	v_add_u32_e32 v0, 0xffffff81, v42
	v_mov_b32_e32 v2, 0xffffff82
	v_cndmask_b32_e32 v0, v0, v2, vcc
	v_lshrrev_b32_e32 v2, 23, v16
	v_add3_u32 v18, v43, v0, v2
	v_add_u32_e32 v5, 6, v18
	v_and_b32_e32 v0, 0xfffff, v17
	v_add_u32_e32 v2, v0, v16
	v_cmp_ne_u32_e32 vcc, 0, v5
                                        ; implicit-def: $vgpr16_vgpr17
                                        ; implicit-def: $vgpr0
	s_and_saveexec_b64 s[40:41], vcc
	s_xor_b64 s[40:41], exec, s[40:41]
; %bb.7464:                             ;   in Loop: Header=BB4_6462 Depth=3
	v_cmp_lt_u64_e32 vcc, s[88:89], v[2:3]
	v_add_u32_e32 v0, 7, v18
	v_cndmask_b32_e32 v0, v5, v0, vcc
	v_cndmask_b32_e64 v5, 0, 1, vcc
	v_lshrrev_b64 v[16:17], v5, v[2:3]
; %bb.7465:                             ;   in Loop: Header=BB4_6462 Depth=3
	s_or_saveexec_b64 s[40:41], s[40:41]
	v_mov_b32_e32 v45, v50
	s_xor_b64 exec, exec, s[40:41]
; %bb.7466:                             ;   in Loop: Header=BB4_6462 Depth=3
	v_mov_b32_e32 v17, v3
	v_bfe_u32 v0, v2, 23, 1
	v_mov_b32_e32 v16, v2
; %bb.7467:                             ;   in Loop: Header=BB4_6462 Depth=3
	s_or_b64 exec, exec, s[40:41]
	v_lshrrev_b64 v[16:17], 20, v[16:17]
	v_cmp_gt_i32_e32 vcc, 16, v0
	v_cndmask_b32_e32 v17, 0, v17, vcc
	v_cndmask_b32_e32 v16, 7, v16, vcc
	v_cmp_eq_u32_e32 vcc, 0, v0
	v_min_i32_e32 v0, 15, v0
	v_cmp_eq_u64_e64 s[40:41], 0, v[16:17]
	v_lshlrev_b32_e32 v0, 3, v0
	v_and_b32_e32 v0, 0xf8, v0
	v_and_or_b32 v0, v16, 7, v0
	s_and_b64 s[40:41], vcc, s[40:41]
	v_cndmask_b32_e64 v0, v0, 0, s[40:41]
	v_or_b32_e32 v18, v0, v55
.LBB4_7468:                             ;   in Loop: Header=BB4_6462 Depth=3
	s_or_b64 exec, exec, s[50:51]
                                        ; implicit-def: $vgpr55
.LBB4_7469:                             ;   in Loop: Header=BB4_6462 Depth=3
	s_andn2_saveexec_b64 s[40:41], s[48:49]
; %bb.7470:                             ;   in Loop: Header=BB4_6462 Depth=3
	v_or_b32_e32 v18, 0x7e, v55
; %bb.7471:                             ;   in Loop: Header=BB4_6462 Depth=3
	s_or_b64 exec, exec, s[40:41]
                                        ; implicit-def: $vgpr17
.LBB4_7472:                             ;   in Loop: Header=BB4_6462 Depth=3
	s_andn2_saveexec_b64 s[40:41], s[38:39]
; %bb.7473:                             ;   in Loop: Header=BB4_6462 Depth=3
	v_or_b32_sdwa v18, v17, s81 dst_sel:DWORD dst_unused:UNUSED_PAD src0_sel:BYTE_3 src1_sel:DWORD
; %bb.7474:                             ;   in Loop: Header=BB4_6462 Depth=3
	s_or_b64 exec, exec, s[40:41]
	v_cmp_lt_u64_e64 s[40:41], s[62:63], v[12:13]
	v_lshrrev_b32_e32 v16, 24, v13
	v_lshrrev_b32_e32 v2, 24, v9
	s_and_b64 vcc, exec, s[28:29]
	s_mov_b64 s[38:39], -1
                                        ; implicit-def: $vgpr12
	s_cbranch_vccnz .LBB4_7488
; %bb.7475:                             ;   in Loop: Header=BB4_6462 Depth=3
	v_mov_b32_e32 v17, 0
	v_mov_b32_e32 v12, 0
	s_and_saveexec_b64 s[38:39], s[40:41]
	s_cbranch_execz .LBB4_7481
; %bb.7476:                             ;   in Loop: Header=BB4_6462 Depth=3
	v_cmp_ne_u32_e32 vcc, s80, v16
	v_bfrev_b32_e32 v12, 1
	s_and_saveexec_b64 s[48:49], vcc
	s_cbranch_execz .LBB4_7480
; %bb.7477:                             ;   in Loop: Header=BB4_6462 Depth=3
	v_bfe_u32 v0, v13, 24, 7
	v_cmp_ne_u32_e32 vcc, s81, v0
	v_mov_b32_e32 v12, 0x7f800001
	s_and_saveexec_b64 s[50:51], vcc
	s_cbranch_execz .LBB4_7479
; %bb.7478:                             ;   in Loop: Header=BB4_6462 Depth=3
	v_and_b32_e32 v5, 7, v16
	v_lshrrev_b32_e32 v12, 3, v0
	v_cmp_gt_u32_e32 vcc, 8, v0
	v_ffbh_u32_e32 v0, v5
	v_min_u32_e32 v0, 32, v0
	v_subrev_u32_e32 v50, 28, v0
	v_lshlrev_b64 v[42:43], v50, v[16:17]
	v_sub_u32_e32 v0, 29, v0
	v_and_b32_e32 v50, 7, v42
	v_cndmask_b32_e32 v0, v12, v0, vcc
	v_cndmask_b32_e32 v5, v5, v50, vcc
	v_lshlrev_b32_e32 v12, 24, v16
	v_lshlrev_b32_e32 v5, 20, v5
	v_and_b32_e32 v12, 0x80000000, v12
	v_lshl_add_u32 v0, v0, 23, v54
	v_or3_b32 v12, v12, v0, v5
.LBB4_7479:                             ;   in Loop: Header=BB4_6462 Depth=3
	s_or_b64 exec, exec, s[50:51]
.LBB4_7480:                             ;   in Loop: Header=BB4_6462 Depth=3
	s_or_b64 exec, exec, s[48:49]
.LBB4_7481:                             ;   in Loop: Header=BB4_6462 Depth=3
	s_or_b64 exec, exec, s[38:39]
	v_cmp_lt_u64_e32 vcc, s[62:63], v[8:9]
	s_and_saveexec_b64 s[38:39], vcc
	s_cbranch_execz .LBB4_7487
; %bb.7482:                             ;   in Loop: Header=BB4_6462 Depth=3
	v_cmp_ne_u32_e32 vcc, s80, v2
	v_bfrev_b32_e32 v17, 1
	s_and_saveexec_b64 s[48:49], vcc
	s_cbranch_execz .LBB4_7486
; %bb.7483:                             ;   in Loop: Header=BB4_6462 Depth=3
	v_bfe_u32 v0, v9, 24, 7
	v_cmp_ne_u32_e32 vcc, s81, v0
	v_mov_b32_e32 v17, 0x7f800001
	s_and_saveexec_b64 s[50:51], vcc
	s_cbranch_execz .LBB4_7485
; %bb.7484:                             ;   in Loop: Header=BB4_6462 Depth=3
	v_and_b32_e32 v5, 7, v2
	v_lshrrev_b32_e32 v17, 3, v0
	v_cmp_gt_u32_e32 vcc, 8, v0
	v_ffbh_u32_e32 v0, v5
	v_min_u32_e32 v0, 32, v0
	v_subrev_u32_e32 v50, 28, v0
	v_lshlrev_b64 v[42:43], v50, v[2:3]
	v_sub_u32_e32 v0, 29, v0
	v_and_b32_e32 v50, 7, v42
	v_cndmask_b32_e32 v0, v17, v0, vcc
	v_cndmask_b32_e32 v5, v5, v50, vcc
	v_lshlrev_b32_e32 v17, 24, v2
	v_lshlrev_b32_e32 v5, 20, v5
	v_and_b32_e32 v17, 0x80000000, v17
	v_lshl_add_u32 v0, v0, 23, v54
	v_or3_b32 v17, v17, v0, v5
.LBB4_7485:                             ;   in Loop: Header=BB4_6462 Depth=3
	s_or_b64 exec, exec, s[50:51]
.LBB4_7486:                             ;   in Loop: Header=BB4_6462 Depth=3
	s_or_b64 exec, exec, s[48:49]
.LBB4_7487:                             ;   in Loop: Header=BB4_6462 Depth=3
	s_or_b64 exec, exec, s[38:39]
	v_max_f32_e32 v0, v17, v17
	v_max_f32_e32 v5, v12, v12
	;; [unrolled: 1-line block ×3, first 2 shown]
	s_mov_b64 s[38:39], 0
.LBB4_7488:                             ;   in Loop: Header=BB4_6462 Depth=3
	s_and_b64 vcc, exec, s[38:39]
	s_cbranch_vccz .LBB4_7502
; %bb.7489:                             ;   in Loop: Header=BB4_6462 Depth=3
	v_mov_b32_e32 v17, 0
	v_mov_b32_e32 v12, 0
	s_and_saveexec_b64 s[38:39], s[40:41]
	s_cbranch_execz .LBB4_7495
; %bb.7490:                             ;   in Loop: Header=BB4_6462 Depth=3
	v_cmp_ne_u32_e32 vcc, s80, v16
	v_bfrev_b32_e32 v12, 1
	s_and_saveexec_b64 s[40:41], vcc
	s_cbranch_execz .LBB4_7494
; %bb.7491:                             ;   in Loop: Header=BB4_6462 Depth=3
	v_bfe_u32 v0, v13, 24, 7
	v_cmp_ne_u32_e32 vcc, s81, v0
	v_mov_b32_e32 v12, 0x7f800001
	s_and_saveexec_b64 s[48:49], vcc
	s_cbranch_execz .LBB4_7493
; %bb.7492:                             ;   in Loop: Header=BB4_6462 Depth=3
	v_and_b32_e32 v5, 7, v16
	v_lshrrev_b32_e32 v50, 3, v0
	v_cmp_gt_u32_e32 vcc, 8, v0
	v_ffbh_u32_e32 v0, v5
	v_min_u32_e32 v0, 32, v0
	v_subrev_u32_e32 v12, 28, v0
	v_lshlrev_b64 v[12:13], v12, v[16:17]
	v_sub_u32_e32 v0, 29, v0
	v_and_b32_e32 v12, 7, v12
	v_cndmask_b32_e32 v0, v50, v0, vcc
	v_cndmask_b32_e32 v5, v5, v12, vcc
	v_lshlrev_b32_e32 v12, 24, v16
	v_lshlrev_b32_e32 v5, 20, v5
	v_and_b32_e32 v12, 0x80000000, v12
	v_lshl_add_u32 v0, v0, 23, v54
	v_or3_b32 v12, v12, v0, v5
.LBB4_7493:                             ;   in Loop: Header=BB4_6462 Depth=3
	s_or_b64 exec, exec, s[48:49]
.LBB4_7494:                             ;   in Loop: Header=BB4_6462 Depth=3
	s_or_b64 exec, exec, s[40:41]
.LBB4_7495:                             ;   in Loop: Header=BB4_6462 Depth=3
	s_or_b64 exec, exec, s[38:39]
	v_cmp_lt_u64_e32 vcc, s[62:63], v[8:9]
	s_and_saveexec_b64 s[40:41], vcc
	s_cbranch_execz .LBB4_7501
; %bb.7496:                             ;   in Loop: Header=BB4_6462 Depth=3
	v_cmp_ne_u32_e32 vcc, s80, v2
	v_bfrev_b32_e32 v17, 1
	s_and_saveexec_b64 s[38:39], vcc
	s_cbranch_execz .LBB4_7500
; %bb.7497:                             ;   in Loop: Header=BB4_6462 Depth=3
	v_bfe_u32 v0, v9, 24, 7
	v_cmp_ne_u32_e32 vcc, s81, v0
	v_mov_b32_e32 v17, 0x7f800001
	s_and_saveexec_b64 s[48:49], vcc
	s_cbranch_execz .LBB4_7499
; %bb.7498:                             ;   in Loop: Header=BB4_6462 Depth=3
	v_and_b32_e32 v5, 7, v2
	v_lshrrev_b32_e32 v13, 3, v0
	v_cmp_gt_u32_e32 vcc, 8, v0
	v_ffbh_u32_e32 v0, v5
	v_min_u32_e32 v0, 32, v0
	v_subrev_u32_e32 v8, 28, v0
	v_lshlrev_b64 v[8:9], v8, v[2:3]
	v_sub_u32_e32 v0, 29, v0
	v_and_b32_e32 v8, 7, v8
	v_cndmask_b32_e32 v0, v13, v0, vcc
	v_cndmask_b32_e32 v5, v5, v8, vcc
	v_lshlrev_b32_e32 v2, 24, v2
	v_lshlrev_b32_e32 v5, 20, v5
	v_and_b32_e32 v2, 0x80000000, v2
	v_lshl_add_u32 v0, v0, 23, v54
	v_or3_b32 v17, v2, v0, v5
.LBB4_7499:                             ;   in Loop: Header=BB4_6462 Depth=3
	s_or_b64 exec, exec, s[48:49]
.LBB4_7500:                             ;   in Loop: Header=BB4_6462 Depth=3
	s_or_b64 exec, exec, s[38:39]
.LBB4_7501:                             ;   in Loop: Header=BB4_6462 Depth=3
	s_or_b64 exec, exec, s[40:41]
	v_max_f32_e32 v0, v17, v17
	v_max_f32_e32 v2, v12, v12
	v_min_f32_e32 v12, v2, v0
.LBB4_7502:                             ;   in Loop: Header=BB4_6462 Depth=3
	v_and_b32_e32 v2, 0x7f800000, v12
	v_cmp_ne_u64_e32 vcc, s[76:77], v[2:3]
                                        ; implicit-def: $vgpr59
	s_and_saveexec_b64 s[40:41], vcc
	s_xor_b64 s[38:39], exec, s[40:41]
	s_cbranch_execz .LBB4_7516
; %bb.7503:                             ;   in Loop: Header=BB4_6462 Depth=3
	v_and_b32_e32 v2, 0x7fffffff, v12
	v_cmp_gt_u64_e32 vcc, s[78:79], v[2:3]
	v_and_b32_sdwa v16, v12, s80 dst_sel:DWORD dst_unused:UNUSED_PAD src0_sel:BYTE_3 src1_sel:DWORD
                                        ; implicit-def: $vgpr59
	s_and_saveexec_b64 s[40:41], vcc
	s_xor_b64 s[48:49], exec, s[40:41]
	s_cbranch_execz .LBB4_7513
; %bb.7504:                             ;   in Loop: Header=BB4_6462 Depth=3
	v_mov_b32_e32 v59, 0
	v_cmp_ne_u32_e32 vcc, 0, v12
	s_and_saveexec_b64 s[50:51], vcc
	s_cbranch_execz .LBB4_7512
; %bb.7505:                             ;   in Loop: Header=BB4_6462 Depth=3
	v_bfe_u32 v17, v12, 23, 8
	v_cmp_gt_u32_e64 s[40:41], s83, v17
	v_sub_u32_e32 v2, 0x79, v17
	v_and_b32_e32 v0, 0x7fffff, v12
	v_cmp_eq_u32_e32 vcc, 0, v17
	v_cndmask_b32_e64 v2, 0, v2, s[40:41]
	v_mov_b32_e32 v8, 0x78
	v_or_b32_e32 v5, 0x800000, v0
	v_cndmask_b32_e32 v55, v2, v8, vcc
	v_cndmask_b32_e32 v2, v5, v0, vcc
	v_add_u32_e32 v0, 20, v55
	v_lshlrev_b64 v[8:9], v0, -1
	v_add_u32_e32 v0, 19, v55
	v_lshlrev_b64 v[12:13], v0, 1
	v_bfi_b32 v9, v9, 0, 0
	v_bfi_b32 v8, v8, 0, v2
	v_cmp_eq_u64_e64 s[40:41], v[8:9], v[12:13]
	v_lshrrev_b64 v[8:9], v55, v[2:3]
	v_mov_b32_e32 v13, v9
	v_mov_b32_e32 v12, v8
	s_and_saveexec_b64 s[52:53], s[40:41]
; %bb.7506:                             ;   in Loop: Header=BB4_6462 Depth=3
	v_bfe_u32 v0, v8, 20, 1
	v_add_co_u32_e64 v0, s[40:41], v8, v0
	v_add_co_u32_e64 v12, s[40:41], -1, v0
; %bb.7507:                             ;   in Loop: Header=BB4_6462 Depth=3
	s_or_b64 exec, exec, s[52:53]
	v_add_u32_e32 v0, 0xffffff81, v17
	v_mov_b32_e32 v2, 0xffffff82
	v_cndmask_b32_e32 v0, v0, v2, vcc
	v_lshrrev_b32_e32 v2, 23, v8
	v_add3_u32 v13, v55, v0, v2
	v_add_u32_e32 v5, 6, v13
	v_and_b32_e32 v0, 0xfffff, v12
	v_add_u32_e32 v2, v0, v8
	v_cmp_ne_u32_e32 vcc, 0, v5
                                        ; implicit-def: $vgpr8_vgpr9
                                        ; implicit-def: $vgpr0
	s_and_saveexec_b64 s[40:41], vcc
	s_xor_b64 s[40:41], exec, s[40:41]
; %bb.7508:                             ;   in Loop: Header=BB4_6462 Depth=3
	v_cmp_lt_u64_e32 vcc, s[88:89], v[2:3]
	v_add_u32_e32 v0, 7, v13
	v_cndmask_b32_e32 v0, v5, v0, vcc
	v_cndmask_b32_e64 v5, 0, 1, vcc
	v_lshrrev_b64 v[8:9], v5, v[2:3]
; %bb.7509:                             ;   in Loop: Header=BB4_6462 Depth=3
	s_andn2_saveexec_b64 s[40:41], s[40:41]
; %bb.7510:                             ;   in Loop: Header=BB4_6462 Depth=3
	v_mov_b32_e32 v9, v3
	v_bfe_u32 v0, v2, 23, 1
	v_mov_b32_e32 v8, v2
; %bb.7511:                             ;   in Loop: Header=BB4_6462 Depth=3
	s_or_b64 exec, exec, s[40:41]
	v_lshrrev_b64 v[8:9], 20, v[8:9]
	v_cmp_gt_i32_e32 vcc, 16, v0
	v_cndmask_b32_e32 v9, 0, v9, vcc
	v_cndmask_b32_e32 v8, 7, v8, vcc
	v_cmp_eq_u32_e32 vcc, 0, v0
	v_min_i32_e32 v0, 15, v0
	v_cmp_eq_u64_e64 s[40:41], 0, v[8:9]
	v_lshlrev_b32_e32 v0, 3, v0
	v_and_b32_e32 v0, 0xf8, v0
	v_and_or_b32 v0, v8, 7, v0
	s_and_b64 s[40:41], vcc, s[40:41]
	v_cndmask_b32_e64 v0, v0, 0, s[40:41]
	v_or_b32_e32 v59, v0, v16
.LBB4_7512:                             ;   in Loop: Header=BB4_6462 Depth=3
	s_or_b64 exec, exec, s[50:51]
                                        ; implicit-def: $vgpr16
.LBB4_7513:                             ;   in Loop: Header=BB4_6462 Depth=3
	s_andn2_saveexec_b64 s[40:41], s[48:49]
; %bb.7514:                             ;   in Loop: Header=BB4_6462 Depth=3
	v_or_b32_e32 v59, 0x7e, v16
; %bb.7515:                             ;   in Loop: Header=BB4_6462 Depth=3
	s_or_b64 exec, exec, s[40:41]
                                        ; implicit-def: $vgpr12
.LBB4_7516:                             ;   in Loop: Header=BB4_6462 Depth=3
	s_andn2_saveexec_b64 s[40:41], s[38:39]
; %bb.7517:                             ;   in Loop: Header=BB4_6462 Depth=3
	v_or_b32_sdwa v59, v12, s81 dst_sel:DWORD dst_unused:UNUSED_PAD src0_sel:BYTE_3 src1_sel:DWORD
; %bb.7518:                             ;   in Loop: Header=BB4_6462 Depth=3
	s_or_b64 exec, exec, s[40:41]
	v_cmp_ne_u16_sdwa s[40:41], v14, v3 src0_sel:BYTE_0 src1_sel:DWORD
	s_and_b64 vcc, exec, s[28:29]
	s_mov_b64 s[38:39], -1
                                        ; implicit-def: $vgpr8
	s_cbranch_vccnz .LBB4_7532
; %bb.7519:                             ;   in Loop: Header=BB4_6462 Depth=3
	v_mov_b32_e32 v8, 0
	v_mov_b32_e32 v2, 0
	s_and_saveexec_b64 s[38:39], s[40:41]
	s_cbranch_execz .LBB4_7525
; %bb.7520:                             ;   in Loop: Header=BB4_6462 Depth=3
	v_cmp_ne_u16_sdwa vcc, v14, s80 src0_sel:BYTE_0 src1_sel:DWORD
	v_bfrev_b32_e32 v2, 1
	s_and_saveexec_b64 s[48:49], vcc
	s_cbranch_execz .LBB4_7524
; %bb.7521:                             ;   in Loop: Header=BB4_6462 Depth=3
	v_and_b32_e32 v0, 0x7f, v14
	v_cmp_ne_u32_e32 vcc, s81, v0
	v_mov_b32_e32 v2, 0x7f800001
	s_and_saveexec_b64 s[50:51], vcc
	s_cbranch_execz .LBB4_7523
; %bb.7522:                             ;   in Loop: Header=BB4_6462 Depth=3
	v_and_b32_e32 v2, 7, v14
	v_lshrrev_b32_e32 v5, 3, v0
	v_cmp_gt_u32_e32 vcc, 8, v0
	v_ffbh_u32_e32 v0, v2
	v_min_u32_e32 v0, 32, v0
	v_subrev_u32_e32 v2, 28, v0
	v_cndmask_b32_e32 v2, 0, v2, vcc
	v_lshlrev_b64 v[12:13], v2, v[14:15]
	v_sub_u32_e32 v0, 29, v0
	v_cndmask_b32_e32 v0, v5, v0, vcc
	v_lshlrev_b32_e32 v2, 20, v12
	v_lshlrev_b32_e32 v5, 24, v14
	v_and_b32_e32 v2, 0x700000, v2
	v_and_b32_e32 v5, 0x80000000, v5
	v_lshl_add_u32 v0, v0, 23, v54
	v_or3_b32 v2, v5, v0, v2
.LBB4_7523:                             ;   in Loop: Header=BB4_6462 Depth=3
	s_or_b64 exec, exec, s[50:51]
.LBB4_7524:                             ;   in Loop: Header=BB4_6462 Depth=3
	s_or_b64 exec, exec, s[48:49]
.LBB4_7525:                             ;   in Loop: Header=BB4_6462 Depth=3
	s_or_b64 exec, exec, s[38:39]
	v_cmp_ne_u16_sdwa vcc, v10, v3 src0_sel:BYTE_0 src1_sel:DWORD
	s_and_saveexec_b64 s[38:39], vcc
	s_cbranch_execz .LBB4_7531
; %bb.7526:                             ;   in Loop: Header=BB4_6462 Depth=3
	v_cmp_ne_u16_sdwa vcc, v10, s80 src0_sel:BYTE_0 src1_sel:DWORD
	v_bfrev_b32_e32 v8, 1
	s_and_saveexec_b64 s[48:49], vcc
	s_cbranch_execz .LBB4_7530
; %bb.7527:                             ;   in Loop: Header=BB4_6462 Depth=3
	v_and_b32_e32 v0, 0x7f, v10
	v_cmp_ne_u32_e32 vcc, s81, v0
	v_mov_b32_e32 v8, 0x7f800001
	s_and_saveexec_b64 s[50:51], vcc
	s_cbranch_execz .LBB4_7529
; %bb.7528:                             ;   in Loop: Header=BB4_6462 Depth=3
	v_and_b32_e32 v5, 7, v10
	v_lshrrev_b32_e32 v8, 3, v0
	v_cmp_gt_u32_e32 vcc, 8, v0
	v_ffbh_u32_e32 v0, v5
	v_min_u32_e32 v0, 32, v0
	v_subrev_u32_e32 v5, 28, v0
	v_sub_u32_e32 v0, 29, v0
	v_cndmask_b32_e32 v5, 0, v5, vcc
	v_cndmask_b32_e32 v0, v8, v0, vcc
	v_lshlrev_b64 v[8:9], v5, v[10:11]
	v_lshl_add_u32 v0, v0, 23, v54
	v_lshlrev_b32_e32 v5, 20, v8
	v_lshlrev_b32_e32 v8, 24, v10
	v_and_b32_e32 v5, 0x700000, v5
	v_and_b32_e32 v8, 0x80000000, v8
	v_or3_b32 v8, v8, v0, v5
.LBB4_7529:                             ;   in Loop: Header=BB4_6462 Depth=3
	s_or_b64 exec, exec, s[50:51]
.LBB4_7530:                             ;   in Loop: Header=BB4_6462 Depth=3
	s_or_b64 exec, exec, s[48:49]
.LBB4_7531:                             ;   in Loop: Header=BB4_6462 Depth=3
	s_or_b64 exec, exec, s[38:39]
	v_max_f32_e32 v0, v8, v8
	v_max_f32_e32 v2, v2, v2
	;; [unrolled: 1-line block ×3, first 2 shown]
	s_mov_b64 s[38:39], 0
.LBB4_7532:                             ;   in Loop: Header=BB4_6462 Depth=3
	s_and_b64 vcc, exec, s[38:39]
	s_cbranch_vccz .LBB4_7546
; %bb.7533:                             ;   in Loop: Header=BB4_6462 Depth=3
	v_mov_b32_e32 v8, 0
	v_mov_b32_e32 v2, 0
	s_and_saveexec_b64 s[38:39], s[40:41]
	s_cbranch_execz .LBB4_7539
; %bb.7534:                             ;   in Loop: Header=BB4_6462 Depth=3
	v_cmp_ne_u16_sdwa vcc, v14, s80 src0_sel:BYTE_0 src1_sel:DWORD
	v_bfrev_b32_e32 v2, 1
	s_and_saveexec_b64 s[40:41], vcc
	s_cbranch_execz .LBB4_7538
; %bb.7535:                             ;   in Loop: Header=BB4_6462 Depth=3
	v_and_b32_e32 v0, 0x7f, v14
	v_cmp_ne_u32_e32 vcc, s81, v0
	v_mov_b32_e32 v2, 0x7f800001
	s_and_saveexec_b64 s[48:49], vcc
	s_cbranch_execz .LBB4_7537
; %bb.7536:                             ;   in Loop: Header=BB4_6462 Depth=3
	v_and_b32_e32 v2, 7, v14
	v_lshrrev_b32_e32 v5, 3, v0
	v_cmp_gt_u32_e32 vcc, 8, v0
	v_ffbh_u32_e32 v0, v2
	v_min_u32_e32 v0, 32, v0
	v_subrev_u32_e32 v2, 28, v0
	v_cndmask_b32_e32 v2, 0, v2, vcc
	v_lshlrev_b64 v[12:13], v2, v[14:15]
	v_sub_u32_e32 v0, 29, v0
	v_cndmask_b32_e32 v0, v5, v0, vcc
	v_lshlrev_b32_e32 v2, 20, v12
	v_lshlrev_b32_e32 v5, 24, v14
	v_and_b32_e32 v2, 0x700000, v2
	v_and_b32_e32 v5, 0x80000000, v5
	v_lshl_add_u32 v0, v0, 23, v54
	v_or3_b32 v2, v5, v0, v2
.LBB4_7537:                             ;   in Loop: Header=BB4_6462 Depth=3
	s_or_b64 exec, exec, s[48:49]
.LBB4_7538:                             ;   in Loop: Header=BB4_6462 Depth=3
	s_or_b64 exec, exec, s[40:41]
.LBB4_7539:                             ;   in Loop: Header=BB4_6462 Depth=3
	s_or_b64 exec, exec, s[38:39]
	v_cmp_ne_u16_sdwa vcc, v10, v3 src0_sel:BYTE_0 src1_sel:DWORD
	s_and_saveexec_b64 s[40:41], vcc
	s_cbranch_execz .LBB4_7545
; %bb.7540:                             ;   in Loop: Header=BB4_6462 Depth=3
	v_cmp_ne_u16_sdwa vcc, v10, s80 src0_sel:BYTE_0 src1_sel:DWORD
	v_bfrev_b32_e32 v8, 1
	s_and_saveexec_b64 s[38:39], vcc
	s_cbranch_execz .LBB4_7544
; %bb.7541:                             ;   in Loop: Header=BB4_6462 Depth=3
	v_and_b32_e32 v0, 0x7f, v10
	v_cmp_ne_u32_e32 vcc, s81, v0
	v_mov_b32_e32 v8, 0x7f800001
	s_and_saveexec_b64 s[48:49], vcc
	s_cbranch_execz .LBB4_7543
; %bb.7542:                             ;   in Loop: Header=BB4_6462 Depth=3
	v_and_b32_e32 v5, 7, v10
	v_lshrrev_b32_e32 v8, 3, v0
	v_cmp_gt_u32_e32 vcc, 8, v0
	v_ffbh_u32_e32 v0, v5
	v_min_u32_e32 v0, 32, v0
	v_subrev_u32_e32 v5, 28, v0
	v_sub_u32_e32 v0, 29, v0
	v_cndmask_b32_e32 v5, 0, v5, vcc
	v_cndmask_b32_e32 v0, v8, v0, vcc
	v_lshlrev_b64 v[8:9], v5, v[10:11]
	v_lshl_add_u32 v0, v0, 23, v54
	v_lshlrev_b32_e32 v5, 20, v8
	v_lshlrev_b32_e32 v8, 24, v10
	v_and_b32_e32 v5, 0x700000, v5
	v_and_b32_e32 v8, 0x80000000, v8
	v_or3_b32 v8, v8, v0, v5
.LBB4_7543:                             ;   in Loop: Header=BB4_6462 Depth=3
	s_or_b64 exec, exec, s[48:49]
.LBB4_7544:                             ;   in Loop: Header=BB4_6462 Depth=3
	s_or_b64 exec, exec, s[38:39]
.LBB4_7545:                             ;   in Loop: Header=BB4_6462 Depth=3
	s_or_b64 exec, exec, s[40:41]
	v_max_f32_e32 v0, v8, v8
	v_max_f32_e32 v2, v2, v2
	v_min_f32_e32 v8, v2, v0
.LBB4_7546:                             ;   in Loop: Header=BB4_6462 Depth=3
	v_and_b32_e32 v2, 0x7f800000, v8
	v_cmp_ne_u64_e32 vcc, s[76:77], v[2:3]
                                        ; implicit-def: $vgpr60
	s_and_saveexec_b64 s[40:41], vcc
	s_xor_b64 s[38:39], exec, s[40:41]
	s_cbranch_execz .LBB4_7560
; %bb.7547:                             ;   in Loop: Header=BB4_6462 Depth=3
	v_and_b32_e32 v2, 0x7fffffff, v8
	v_cmp_gt_u64_e32 vcc, s[78:79], v[2:3]
	v_and_b32_sdwa v16, v8, s80 dst_sel:DWORD dst_unused:UNUSED_PAD src0_sel:BYTE_3 src1_sel:DWORD
                                        ; implicit-def: $vgpr60
	s_and_saveexec_b64 s[40:41], vcc
	s_xor_b64 s[48:49], exec, s[40:41]
	s_cbranch_execz .LBB4_7557
; %bb.7548:                             ;   in Loop: Header=BB4_6462 Depth=3
	v_mov_b32_e32 v60, 0
	v_cmp_ne_u32_e32 vcc, 0, v8
	s_and_saveexec_b64 s[50:51], vcc
	s_cbranch_execz .LBB4_7556
; %bb.7549:                             ;   in Loop: Header=BB4_6462 Depth=3
	v_bfe_u32 v17, v8, 23, 8
	v_cmp_gt_u32_e64 s[40:41], s83, v17
	v_sub_u32_e32 v2, 0x79, v17
	v_and_b32_e32 v0, 0x7fffff, v8
	v_cmp_eq_u32_e32 vcc, 0, v17
	v_cndmask_b32_e64 v2, 0, v2, s[40:41]
	v_mov_b32_e32 v8, 0x78
	v_or_b32_e32 v5, 0x800000, v0
	v_cndmask_b32_e32 v55, v2, v8, vcc
	v_cndmask_b32_e32 v2, v5, v0, vcc
	v_add_u32_e32 v0, 20, v55
	v_lshlrev_b64 v[8:9], v0, -1
	v_add_u32_e32 v0, 19, v55
	v_lshlrev_b64 v[12:13], v0, 1
	v_bfi_b32 v9, v9, 0, 0
	v_bfi_b32 v8, v8, 0, v2
	v_cmp_eq_u64_e64 s[40:41], v[8:9], v[12:13]
	v_lshrrev_b64 v[8:9], v55, v[2:3]
	v_mov_b32_e32 v13, v9
	v_mov_b32_e32 v12, v8
	s_and_saveexec_b64 s[52:53], s[40:41]
; %bb.7550:                             ;   in Loop: Header=BB4_6462 Depth=3
	v_bfe_u32 v0, v8, 20, 1
	v_add_co_u32_e64 v0, s[40:41], v8, v0
	v_add_co_u32_e64 v12, s[40:41], -1, v0
; %bb.7551:                             ;   in Loop: Header=BB4_6462 Depth=3
	s_or_b64 exec, exec, s[52:53]
	v_add_u32_e32 v0, 0xffffff81, v17
	v_mov_b32_e32 v2, 0xffffff82
	v_cndmask_b32_e32 v0, v0, v2, vcc
	v_lshrrev_b32_e32 v2, 23, v8
	v_add3_u32 v13, v55, v0, v2
	v_add_u32_e32 v5, 6, v13
	v_and_b32_e32 v0, 0xfffff, v12
	v_add_u32_e32 v2, v0, v8
	v_cmp_ne_u32_e32 vcc, 0, v5
                                        ; implicit-def: $vgpr8_vgpr9
                                        ; implicit-def: $vgpr0
	s_and_saveexec_b64 s[40:41], vcc
	s_xor_b64 s[40:41], exec, s[40:41]
; %bb.7552:                             ;   in Loop: Header=BB4_6462 Depth=3
	v_cmp_lt_u64_e32 vcc, s[88:89], v[2:3]
	v_add_u32_e32 v0, 7, v13
	v_cndmask_b32_e32 v0, v5, v0, vcc
	v_cndmask_b32_e64 v5, 0, 1, vcc
	v_lshrrev_b64 v[8:9], v5, v[2:3]
; %bb.7553:                             ;   in Loop: Header=BB4_6462 Depth=3
	s_andn2_saveexec_b64 s[40:41], s[40:41]
; %bb.7554:                             ;   in Loop: Header=BB4_6462 Depth=3
	v_mov_b32_e32 v9, v3
	v_bfe_u32 v0, v2, 23, 1
	v_mov_b32_e32 v8, v2
; %bb.7555:                             ;   in Loop: Header=BB4_6462 Depth=3
	s_or_b64 exec, exec, s[40:41]
	v_lshrrev_b64 v[8:9], 20, v[8:9]
	v_cmp_gt_i32_e32 vcc, 16, v0
	v_cndmask_b32_e32 v9, 0, v9, vcc
	v_cndmask_b32_e32 v8, 7, v8, vcc
	v_cmp_eq_u32_e32 vcc, 0, v0
	v_min_i32_e32 v0, 15, v0
	v_cmp_eq_u64_e64 s[40:41], 0, v[8:9]
	v_lshlrev_b32_e32 v0, 3, v0
	v_and_b32_e32 v0, 0xf8, v0
	v_and_or_b32 v0, v8, 7, v0
	s_and_b64 s[40:41], vcc, s[40:41]
	v_cndmask_b32_e64 v0, v0, 0, s[40:41]
	v_or_b32_e32 v60, v0, v16
.LBB4_7556:                             ;   in Loop: Header=BB4_6462 Depth=3
	s_or_b64 exec, exec, s[50:51]
                                        ; implicit-def: $vgpr16
.LBB4_7557:                             ;   in Loop: Header=BB4_6462 Depth=3
	s_andn2_saveexec_b64 s[40:41], s[48:49]
; %bb.7558:                             ;   in Loop: Header=BB4_6462 Depth=3
	v_or_b32_e32 v60, 0x7e, v16
; %bb.7559:                             ;   in Loop: Header=BB4_6462 Depth=3
	s_or_b64 exec, exec, s[40:41]
                                        ; implicit-def: $vgpr8
.LBB4_7560:                             ;   in Loop: Header=BB4_6462 Depth=3
	s_andn2_saveexec_b64 s[40:41], s[38:39]
; %bb.7561:                             ;   in Loop: Header=BB4_6462 Depth=3
	v_or_b32_sdwa v60, v8, s81 dst_sel:DWORD dst_unused:UNUSED_PAD src0_sel:BYTE_3 src1_sel:DWORD
; %bb.7562:                             ;   in Loop: Header=BB4_6462 Depth=3
	s_or_b64 exec, exec, s[40:41]
	v_lshrrev_b16_e32 v8, 8, v14
	v_lshrrev_b16_e32 v2, 8, v10
	v_cmp_ne_u16_e64 s[40:41], 0, v8
	s_and_b64 vcc, exec, s[28:29]
	s_mov_b64 s[38:39], -1
                                        ; implicit-def: $vgpr9
	s_cbranch_vccnz .LBB4_7576
; %bb.7563:                             ;   in Loop: Header=BB4_6462 Depth=3
	v_mov_b32_e32 v12, 0
	v_mov_b32_e32 v9, 0
	s_and_saveexec_b64 s[38:39], s[40:41]
	s_cbranch_execz .LBB4_7569
; %bb.7564:                             ;   in Loop: Header=BB4_6462 Depth=3
	v_cmp_ne_u16_e32 vcc, s80, v8
	v_bfrev_b32_e32 v9, 1
	s_and_saveexec_b64 s[48:49], vcc
	s_cbranch_execz .LBB4_7568
; %bb.7565:                             ;   in Loop: Header=BB4_6462 Depth=3
	v_and_b32_e32 v0, 0x7f, v8
	v_cmp_ne_u32_e32 vcc, s81, v0
	v_mov_b32_e32 v9, 0x7f800001
	s_and_saveexec_b64 s[50:51], vcc
	s_cbranch_execz .LBB4_7567
; %bb.7566:                             ;   in Loop: Header=BB4_6462 Depth=3
	v_and_b32_e32 v5, 7, v8
	v_lshrrev_b32_e32 v9, 3, v0
	v_cmp_gt_u32_e32 vcc, 8, v0
	v_ffbh_u32_e32 v0, v5
	v_min_u32_e32 v0, 32, v0
	v_subrev_u32_e32 v13, 28, v0
	v_lshlrev_b64 v[16:17], v13, v[8:9]
	v_sub_u32_e32 v0, 29, v0
	v_and_b32_e32 v13, 7, v16
	v_cndmask_b32_e32 v0, v9, v0, vcc
	v_cndmask_b32_e32 v5, v5, v13, vcc
	v_lshlrev_b32_e32 v9, 16, v14
	v_lshlrev_b32_e32 v5, 20, v5
	v_and_b32_e32 v9, 0x80000000, v9
	v_lshl_add_u32 v0, v0, 23, v54
	v_or3_b32 v9, v9, v0, v5
.LBB4_7567:                             ;   in Loop: Header=BB4_6462 Depth=3
	s_or_b64 exec, exec, s[50:51]
.LBB4_7568:                             ;   in Loop: Header=BB4_6462 Depth=3
	s_or_b64 exec, exec, s[48:49]
.LBB4_7569:                             ;   in Loop: Header=BB4_6462 Depth=3
	s_or_b64 exec, exec, s[38:39]
	v_cmp_ne_u16_e32 vcc, 0, v2
	s_and_saveexec_b64 s[38:39], vcc
	s_cbranch_execz .LBB4_7575
; %bb.7570:                             ;   in Loop: Header=BB4_6462 Depth=3
	v_cmp_ne_u16_e32 vcc, s80, v2
	v_bfrev_b32_e32 v12, 1
	s_and_saveexec_b64 s[48:49], vcc
	s_cbranch_execz .LBB4_7574
; %bb.7571:                             ;   in Loop: Header=BB4_6462 Depth=3
	v_and_b32_e32 v0, 0x7f, v2
	v_cmp_ne_u32_e32 vcc, s81, v0
	v_mov_b32_e32 v12, 0x7f800001
	s_and_saveexec_b64 s[50:51], vcc
	s_cbranch_execz .LBB4_7573
; %bb.7572:                             ;   in Loop: Header=BB4_6462 Depth=3
	v_and_b32_e32 v5, 7, v2
	v_lshrrev_b32_e32 v16, 3, v0
	v_cmp_gt_u32_e32 vcc, 8, v0
	v_ffbh_u32_e32 v0, v5
	v_min_u32_e32 v0, 32, v0
	v_subrev_u32_e32 v12, 28, v0
	v_lshlrev_b64 v[12:13], v12, v[2:3]
	v_sub_u32_e32 v0, 29, v0
	v_and_b32_e32 v12, 7, v12
	v_cndmask_b32_e32 v0, v16, v0, vcc
	v_cndmask_b32_e32 v5, v5, v12, vcc
	v_lshlrev_b32_e32 v12, 16, v10
	v_lshlrev_b32_e32 v5, 20, v5
	v_and_b32_e32 v12, 0x80000000, v12
	v_lshl_add_u32 v0, v0, 23, v54
	v_or3_b32 v12, v12, v0, v5
.LBB4_7573:                             ;   in Loop: Header=BB4_6462 Depth=3
	s_or_b64 exec, exec, s[50:51]
.LBB4_7574:                             ;   in Loop: Header=BB4_6462 Depth=3
	s_or_b64 exec, exec, s[48:49]
.LBB4_7575:                             ;   in Loop: Header=BB4_6462 Depth=3
	s_or_b64 exec, exec, s[38:39]
	v_max_f32_e32 v0, v12, v12
	v_max_f32_e32 v5, v9, v9
	;; [unrolled: 1-line block ×3, first 2 shown]
	s_mov_b64 s[38:39], 0
.LBB4_7576:                             ;   in Loop: Header=BB4_6462 Depth=3
	s_and_b64 vcc, exec, s[38:39]
	s_cbranch_vccz .LBB4_7590
; %bb.7577:                             ;   in Loop: Header=BB4_6462 Depth=3
	v_mov_b32_e32 v12, 0
	v_mov_b32_e32 v9, 0
	s_and_saveexec_b64 s[38:39], s[40:41]
	s_cbranch_execz .LBB4_7583
; %bb.7578:                             ;   in Loop: Header=BB4_6462 Depth=3
	v_cmp_ne_u16_e32 vcc, s80, v8
	v_bfrev_b32_e32 v9, 1
	s_and_saveexec_b64 s[40:41], vcc
	s_cbranch_execz .LBB4_7582
; %bb.7579:                             ;   in Loop: Header=BB4_6462 Depth=3
	v_and_b32_e32 v0, 0x7f, v8
	v_cmp_ne_u32_e32 vcc, s81, v0
	v_mov_b32_e32 v9, 0x7f800001
	s_and_saveexec_b64 s[48:49], vcc
	s_cbranch_execz .LBB4_7581
; %bb.7580:                             ;   in Loop: Header=BB4_6462 Depth=3
	v_and_b32_e32 v5, 7, v8
	v_lshrrev_b32_e32 v13, 3, v0
	v_cmp_gt_u32_e32 vcc, 8, v0
	v_ffbh_u32_e32 v0, v5
	v_min_u32_e32 v0, 32, v0
	v_subrev_u32_e32 v9, 28, v0
	v_lshlrev_b64 v[8:9], v9, v[8:9]
	v_sub_u32_e32 v0, 29, v0
	v_and_b32_e32 v8, 7, v8
	v_cndmask_b32_e32 v0, v13, v0, vcc
	v_cndmask_b32_e32 v5, v5, v8, vcc
	v_lshlrev_b32_e32 v8, 16, v14
	v_lshlrev_b32_e32 v5, 20, v5
	v_and_b32_e32 v8, 0x80000000, v8
	v_lshl_add_u32 v0, v0, 23, v54
	v_or3_b32 v9, v8, v0, v5
.LBB4_7581:                             ;   in Loop: Header=BB4_6462 Depth=3
	s_or_b64 exec, exec, s[48:49]
.LBB4_7582:                             ;   in Loop: Header=BB4_6462 Depth=3
	s_or_b64 exec, exec, s[40:41]
.LBB4_7583:                             ;   in Loop: Header=BB4_6462 Depth=3
	s_or_b64 exec, exec, s[38:39]
	v_cmp_ne_u16_e32 vcc, 0, v2
	s_and_saveexec_b64 s[40:41], vcc
	s_cbranch_execz .LBB4_7589
; %bb.7584:                             ;   in Loop: Header=BB4_6462 Depth=3
	v_cmp_ne_u16_e32 vcc, s80, v2
	v_bfrev_b32_e32 v12, 1
	s_and_saveexec_b64 s[38:39], vcc
	s_cbranch_execz .LBB4_7588
; %bb.7585:                             ;   in Loop: Header=BB4_6462 Depth=3
	v_and_b32_e32 v0, 0x7f, v2
	v_cmp_ne_u32_e32 vcc, s81, v0
	v_mov_b32_e32 v12, 0x7f800001
	s_and_saveexec_b64 s[48:49], vcc
	s_cbranch_execz .LBB4_7587
; %bb.7586:                             ;   in Loop: Header=BB4_6462 Depth=3
	v_and_b32_e32 v5, 7, v2
	v_lshrrev_b32_e32 v8, 3, v0
	v_cmp_gt_u32_e32 vcc, 8, v0
	v_ffbh_u32_e32 v0, v5
	v_min_u32_e32 v0, 32, v0
	v_subrev_u32_e32 v12, 28, v0
	v_lshlrev_b64 v[12:13], v12, v[2:3]
	v_sub_u32_e32 v0, 29, v0
	v_and_b32_e32 v2, 7, v12
	v_cndmask_b32_e32 v0, v8, v0, vcc
	v_cndmask_b32_e32 v2, v5, v2, vcc
	v_lshlrev_b32_e32 v5, 16, v10
	v_lshlrev_b32_e32 v2, 20, v2
	v_and_b32_e32 v5, 0x80000000, v5
	v_lshl_add_u32 v0, v0, 23, v54
	v_or3_b32 v12, v5, v0, v2
.LBB4_7587:                             ;   in Loop: Header=BB4_6462 Depth=3
	s_or_b64 exec, exec, s[48:49]
.LBB4_7588:                             ;   in Loop: Header=BB4_6462 Depth=3
	s_or_b64 exec, exec, s[38:39]
.LBB4_7589:                             ;   in Loop: Header=BB4_6462 Depth=3
	s_or_b64 exec, exec, s[40:41]
	v_max_f32_e32 v0, v12, v12
	v_max_f32_e32 v2, v9, v9
	v_min_f32_e32 v9, v2, v0
.LBB4_7590:                             ;   in Loop: Header=BB4_6462 Depth=3
	v_and_b32_e32 v2, 0x7f800000, v9
	v_cmp_ne_u64_e32 vcc, s[76:77], v[2:3]
                                        ; implicit-def: $vgpr43
	s_and_saveexec_b64 s[40:41], vcc
	s_xor_b64 s[38:39], exec, s[40:41]
	s_cbranch_execz .LBB4_7604
; %bb.7591:                             ;   in Loop: Header=BB4_6462 Depth=3
	v_and_b32_e32 v2, 0x7fffffff, v9
	v_cmp_gt_u64_e32 vcc, s[78:79], v[2:3]
	v_and_b32_sdwa v16, v9, s80 dst_sel:DWORD dst_unused:UNUSED_PAD src0_sel:BYTE_3 src1_sel:DWORD
                                        ; implicit-def: $vgpr43
	s_and_saveexec_b64 s[40:41], vcc
	s_xor_b64 s[48:49], exec, s[40:41]
	s_cbranch_execz .LBB4_7601
; %bb.7592:                             ;   in Loop: Header=BB4_6462 Depth=3
	v_mov_b32_e32 v43, 0
	v_cmp_ne_u32_e32 vcc, 0, v9
	s_and_saveexec_b64 s[50:51], vcc
	s_cbranch_execz .LBB4_7600
; %bb.7593:                             ;   in Loop: Header=BB4_6462 Depth=3
	v_bfe_u32 v17, v9, 23, 8
	v_cmp_gt_u32_e64 s[40:41], s83, v17
	v_sub_u32_e32 v2, 0x79, v17
	v_and_b32_e32 v0, 0x7fffff, v9
	v_cmp_eq_u32_e32 vcc, 0, v17
	v_cndmask_b32_e64 v2, 0, v2, s[40:41]
	v_mov_b32_e32 v8, 0x78
	v_or_b32_e32 v5, 0x800000, v0
	v_cndmask_b32_e32 v55, v2, v8, vcc
	v_cndmask_b32_e32 v2, v5, v0, vcc
	v_add_u32_e32 v0, 20, v55
	v_lshlrev_b64 v[8:9], v0, -1
	v_add_u32_e32 v0, 19, v55
	v_lshlrev_b64 v[12:13], v0, 1
	v_bfi_b32 v9, v9, 0, 0
	v_bfi_b32 v8, v8, 0, v2
	v_cmp_eq_u64_e64 s[40:41], v[8:9], v[12:13]
	v_lshrrev_b64 v[8:9], v55, v[2:3]
	v_mov_b32_e32 v13, v9
	v_mov_b32_e32 v12, v8
	s_and_saveexec_b64 s[52:53], s[40:41]
; %bb.7594:                             ;   in Loop: Header=BB4_6462 Depth=3
	v_bfe_u32 v0, v8, 20, 1
	v_add_co_u32_e64 v0, s[40:41], v8, v0
	v_add_co_u32_e64 v12, s[40:41], -1, v0
; %bb.7595:                             ;   in Loop: Header=BB4_6462 Depth=3
	s_or_b64 exec, exec, s[52:53]
	v_add_u32_e32 v0, 0xffffff81, v17
	v_mov_b32_e32 v2, 0xffffff82
	v_cndmask_b32_e32 v0, v0, v2, vcc
	v_lshrrev_b32_e32 v2, 23, v8
	v_add3_u32 v13, v55, v0, v2
	v_add_u32_e32 v5, 6, v13
	v_and_b32_e32 v0, 0xfffff, v12
	v_add_u32_e32 v2, v0, v8
	v_cmp_ne_u32_e32 vcc, 0, v5
                                        ; implicit-def: $vgpr8_vgpr9
                                        ; implicit-def: $vgpr0
	s_and_saveexec_b64 s[40:41], vcc
	s_xor_b64 s[40:41], exec, s[40:41]
; %bb.7596:                             ;   in Loop: Header=BB4_6462 Depth=3
	v_cmp_lt_u64_e32 vcc, s[88:89], v[2:3]
	v_add_u32_e32 v0, 7, v13
	v_cndmask_b32_e32 v0, v5, v0, vcc
	v_cndmask_b32_e64 v5, 0, 1, vcc
	v_lshrrev_b64 v[8:9], v5, v[2:3]
; %bb.7597:                             ;   in Loop: Header=BB4_6462 Depth=3
	s_andn2_saveexec_b64 s[40:41], s[40:41]
; %bb.7598:                             ;   in Loop: Header=BB4_6462 Depth=3
	v_mov_b32_e32 v9, v3
	v_bfe_u32 v0, v2, 23, 1
	v_mov_b32_e32 v8, v2
; %bb.7599:                             ;   in Loop: Header=BB4_6462 Depth=3
	s_or_b64 exec, exec, s[40:41]
	v_lshrrev_b64 v[8:9], 20, v[8:9]
	v_cmp_gt_i32_e32 vcc, 16, v0
	v_cndmask_b32_e32 v9, 0, v9, vcc
	v_cndmask_b32_e32 v8, 7, v8, vcc
	v_cmp_eq_u32_e32 vcc, 0, v0
	v_min_i32_e32 v0, 15, v0
	v_cmp_eq_u64_e64 s[40:41], 0, v[8:9]
	v_lshlrev_b32_e32 v0, 3, v0
	v_and_b32_e32 v0, 0xf8, v0
	v_and_or_b32 v0, v8, 7, v0
	s_and_b64 s[40:41], vcc, s[40:41]
	v_cndmask_b32_e64 v0, v0, 0, s[40:41]
	v_or_b32_e32 v43, v0, v16
.LBB4_7600:                             ;   in Loop: Header=BB4_6462 Depth=3
	s_or_b64 exec, exec, s[50:51]
                                        ; implicit-def: $vgpr16
.LBB4_7601:                             ;   in Loop: Header=BB4_6462 Depth=3
	s_andn2_saveexec_b64 s[40:41], s[48:49]
; %bb.7602:                             ;   in Loop: Header=BB4_6462 Depth=3
	v_or_b32_e32 v43, 0x7e, v16
; %bb.7603:                             ;   in Loop: Header=BB4_6462 Depth=3
	s_or_b64 exec, exec, s[40:41]
                                        ; implicit-def: $vgpr9
.LBB4_7604:                             ;   in Loop: Header=BB4_6462 Depth=3
	s_andn2_saveexec_b64 s[40:41], s[38:39]
; %bb.7605:                             ;   in Loop: Header=BB4_6462 Depth=3
	v_or_b32_sdwa v43, v9, s81 dst_sel:DWORD dst_unused:UNUSED_PAD src0_sel:BYTE_3 src1_sel:DWORD
; %bb.7606:                             ;   in Loop: Header=BB4_6462 Depth=3
	s_or_b64 exec, exec, s[40:41]
	v_lshrrev_b32_e32 v8, 16, v14
	v_lshrrev_b32_e32 v2, 16, v10
	v_cmp_ne_u16_sdwa s[40:41], v8, v3 src0_sel:BYTE_0 src1_sel:DWORD
	s_and_b64 vcc, exec, s[28:29]
	s_mov_b64 s[38:39], -1
                                        ; implicit-def: $vgpr9
	s_cbranch_vccnz .LBB4_7620
; %bb.7607:                             ;   in Loop: Header=BB4_6462 Depth=3
	v_mov_b32_e32 v12, 0
	v_mov_b32_e32 v9, 0
	s_and_saveexec_b64 s[38:39], s[40:41]
	s_cbranch_execz .LBB4_7613
; %bb.7608:                             ;   in Loop: Header=BB4_6462 Depth=3
	v_cmp_ne_u16_sdwa vcc, v8, s80 src0_sel:BYTE_0 src1_sel:DWORD
	v_bfrev_b32_e32 v9, 1
	s_and_saveexec_b64 s[48:49], vcc
	s_cbranch_execz .LBB4_7612
; %bb.7609:                             ;   in Loop: Header=BB4_6462 Depth=3
	v_bfe_u32 v0, v14, 16, 7
	v_cmp_ne_u32_e32 vcc, s81, v0
	v_mov_b32_e32 v9, 0x7f800001
	s_and_saveexec_b64 s[50:51], vcc
	s_cbranch_execz .LBB4_7611
; %bb.7610:                             ;   in Loop: Header=BB4_6462 Depth=3
	v_and_b32_e32 v5, 7, v8
	v_lshrrev_b32_e32 v9, 3, v0
	v_cmp_gt_u32_e32 vcc, 8, v0
	v_ffbh_u32_e32 v0, v5
	v_min_u32_e32 v0, 32, v0
	v_subrev_u32_e32 v13, 28, v0
	v_lshlrev_b64 v[16:17], v13, v[8:9]
	v_sub_u32_e32 v0, 29, v0
	v_and_b32_e32 v13, 7, v16
	v_cndmask_b32_e32 v0, v9, v0, vcc
	v_cndmask_b32_e32 v5, v5, v13, vcc
	v_lshlrev_b32_e32 v9, 24, v8
	v_lshlrev_b32_e32 v5, 20, v5
	v_and_b32_e32 v9, 0x80000000, v9
	v_lshl_add_u32 v0, v0, 23, v54
	v_or3_b32 v9, v9, v0, v5
.LBB4_7611:                             ;   in Loop: Header=BB4_6462 Depth=3
	s_or_b64 exec, exec, s[50:51]
.LBB4_7612:                             ;   in Loop: Header=BB4_6462 Depth=3
	s_or_b64 exec, exec, s[48:49]
.LBB4_7613:                             ;   in Loop: Header=BB4_6462 Depth=3
	s_or_b64 exec, exec, s[38:39]
	v_cmp_ne_u16_sdwa vcc, v2, v3 src0_sel:BYTE_0 src1_sel:DWORD
	s_and_saveexec_b64 s[38:39], vcc
	s_cbranch_execz .LBB4_7619
; %bb.7614:                             ;   in Loop: Header=BB4_6462 Depth=3
	v_cmp_ne_u16_sdwa vcc, v2, s80 src0_sel:BYTE_0 src1_sel:DWORD
	v_bfrev_b32_e32 v12, 1
	s_and_saveexec_b64 s[48:49], vcc
	s_cbranch_execz .LBB4_7618
; %bb.7615:                             ;   in Loop: Header=BB4_6462 Depth=3
	v_bfe_u32 v0, v10, 16, 7
	v_cmp_ne_u32_e32 vcc, s81, v0
	v_mov_b32_e32 v12, 0x7f800001
	s_and_saveexec_b64 s[50:51], vcc
	s_cbranch_execz .LBB4_7617
; %bb.7616:                             ;   in Loop: Header=BB4_6462 Depth=3
	v_and_b32_e32 v5, 7, v2
	v_lshrrev_b32_e32 v16, 3, v0
	v_cmp_gt_u32_e32 vcc, 8, v0
	v_ffbh_u32_e32 v0, v5
	v_min_u32_e32 v0, 32, v0
	v_subrev_u32_e32 v12, 28, v0
	v_lshlrev_b64 v[12:13], v12, v[2:3]
	v_sub_u32_e32 v0, 29, v0
	v_and_b32_e32 v12, 7, v12
	v_cndmask_b32_e32 v0, v16, v0, vcc
	v_cndmask_b32_e32 v5, v5, v12, vcc
	v_lshlrev_b32_e32 v12, 24, v2
	v_lshlrev_b32_e32 v5, 20, v5
	v_and_b32_e32 v12, 0x80000000, v12
	v_lshl_add_u32 v0, v0, 23, v54
	v_or3_b32 v12, v12, v0, v5
.LBB4_7617:                             ;   in Loop: Header=BB4_6462 Depth=3
	s_or_b64 exec, exec, s[50:51]
.LBB4_7618:                             ;   in Loop: Header=BB4_6462 Depth=3
	s_or_b64 exec, exec, s[48:49]
.LBB4_7619:                             ;   in Loop: Header=BB4_6462 Depth=3
	s_or_b64 exec, exec, s[38:39]
	v_max_f32_e32 v0, v12, v12
	v_max_f32_e32 v5, v9, v9
	;; [unrolled: 1-line block ×3, first 2 shown]
	s_mov_b64 s[38:39], 0
.LBB4_7620:                             ;   in Loop: Header=BB4_6462 Depth=3
	s_and_b64 vcc, exec, s[38:39]
	s_cbranch_vccz .LBB4_7634
; %bb.7621:                             ;   in Loop: Header=BB4_6462 Depth=3
	v_mov_b32_e32 v12, 0
	v_mov_b32_e32 v9, 0
	s_and_saveexec_b64 s[38:39], s[40:41]
	s_cbranch_execz .LBB4_7627
; %bb.7622:                             ;   in Loop: Header=BB4_6462 Depth=3
	v_cmp_ne_u16_sdwa vcc, v8, s80 src0_sel:BYTE_0 src1_sel:DWORD
	v_bfrev_b32_e32 v9, 1
	s_and_saveexec_b64 s[40:41], vcc
	s_cbranch_execz .LBB4_7626
; %bb.7623:                             ;   in Loop: Header=BB4_6462 Depth=3
	v_bfe_u32 v0, v14, 16, 7
	v_cmp_ne_u32_e32 vcc, s81, v0
	v_mov_b32_e32 v9, 0x7f800001
	s_and_saveexec_b64 s[48:49], vcc
	s_cbranch_execz .LBB4_7625
; %bb.7624:                             ;   in Loop: Header=BB4_6462 Depth=3
	v_and_b32_e32 v5, 7, v8
	v_lshrrev_b32_e32 v9, 3, v0
	v_cmp_gt_u32_e32 vcc, 8, v0
	v_ffbh_u32_e32 v0, v5
	v_min_u32_e32 v0, 32, v0
	v_subrev_u32_e32 v13, 28, v0
	v_lshlrev_b64 v[16:17], v13, v[8:9]
	v_sub_u32_e32 v0, 29, v0
	v_and_b32_e32 v13, 7, v16
	v_cndmask_b32_e32 v0, v9, v0, vcc
	v_cndmask_b32_e32 v5, v5, v13, vcc
	v_lshlrev_b32_e32 v8, 24, v8
	v_lshlrev_b32_e32 v5, 20, v5
	v_and_b32_e32 v8, 0x80000000, v8
	v_lshl_add_u32 v0, v0, 23, v54
	v_or3_b32 v9, v8, v0, v5
.LBB4_7625:                             ;   in Loop: Header=BB4_6462 Depth=3
	s_or_b64 exec, exec, s[48:49]
.LBB4_7626:                             ;   in Loop: Header=BB4_6462 Depth=3
	s_or_b64 exec, exec, s[40:41]
.LBB4_7627:                             ;   in Loop: Header=BB4_6462 Depth=3
	s_or_b64 exec, exec, s[38:39]
	v_cmp_ne_u16_sdwa vcc, v2, v3 src0_sel:BYTE_0 src1_sel:DWORD
	s_and_saveexec_b64 s[40:41], vcc
	s_cbranch_execz .LBB4_7633
; %bb.7628:                             ;   in Loop: Header=BB4_6462 Depth=3
	v_cmp_ne_u16_sdwa vcc, v2, s80 src0_sel:BYTE_0 src1_sel:DWORD
	v_bfrev_b32_e32 v12, 1
	s_and_saveexec_b64 s[38:39], vcc
	s_cbranch_execz .LBB4_7632
; %bb.7629:                             ;   in Loop: Header=BB4_6462 Depth=3
	v_bfe_u32 v0, v10, 16, 7
	v_cmp_ne_u32_e32 vcc, s81, v0
	v_mov_b32_e32 v12, 0x7f800001
	s_and_saveexec_b64 s[48:49], vcc
	s_cbranch_execz .LBB4_7631
; %bb.7630:                             ;   in Loop: Header=BB4_6462 Depth=3
	v_and_b32_e32 v5, 7, v2
	v_lshrrev_b32_e32 v8, 3, v0
	v_cmp_gt_u32_e32 vcc, 8, v0
	v_ffbh_u32_e32 v0, v5
	v_min_u32_e32 v0, 32, v0
	v_subrev_u32_e32 v12, 28, v0
	v_lshlrev_b64 v[12:13], v12, v[2:3]
	v_sub_u32_e32 v0, 29, v0
	v_and_b32_e32 v12, 7, v12
	v_cndmask_b32_e32 v0, v8, v0, vcc
	v_cndmask_b32_e32 v5, v5, v12, vcc
	v_lshlrev_b32_e32 v2, 24, v2
	v_lshlrev_b32_e32 v5, 20, v5
	v_and_b32_e32 v2, 0x80000000, v2
	v_lshl_add_u32 v0, v0, 23, v54
	v_or3_b32 v12, v2, v0, v5
.LBB4_7631:                             ;   in Loop: Header=BB4_6462 Depth=3
	s_or_b64 exec, exec, s[48:49]
.LBB4_7632:                             ;   in Loop: Header=BB4_6462 Depth=3
	s_or_b64 exec, exec, s[38:39]
.LBB4_7633:                             ;   in Loop: Header=BB4_6462 Depth=3
	s_or_b64 exec, exec, s[40:41]
	v_max_f32_e32 v0, v12, v12
	v_max_f32_e32 v2, v9, v9
	v_min_f32_e32 v9, v2, v0
.LBB4_7634:                             ;   in Loop: Header=BB4_6462 Depth=3
	v_and_b32_e32 v2, 0x7f800000, v9
	v_cmp_ne_u64_e32 vcc, s[76:77], v[2:3]
                                        ; implicit-def: $vgpr55
	s_and_saveexec_b64 s[40:41], vcc
	s_xor_b64 s[38:39], exec, s[40:41]
	s_cbranch_execz .LBB4_7648
; %bb.7635:                             ;   in Loop: Header=BB4_6462 Depth=3
	v_and_b32_e32 v2, 0x7fffffff, v9
	v_cmp_gt_u64_e32 vcc, s[78:79], v[2:3]
	v_and_b32_sdwa v16, v9, s80 dst_sel:DWORD dst_unused:UNUSED_PAD src0_sel:BYTE_3 src1_sel:DWORD
                                        ; implicit-def: $vgpr55
	s_and_saveexec_b64 s[40:41], vcc
	s_xor_b64 s[48:49], exec, s[40:41]
	s_cbranch_execz .LBB4_7645
; %bb.7636:                             ;   in Loop: Header=BB4_6462 Depth=3
	v_mov_b32_e32 v55, 0
	v_cmp_ne_u32_e32 vcc, 0, v9
	s_and_saveexec_b64 s[50:51], vcc
	s_cbranch_execz .LBB4_7644
; %bb.7637:                             ;   in Loop: Header=BB4_6462 Depth=3
	v_bfe_u32 v17, v9, 23, 8
	v_cmp_gt_u32_e64 s[40:41], s83, v17
	v_sub_u32_e32 v2, 0x79, v17
	v_and_b32_e32 v0, 0x7fffff, v9
	v_cmp_eq_u32_e32 vcc, 0, v17
	v_cndmask_b32_e64 v2, 0, v2, s[40:41]
	v_mov_b32_e32 v8, 0x78
	v_or_b32_e32 v5, 0x800000, v0
	v_cndmask_b32_e32 v55, v2, v8, vcc
	v_cndmask_b32_e32 v2, v5, v0, vcc
	v_add_u32_e32 v0, 20, v55
	v_lshlrev_b64 v[8:9], v0, -1
	v_add_u32_e32 v0, 19, v55
	v_lshlrev_b64 v[12:13], v0, 1
	v_bfi_b32 v9, v9, 0, 0
	v_bfi_b32 v8, v8, 0, v2
	v_cmp_eq_u64_e64 s[40:41], v[8:9], v[12:13]
	v_lshrrev_b64 v[8:9], v55, v[2:3]
	v_mov_b32_e32 v13, v9
	v_mov_b32_e32 v12, v8
	s_and_saveexec_b64 s[52:53], s[40:41]
; %bb.7638:                             ;   in Loop: Header=BB4_6462 Depth=3
	v_bfe_u32 v0, v8, 20, 1
	v_add_co_u32_e64 v0, s[40:41], v8, v0
	v_add_co_u32_e64 v12, s[40:41], -1, v0
; %bb.7639:                             ;   in Loop: Header=BB4_6462 Depth=3
	s_or_b64 exec, exec, s[52:53]
	v_add_u32_e32 v0, 0xffffff81, v17
	v_mov_b32_e32 v2, 0xffffff82
	v_cndmask_b32_e32 v0, v0, v2, vcc
	v_lshrrev_b32_e32 v2, 23, v8
	v_add3_u32 v13, v55, v0, v2
	v_add_u32_e32 v5, 6, v13
	v_and_b32_e32 v0, 0xfffff, v12
	v_add_u32_e32 v2, v0, v8
	v_cmp_ne_u32_e32 vcc, 0, v5
                                        ; implicit-def: $vgpr8_vgpr9
                                        ; implicit-def: $vgpr0
	s_and_saveexec_b64 s[40:41], vcc
	s_xor_b64 s[40:41], exec, s[40:41]
; %bb.7640:                             ;   in Loop: Header=BB4_6462 Depth=3
	v_cmp_lt_u64_e32 vcc, s[88:89], v[2:3]
	v_add_u32_e32 v0, 7, v13
	v_cndmask_b32_e32 v0, v5, v0, vcc
	v_cndmask_b32_e64 v5, 0, 1, vcc
	v_lshrrev_b64 v[8:9], v5, v[2:3]
; %bb.7641:                             ;   in Loop: Header=BB4_6462 Depth=3
	s_andn2_saveexec_b64 s[40:41], s[40:41]
; %bb.7642:                             ;   in Loop: Header=BB4_6462 Depth=3
	v_mov_b32_e32 v9, v3
	v_bfe_u32 v0, v2, 23, 1
	v_mov_b32_e32 v8, v2
; %bb.7643:                             ;   in Loop: Header=BB4_6462 Depth=3
	s_or_b64 exec, exec, s[40:41]
	v_lshrrev_b64 v[8:9], 20, v[8:9]
	v_cmp_gt_i32_e32 vcc, 16, v0
	v_cndmask_b32_e32 v9, 0, v9, vcc
	v_cndmask_b32_e32 v8, 7, v8, vcc
	v_cmp_eq_u32_e32 vcc, 0, v0
	v_min_i32_e32 v0, 15, v0
	v_cmp_eq_u64_e64 s[40:41], 0, v[8:9]
	v_lshlrev_b32_e32 v0, 3, v0
	v_and_b32_e32 v0, 0xf8, v0
	v_and_or_b32 v0, v8, 7, v0
	s_and_b64 s[40:41], vcc, s[40:41]
	v_cndmask_b32_e64 v0, v0, 0, s[40:41]
	v_or_b32_e32 v55, v0, v16
.LBB4_7644:                             ;   in Loop: Header=BB4_6462 Depth=3
	s_or_b64 exec, exec, s[50:51]
                                        ; implicit-def: $vgpr16
.LBB4_7645:                             ;   in Loop: Header=BB4_6462 Depth=3
	s_andn2_saveexec_b64 s[40:41], s[48:49]
; %bb.7646:                             ;   in Loop: Header=BB4_6462 Depth=3
	v_or_b32_e32 v55, 0x7e, v16
; %bb.7647:                             ;   in Loop: Header=BB4_6462 Depth=3
	s_or_b64 exec, exec, s[40:41]
                                        ; implicit-def: $vgpr9
.LBB4_7648:                             ;   in Loop: Header=BB4_6462 Depth=3
	s_andn2_saveexec_b64 s[40:41], s[38:39]
; %bb.7649:                             ;   in Loop: Header=BB4_6462 Depth=3
	v_or_b32_sdwa v55, v9, s81 dst_sel:DWORD dst_unused:UNUSED_PAD src0_sel:BYTE_3 src1_sel:DWORD
; %bb.7650:                             ;   in Loop: Header=BB4_6462 Depth=3
	s_or_b64 exec, exec, s[40:41]
	v_lshrrev_b32_e32 v8, 24, v14
	v_lshrrev_b32_e32 v2, 24, v10
	v_cmp_lt_u32_e64 s[40:41], s63, v14
	s_and_b64 vcc, exec, s[28:29]
	s_mov_b64 s[38:39], -1
                                        ; implicit-def: $vgpr9
	s_cbranch_vccnz .LBB4_7664
; %bb.7651:                             ;   in Loop: Header=BB4_6462 Depth=3
	v_mov_b32_e32 v12, 0
	v_mov_b32_e32 v9, 0
	s_and_saveexec_b64 s[38:39], s[40:41]
	s_cbranch_execz .LBB4_7657
; %bb.7652:                             ;   in Loop: Header=BB4_6462 Depth=3
	v_cmp_ne_u32_e32 vcc, s80, v8
	v_bfrev_b32_e32 v9, 1
	s_and_saveexec_b64 s[48:49], vcc
	s_cbranch_execz .LBB4_7656
; %bb.7653:                             ;   in Loop: Header=BB4_6462 Depth=3
	v_bfe_u32 v0, v14, 24, 7
	v_cmp_ne_u32_e32 vcc, s81, v0
	v_mov_b32_e32 v9, 0x7f800001
	s_and_saveexec_b64 s[50:51], vcc
	s_cbranch_execz .LBB4_7655
; %bb.7654:                             ;   in Loop: Header=BB4_6462 Depth=3
	v_and_b32_e32 v5, 7, v8
	v_lshrrev_b32_e32 v9, 3, v0
	v_cmp_gt_u32_e32 vcc, 8, v0
	v_ffbh_u32_e32 v0, v5
	v_min_u32_e32 v0, 32, v0
	v_subrev_u32_e32 v13, 28, v0
	v_lshlrev_b64 v[16:17], v13, v[8:9]
	v_sub_u32_e32 v0, 29, v0
	v_and_b32_e32 v13, 7, v16
	v_cndmask_b32_e32 v0, v9, v0, vcc
	v_cndmask_b32_e32 v5, v5, v13, vcc
	v_lshlrev_b32_e32 v9, 24, v8
	v_lshlrev_b32_e32 v5, 20, v5
	v_and_b32_e32 v9, 0x80000000, v9
	v_lshl_add_u32 v0, v0, 23, v54
	v_or3_b32 v9, v9, v0, v5
.LBB4_7655:                             ;   in Loop: Header=BB4_6462 Depth=3
	s_or_b64 exec, exec, s[50:51]
.LBB4_7656:                             ;   in Loop: Header=BB4_6462 Depth=3
	s_or_b64 exec, exec, s[48:49]
.LBB4_7657:                             ;   in Loop: Header=BB4_6462 Depth=3
	s_or_b64 exec, exec, s[38:39]
	v_cmp_lt_u32_e32 vcc, s63, v10
	s_and_saveexec_b64 s[38:39], vcc
	s_cbranch_execz .LBB4_7663
; %bb.7658:                             ;   in Loop: Header=BB4_6462 Depth=3
	v_cmp_ne_u32_e32 vcc, s80, v2
	v_bfrev_b32_e32 v12, 1
	s_and_saveexec_b64 s[48:49], vcc
	s_cbranch_execz .LBB4_7662
; %bb.7659:                             ;   in Loop: Header=BB4_6462 Depth=3
	v_bfe_u32 v0, v10, 24, 7
	v_cmp_ne_u32_e32 vcc, s81, v0
	v_mov_b32_e32 v12, 0x7f800001
	s_and_saveexec_b64 s[50:51], vcc
	s_cbranch_execz .LBB4_7661
; %bb.7660:                             ;   in Loop: Header=BB4_6462 Depth=3
	v_and_b32_e32 v5, 7, v2
	v_lshrrev_b32_e32 v16, 3, v0
	v_cmp_gt_u32_e32 vcc, 8, v0
	v_ffbh_u32_e32 v0, v5
	v_min_u32_e32 v0, 32, v0
	v_subrev_u32_e32 v12, 28, v0
	v_lshlrev_b64 v[12:13], v12, v[2:3]
	v_sub_u32_e32 v0, 29, v0
	v_and_b32_e32 v12, 7, v12
	v_cndmask_b32_e32 v0, v16, v0, vcc
	v_cndmask_b32_e32 v5, v5, v12, vcc
	v_lshlrev_b32_e32 v12, 24, v2
	v_lshlrev_b32_e32 v5, 20, v5
	v_and_b32_e32 v12, 0x80000000, v12
	v_lshl_add_u32 v0, v0, 23, v54
	v_or3_b32 v12, v12, v0, v5
.LBB4_7661:                             ;   in Loop: Header=BB4_6462 Depth=3
	s_or_b64 exec, exec, s[50:51]
.LBB4_7662:                             ;   in Loop: Header=BB4_6462 Depth=3
	s_or_b64 exec, exec, s[48:49]
.LBB4_7663:                             ;   in Loop: Header=BB4_6462 Depth=3
	s_or_b64 exec, exec, s[38:39]
	v_max_f32_e32 v0, v12, v12
	v_max_f32_e32 v5, v9, v9
	;; [unrolled: 1-line block ×3, first 2 shown]
	s_mov_b64 s[38:39], 0
.LBB4_7664:                             ;   in Loop: Header=BB4_6462 Depth=3
	s_and_b64 vcc, exec, s[38:39]
	s_cbranch_vccz .LBB4_7678
; %bb.7665:                             ;   in Loop: Header=BB4_6462 Depth=3
	v_mov_b32_e32 v12, 0
	v_mov_b32_e32 v9, 0
	s_and_saveexec_b64 s[38:39], s[40:41]
	s_cbranch_execz .LBB4_7671
; %bb.7666:                             ;   in Loop: Header=BB4_6462 Depth=3
	v_cmp_ne_u32_e32 vcc, s80, v8
	v_bfrev_b32_e32 v9, 1
	s_and_saveexec_b64 s[40:41], vcc
	s_cbranch_execz .LBB4_7670
; %bb.7667:                             ;   in Loop: Header=BB4_6462 Depth=3
	v_bfe_u32 v0, v14, 24, 7
	v_cmp_ne_u32_e32 vcc, s81, v0
	v_mov_b32_e32 v9, 0x7f800001
	s_and_saveexec_b64 s[48:49], vcc
	s_cbranch_execz .LBB4_7669
; %bb.7668:                             ;   in Loop: Header=BB4_6462 Depth=3
	v_and_b32_e32 v5, 7, v8
	v_lshrrev_b32_e32 v9, 3, v0
	v_cmp_gt_u32_e32 vcc, 8, v0
	v_ffbh_u32_e32 v0, v5
	v_min_u32_e32 v0, 32, v0
	v_subrev_u32_e32 v13, 28, v0
	v_lshlrev_b64 v[16:17], v13, v[8:9]
	v_sub_u32_e32 v0, 29, v0
	v_and_b32_e32 v13, 7, v16
	v_cndmask_b32_e32 v0, v9, v0, vcc
	v_cndmask_b32_e32 v5, v5, v13, vcc
	v_lshlrev_b32_e32 v8, 24, v8
	v_lshlrev_b32_e32 v5, 20, v5
	v_and_b32_e32 v8, 0x80000000, v8
	v_lshl_add_u32 v0, v0, 23, v54
	v_or3_b32 v9, v8, v0, v5
.LBB4_7669:                             ;   in Loop: Header=BB4_6462 Depth=3
	s_or_b64 exec, exec, s[48:49]
.LBB4_7670:                             ;   in Loop: Header=BB4_6462 Depth=3
	s_or_b64 exec, exec, s[40:41]
.LBB4_7671:                             ;   in Loop: Header=BB4_6462 Depth=3
	s_or_b64 exec, exec, s[38:39]
	v_cmp_lt_u32_e32 vcc, s63, v10
	s_and_saveexec_b64 s[40:41], vcc
	s_cbranch_execz .LBB4_7677
; %bb.7672:                             ;   in Loop: Header=BB4_6462 Depth=3
	v_cmp_ne_u32_e32 vcc, s80, v2
	v_bfrev_b32_e32 v12, 1
	s_and_saveexec_b64 s[38:39], vcc
	s_cbranch_execz .LBB4_7676
; %bb.7673:                             ;   in Loop: Header=BB4_6462 Depth=3
	v_bfe_u32 v0, v10, 24, 7
	v_cmp_ne_u32_e32 vcc, s81, v0
	v_mov_b32_e32 v12, 0x7f800001
	s_and_saveexec_b64 s[48:49], vcc
	s_cbranch_execz .LBB4_7675
; %bb.7674:                             ;   in Loop: Header=BB4_6462 Depth=3
	v_and_b32_e32 v5, 7, v2
	v_lshrrev_b32_e32 v8, 3, v0
	v_cmp_gt_u32_e32 vcc, 8, v0
	v_ffbh_u32_e32 v0, v5
	v_min_u32_e32 v0, 32, v0
	v_subrev_u32_e32 v12, 28, v0
	v_lshlrev_b64 v[12:13], v12, v[2:3]
	v_sub_u32_e32 v0, 29, v0
	v_and_b32_e32 v12, 7, v12
	v_cndmask_b32_e32 v0, v8, v0, vcc
	v_cndmask_b32_e32 v5, v5, v12, vcc
	v_lshlrev_b32_e32 v2, 24, v2
	v_lshlrev_b32_e32 v5, 20, v5
	v_and_b32_e32 v2, 0x80000000, v2
	v_lshl_add_u32 v0, v0, 23, v54
	v_or3_b32 v12, v2, v0, v5
.LBB4_7675:                             ;   in Loop: Header=BB4_6462 Depth=3
	s_or_b64 exec, exec, s[48:49]
.LBB4_7676:                             ;   in Loop: Header=BB4_6462 Depth=3
	s_or_b64 exec, exec, s[38:39]
.LBB4_7677:                             ;   in Loop: Header=BB4_6462 Depth=3
	s_or_b64 exec, exec, s[40:41]
	v_max_f32_e32 v0, v12, v12
	v_max_f32_e32 v2, v9, v9
	v_min_f32_e32 v9, v2, v0
.LBB4_7678:                             ;   in Loop: Header=BB4_6462 Depth=3
	v_and_b32_e32 v2, 0x7f800000, v9
	v_cmp_ne_u64_e32 vcc, s[76:77], v[2:3]
                                        ; implicit-def: $vgpr42
	s_and_saveexec_b64 s[40:41], vcc
	s_xor_b64 s[38:39], exec, s[40:41]
	s_cbranch_execz .LBB4_7692
; %bb.7679:                             ;   in Loop: Header=BB4_6462 Depth=3
	v_and_b32_e32 v2, 0x7fffffff, v9
	v_cmp_gt_u64_e32 vcc, s[78:79], v[2:3]
	v_and_b32_sdwa v16, v9, s80 dst_sel:DWORD dst_unused:UNUSED_PAD src0_sel:BYTE_3 src1_sel:DWORD
                                        ; implicit-def: $vgpr42
	s_and_saveexec_b64 s[40:41], vcc
	s_xor_b64 s[48:49], exec, s[40:41]
	s_cbranch_execz .LBB4_7689
; %bb.7680:                             ;   in Loop: Header=BB4_6462 Depth=3
	v_mov_b32_e32 v42, 0
	v_cmp_ne_u32_e32 vcc, 0, v9
	s_and_saveexec_b64 s[50:51], vcc
	s_cbranch_execz .LBB4_7688
; %bb.7681:                             ;   in Loop: Header=BB4_6462 Depth=3
	v_bfe_u32 v17, v9, 23, 8
	v_cmp_gt_u32_e64 s[40:41], s83, v17
	v_sub_u32_e32 v2, 0x79, v17
	v_and_b32_e32 v0, 0x7fffff, v9
	v_cmp_eq_u32_e32 vcc, 0, v17
	v_cndmask_b32_e64 v2, 0, v2, s[40:41]
	v_mov_b32_e32 v8, 0x78
	v_or_b32_e32 v5, 0x800000, v0
	v_cndmask_b32_e32 v42, v2, v8, vcc
	v_cndmask_b32_e32 v2, v5, v0, vcc
	v_add_u32_e32 v0, 20, v42
	v_lshlrev_b64 v[8:9], v0, -1
	v_add_u32_e32 v0, 19, v42
	v_lshlrev_b64 v[12:13], v0, 1
	v_bfi_b32 v9, v9, 0, 0
	v_bfi_b32 v8, v8, 0, v2
	v_cmp_eq_u64_e64 s[40:41], v[8:9], v[12:13]
	v_lshrrev_b64 v[8:9], v42, v[2:3]
	v_mov_b32_e32 v13, v9
	v_mov_b32_e32 v12, v8
	s_and_saveexec_b64 s[52:53], s[40:41]
; %bb.7682:                             ;   in Loop: Header=BB4_6462 Depth=3
	v_bfe_u32 v0, v8, 20, 1
	v_add_co_u32_e64 v0, s[40:41], v8, v0
	v_add_co_u32_e64 v12, s[40:41], -1, v0
; %bb.7683:                             ;   in Loop: Header=BB4_6462 Depth=3
	s_or_b64 exec, exec, s[52:53]
	v_add_u32_e32 v0, 0xffffff81, v17
	v_mov_b32_e32 v2, 0xffffff82
	v_cndmask_b32_e32 v0, v0, v2, vcc
	v_lshrrev_b32_e32 v2, 23, v8
	v_add3_u32 v13, v42, v0, v2
	v_add_u32_e32 v5, 6, v13
	v_and_b32_e32 v0, 0xfffff, v12
	v_add_u32_e32 v2, v0, v8
	v_cmp_ne_u32_e32 vcc, 0, v5
                                        ; implicit-def: $vgpr8_vgpr9
                                        ; implicit-def: $vgpr0
	s_and_saveexec_b64 s[40:41], vcc
	s_xor_b64 s[40:41], exec, s[40:41]
; %bb.7684:                             ;   in Loop: Header=BB4_6462 Depth=3
	v_cmp_lt_u64_e32 vcc, s[88:89], v[2:3]
	v_add_u32_e32 v0, 7, v13
	v_cndmask_b32_e32 v0, v5, v0, vcc
	v_cndmask_b32_e64 v5, 0, 1, vcc
	v_lshrrev_b64 v[8:9], v5, v[2:3]
; %bb.7685:                             ;   in Loop: Header=BB4_6462 Depth=3
	s_andn2_saveexec_b64 s[40:41], s[40:41]
; %bb.7686:                             ;   in Loop: Header=BB4_6462 Depth=3
	v_mov_b32_e32 v9, v3
	v_bfe_u32 v0, v2, 23, 1
	v_mov_b32_e32 v8, v2
; %bb.7687:                             ;   in Loop: Header=BB4_6462 Depth=3
	s_or_b64 exec, exec, s[40:41]
	v_lshrrev_b64 v[8:9], 20, v[8:9]
	v_cmp_gt_i32_e32 vcc, 16, v0
	v_cndmask_b32_e32 v9, 0, v9, vcc
	v_cndmask_b32_e32 v8, 7, v8, vcc
	v_cmp_eq_u32_e32 vcc, 0, v0
	v_min_i32_e32 v0, 15, v0
	v_cmp_eq_u64_e64 s[40:41], 0, v[8:9]
	v_lshlrev_b32_e32 v0, 3, v0
	v_and_b32_e32 v0, 0xf8, v0
	v_and_or_b32 v0, v8, 7, v0
	s_and_b64 s[40:41], vcc, s[40:41]
	v_cndmask_b32_e64 v0, v0, 0, s[40:41]
	v_or_b32_e32 v42, v0, v16
.LBB4_7688:                             ;   in Loop: Header=BB4_6462 Depth=3
	s_or_b64 exec, exec, s[50:51]
                                        ; implicit-def: $vgpr16
.LBB4_7689:                             ;   in Loop: Header=BB4_6462 Depth=3
	s_andn2_saveexec_b64 s[40:41], s[48:49]
; %bb.7690:                             ;   in Loop: Header=BB4_6462 Depth=3
	v_or_b32_e32 v42, 0x7e, v16
; %bb.7691:                             ;   in Loop: Header=BB4_6462 Depth=3
	s_or_b64 exec, exec, s[40:41]
                                        ; implicit-def: $vgpr9
.LBB4_7692:                             ;   in Loop: Header=BB4_6462 Depth=3
	s_andn2_saveexec_b64 s[40:41], s[38:39]
; %bb.7693:                             ;   in Loop: Header=BB4_6462 Depth=3
	v_or_b32_sdwa v42, v9, s81 dst_sel:DWORD dst_unused:UNUSED_PAD src0_sel:BYTE_3 src1_sel:DWORD
; %bb.7694:                             ;   in Loop: Header=BB4_6462 Depth=3
	s_or_b64 exec, exec, s[40:41]
	v_mov_b32_e32 v2, v15
	v_mov_b32_e32 v8, v11
	;; [unrolled: 1-line block ×3, first 2 shown]
	v_cmp_ne_u16_sdwa s[40:41], v15, v3 src0_sel:BYTE_0 src1_sel:DWORD
	s_and_b64 vcc, exec, s[28:29]
	s_mov_b64 s[38:39], -1
                                        ; implicit-def: $vgpr12
	s_cbranch_vccnz .LBB4_7708
; %bb.7695:                             ;   in Loop: Header=BB4_6462 Depth=3
	v_mov_b32_e32 v13, 0
	v_mov_b32_e32 v12, 0
	s_and_saveexec_b64 s[38:39], s[40:41]
	s_cbranch_execz .LBB4_7701
; %bb.7696:                             ;   in Loop: Header=BB4_6462 Depth=3
	v_cmp_ne_u16_sdwa vcc, v15, s80 src0_sel:BYTE_0 src1_sel:DWORD
	v_bfrev_b32_e32 v12, 1
	s_and_saveexec_b64 s[48:49], vcc
	s_cbranch_execz .LBB4_7700
; %bb.7697:                             ;   in Loop: Header=BB4_6462 Depth=3
	v_and_b32_e32 v0, 0x7f, v15
	v_cmp_ne_u32_e32 vcc, s81, v0
	v_mov_b32_e32 v12, 0x7f800001
	s_and_saveexec_b64 s[50:51], vcc
	s_cbranch_execz .LBB4_7699
; %bb.7698:                             ;   in Loop: Header=BB4_6462 Depth=3
	v_and_b32_e32 v5, 7, v15
	v_lshrrev_b32_e32 v12, 3, v0
	v_cmp_gt_u32_e32 vcc, 8, v0
	v_ffbh_u32_e32 v0, v5
	v_min_u32_e32 v0, 32, v0
	v_subrev_u32_e32 v5, 28, v0
	v_cndmask_b32_e32 v5, 0, v5, vcc
	v_lshlrev_b64 v[16:17], v5, v[2:3]
	v_sub_u32_e32 v0, 29, v0
	v_cndmask_b32_e32 v0, v12, v0, vcc
	v_lshlrev_b32_e32 v5, 20, v16
	v_lshlrev_b32_e32 v12, 24, v2
	v_and_b32_e32 v5, 0x700000, v5
	v_and_b32_e32 v12, 0x80000000, v12
	v_lshl_add_u32 v0, v0, 23, v54
	v_or3_b32 v12, v12, v0, v5
.LBB4_7699:                             ;   in Loop: Header=BB4_6462 Depth=3
	s_or_b64 exec, exec, s[50:51]
.LBB4_7700:                             ;   in Loop: Header=BB4_6462 Depth=3
	s_or_b64 exec, exec, s[48:49]
.LBB4_7701:                             ;   in Loop: Header=BB4_6462 Depth=3
	s_or_b64 exec, exec, s[38:39]
	v_cmp_ne_u16_sdwa vcc, v11, v3 src0_sel:BYTE_0 src1_sel:DWORD
	s_and_saveexec_b64 s[38:39], vcc
	s_cbranch_execz .LBB4_7707
; %bb.7702:                             ;   in Loop: Header=BB4_6462 Depth=3
	v_cmp_ne_u16_sdwa vcc, v11, s80 src0_sel:BYTE_0 src1_sel:DWORD
	v_bfrev_b32_e32 v13, 1
	s_and_saveexec_b64 s[48:49], vcc
	s_cbranch_execz .LBB4_7706
; %bb.7703:                             ;   in Loop: Header=BB4_6462 Depth=3
	v_and_b32_e32 v0, 0x7f, v11
	v_cmp_ne_u32_e32 vcc, s81, v0
	v_mov_b32_e32 v13, 0x7f800001
	s_and_saveexec_b64 s[50:51], vcc
	s_cbranch_execz .LBB4_7705
; %bb.7704:                             ;   in Loop: Header=BB4_6462 Depth=3
	v_and_b32_e32 v5, 7, v11
	v_lshrrev_b32_e32 v13, 3, v0
	v_cmp_gt_u32_e32 vcc, 8, v0
	v_ffbh_u32_e32 v0, v5
	v_min_u32_e32 v0, 32, v0
	v_subrev_u32_e32 v5, 28, v0
	v_cndmask_b32_e32 v5, 0, v5, vcc
	v_lshlrev_b64 v[16:17], v5, v[8:9]
	v_sub_u32_e32 v0, 29, v0
	v_cndmask_b32_e32 v0, v13, v0, vcc
	v_lshlrev_b32_e32 v5, 20, v16
	v_lshlrev_b32_e32 v13, 24, v8
	v_and_b32_e32 v5, 0x700000, v5
	v_and_b32_e32 v13, 0x80000000, v13
	v_lshl_add_u32 v0, v0, 23, v54
	v_or3_b32 v13, v13, v0, v5
.LBB4_7705:                             ;   in Loop: Header=BB4_6462 Depth=3
	s_or_b64 exec, exec, s[50:51]
.LBB4_7706:                             ;   in Loop: Header=BB4_6462 Depth=3
	s_or_b64 exec, exec, s[48:49]
.LBB4_7707:                             ;   in Loop: Header=BB4_6462 Depth=3
	s_or_b64 exec, exec, s[38:39]
	v_max_f32_e32 v0, v13, v13
	v_max_f32_e32 v5, v12, v12
	;; [unrolled: 1-line block ×3, first 2 shown]
	s_mov_b64 s[38:39], 0
.LBB4_7708:                             ;   in Loop: Header=BB4_6462 Depth=3
	s_and_b64 vcc, exec, s[38:39]
	s_cbranch_vccz .LBB4_7722
; %bb.7709:                             ;   in Loop: Header=BB4_6462 Depth=3
	v_mov_b32_e32 v13, 0
	v_mov_b32_e32 v12, 0
	s_and_saveexec_b64 s[38:39], s[40:41]
	s_cbranch_execz .LBB4_7715
; %bb.7710:                             ;   in Loop: Header=BB4_6462 Depth=3
	v_cmp_ne_u16_sdwa vcc, v15, s80 src0_sel:BYTE_0 src1_sel:DWORD
	v_bfrev_b32_e32 v12, 1
	s_and_saveexec_b64 s[40:41], vcc
	s_cbranch_execz .LBB4_7714
; %bb.7711:                             ;   in Loop: Header=BB4_6462 Depth=3
	v_and_b32_e32 v0, 0x7f, v15
	v_cmp_ne_u32_e32 vcc, s81, v0
	v_mov_b32_e32 v12, 0x7f800001
	s_and_saveexec_b64 s[48:49], vcc
	s_cbranch_execz .LBB4_7713
; %bb.7712:                             ;   in Loop: Header=BB4_6462 Depth=3
	v_and_b32_e32 v5, 7, v15
	v_lshrrev_b32_e32 v12, 3, v0
	v_cmp_gt_u32_e32 vcc, 8, v0
	v_ffbh_u32_e32 v0, v5
	v_min_u32_e32 v0, 32, v0
	v_subrev_u32_e32 v5, 28, v0
	v_cndmask_b32_e32 v5, 0, v5, vcc
	v_lshlrev_b64 v[16:17], v5, v[2:3]
	v_sub_u32_e32 v0, 29, v0
	v_cndmask_b32_e32 v0, v12, v0, vcc
	v_lshlrev_b32_e32 v5, 20, v16
	v_lshlrev_b32_e32 v12, 24, v2
	v_and_b32_e32 v5, 0x700000, v5
	v_and_b32_e32 v12, 0x80000000, v12
	v_lshl_add_u32 v0, v0, 23, v54
	v_or3_b32 v12, v12, v0, v5
.LBB4_7713:                             ;   in Loop: Header=BB4_6462 Depth=3
	s_or_b64 exec, exec, s[48:49]
.LBB4_7714:                             ;   in Loop: Header=BB4_6462 Depth=3
	s_or_b64 exec, exec, s[40:41]
.LBB4_7715:                             ;   in Loop: Header=BB4_6462 Depth=3
	s_or_b64 exec, exec, s[38:39]
	v_cmp_ne_u16_sdwa vcc, v11, v3 src0_sel:BYTE_0 src1_sel:DWORD
	s_and_saveexec_b64 s[40:41], vcc
	s_cbranch_execz .LBB4_7721
; %bb.7716:                             ;   in Loop: Header=BB4_6462 Depth=3
	v_cmp_ne_u16_sdwa vcc, v11, s80 src0_sel:BYTE_0 src1_sel:DWORD
	v_bfrev_b32_e32 v13, 1
	s_and_saveexec_b64 s[38:39], vcc
	s_cbranch_execz .LBB4_7720
; %bb.7717:                             ;   in Loop: Header=BB4_6462 Depth=3
	v_and_b32_e32 v0, 0x7f, v11
	v_cmp_ne_u32_e32 vcc, s81, v0
	v_mov_b32_e32 v13, 0x7f800001
	s_and_saveexec_b64 s[48:49], vcc
	s_cbranch_execz .LBB4_7719
; %bb.7718:                             ;   in Loop: Header=BB4_6462 Depth=3
	v_and_b32_e32 v5, 7, v11
	v_lshrrev_b32_e32 v13, 3, v0
	v_cmp_gt_u32_e32 vcc, 8, v0
	v_ffbh_u32_e32 v0, v5
	v_min_u32_e32 v0, 32, v0
	v_subrev_u32_e32 v5, 28, v0
	v_cndmask_b32_e32 v5, 0, v5, vcc
	v_lshlrev_b64 v[16:17], v5, v[8:9]
	v_sub_u32_e32 v0, 29, v0
	v_cndmask_b32_e32 v0, v13, v0, vcc
	v_lshlrev_b32_e32 v5, 20, v16
	v_lshlrev_b32_e32 v9, 24, v8
	v_and_b32_e32 v5, 0x700000, v5
	v_and_b32_e32 v9, 0x80000000, v9
	v_lshl_add_u32 v0, v0, 23, v54
	v_or3_b32 v13, v9, v0, v5
.LBB4_7719:                             ;   in Loop: Header=BB4_6462 Depth=3
	s_or_b64 exec, exec, s[48:49]
.LBB4_7720:                             ;   in Loop: Header=BB4_6462 Depth=3
	s_or_b64 exec, exec, s[38:39]
.LBB4_7721:                             ;   in Loop: Header=BB4_6462 Depth=3
	s_or_b64 exec, exec, s[40:41]
	v_max_f32_e32 v0, v13, v13
	v_max_f32_e32 v5, v12, v12
	v_min_f32_e32 v12, v5, v0
.LBB4_7722:                             ;   in Loop: Header=BB4_6462 Depth=3
	v_and_b32_e32 v16, 0x7f800000, v12
	v_mov_b32_e32 v17, v3
	v_cmp_ne_u64_e32 vcc, s[76:77], v[16:17]
                                        ; implicit-def: $vgpr16
	s_and_saveexec_b64 s[40:41], vcc
	s_xor_b64 s[38:39], exec, s[40:41]
	s_cbranch_execz .LBB4_7736
; %bb.7723:                             ;   in Loop: Header=BB4_6462 Depth=3
	v_and_b32_e32 v16, 0x7fffffff, v12
	v_mov_b32_e32 v17, v3
	v_cmp_gt_u64_e32 vcc, s[78:79], v[16:17]
	v_and_b32_sdwa v9, v12, s80 dst_sel:DWORD dst_unused:UNUSED_PAD src0_sel:BYTE_3 src1_sel:DWORD
                                        ; implicit-def: $vgpr16
	s_and_saveexec_b64 s[40:41], vcc
	s_xor_b64 s[48:49], exec, s[40:41]
	s_cbranch_execz .LBB4_7733
; %bb.7724:                             ;   in Loop: Header=BB4_6462 Depth=3
	v_mov_b32_e32 v16, 0
	v_cmp_ne_u32_e32 vcc, 0, v12
	s_and_saveexec_b64 s[50:51], vcc
	s_cbranch_execz .LBB4_7732
; %bb.7725:                             ;   in Loop: Header=BB4_6462 Depth=3
	v_bfe_u32 v44, v12, 23, 8
	v_cmp_gt_u32_e64 s[40:41], s83, v44
	v_sub_u32_e32 v5, 0x79, v44
	v_and_b32_e32 v0, 0x7fffff, v12
	v_cmp_eq_u32_e32 vcc, 0, v44
	v_cndmask_b32_e64 v5, 0, v5, s[40:41]
	v_mov_b32_e32 v13, 0x78
	v_or_b32_e32 v12, 0x800000, v0
	v_cndmask_b32_e32 v61, v5, v13, vcc
	v_cndmask_b32_e32 v12, v12, v0, vcc
	v_add_u32_e32 v0, 20, v61
	v_lshlrev_b64 v[16:17], v0, -1
	v_mov_b32_e32 v13, v3
	v_add_u32_e32 v0, 19, v61
	v_bfi_b32 v16, v16, 0, v12
	v_lshlrev_b64 v[50:51], v0, 1
	v_lshrrev_b64 v[12:13], v61, v[12:13]
	v_bfi_b32 v17, v17, 0, 0
	v_cmp_eq_u64_e64 s[40:41], v[16:17], v[50:51]
	v_mov_b32_e32 v17, v13
	v_mov_b32_e32 v16, v12
	s_and_saveexec_b64 s[52:53], s[40:41]
; %bb.7726:                             ;   in Loop: Header=BB4_6462 Depth=3
	v_bfe_u32 v0, v12, 20, 1
	v_add_co_u32_e64 v0, s[40:41], v12, v0
	v_add_co_u32_e64 v16, s[40:41], -1, v0
; %bb.7727:                             ;   in Loop: Header=BB4_6462 Depth=3
	s_or_b64 exec, exec, s[52:53]
	v_add_u32_e32 v0, 0xffffff81, v44
	v_mov_b32_e32 v5, 0xffffff82
	v_cndmask_b32_e32 v0, v0, v5, vcc
	v_lshrrev_b32_e32 v5, 23, v12
	v_add3_u32 v17, v61, v0, v5
	v_add_u32_e32 v5, 6, v17
	v_and_b32_e32 v0, 0xfffff, v16
	v_add_u32_e32 v12, v0, v12
	v_mov_b32_e32 v13, v3
	v_cmp_ne_u32_e32 vcc, 0, v5
                                        ; implicit-def: $vgpr0
	s_and_saveexec_b64 s[40:41], vcc
	s_xor_b64 s[40:41], exec, s[40:41]
; %bb.7728:                             ;   in Loop: Header=BB4_6462 Depth=3
	v_cmp_lt_u64_e32 vcc, s[88:89], v[12:13]
	v_add_u32_e32 v0, 7, v17
	v_cndmask_b32_e32 v0, v5, v0, vcc
	v_cndmask_b32_e64 v5, 0, 1, vcc
	v_lshrrev_b64 v[12:13], v5, v[12:13]
; %bb.7729:                             ;   in Loop: Header=BB4_6462 Depth=3
	s_andn2_saveexec_b64 s[40:41], s[40:41]
; %bb.7730:                             ;   in Loop: Header=BB4_6462 Depth=3
	v_bfe_u32 v0, v12, 23, 1
; %bb.7731:                             ;   in Loop: Header=BB4_6462 Depth=3
	s_or_b64 exec, exec, s[40:41]
	v_lshrrev_b64 v[12:13], 20, v[12:13]
	v_cmp_gt_i32_e32 vcc, 16, v0
	v_cndmask_b32_e32 v13, 0, v13, vcc
	v_cndmask_b32_e32 v12, 7, v12, vcc
	v_cmp_eq_u32_e32 vcc, 0, v0
	v_min_i32_e32 v0, 15, v0
	v_cmp_eq_u64_e64 s[40:41], 0, v[12:13]
	v_lshlrev_b32_e32 v0, 3, v0
	v_and_b32_e32 v0, 0xf8, v0
	v_and_or_b32 v0, v12, 7, v0
	s_and_b64 s[40:41], vcc, s[40:41]
	v_cndmask_b32_e64 v0, v0, 0, s[40:41]
	v_or_b32_e32 v16, v0, v9
.LBB4_7732:                             ;   in Loop: Header=BB4_6462 Depth=3
	s_or_b64 exec, exec, s[50:51]
                                        ; implicit-def: $vgpr9
.LBB4_7733:                             ;   in Loop: Header=BB4_6462 Depth=3
	s_andn2_saveexec_b64 s[40:41], s[48:49]
; %bb.7734:                             ;   in Loop: Header=BB4_6462 Depth=3
	v_or_b32_e32 v16, 0x7e, v9
; %bb.7735:                             ;   in Loop: Header=BB4_6462 Depth=3
	s_or_b64 exec, exec, s[40:41]
                                        ; implicit-def: $vgpr12
.LBB4_7736:                             ;   in Loop: Header=BB4_6462 Depth=3
	s_andn2_saveexec_b64 s[40:41], s[38:39]
; %bb.7737:                             ;   in Loop: Header=BB4_6462 Depth=3
	v_or_b32_sdwa v16, v12, s81 dst_sel:DWORD dst_unused:UNUSED_PAD src0_sel:BYTE_3 src1_sel:DWORD
; %bb.7738:                             ;   in Loop: Header=BB4_6462 Depth=3
	s_or_b64 exec, exec, s[40:41]
	v_lshrrev_b16_e32 v12, 8, v2
	v_lshrrev_b16_e32 v9, 8, v8
	v_cmp_ne_u16_e64 s[40:41], 0, v12
	s_and_b64 vcc, exec, s[28:29]
	s_mov_b64 s[38:39], -1
                                        ; implicit-def: $vgpr13
	s_cbranch_vccnz .LBB4_7752
; %bb.7739:                             ;   in Loop: Header=BB4_6462 Depth=3
	v_mov_b32_e32 v17, 0
	v_mov_b32_e32 v13, 0
	s_and_saveexec_b64 s[38:39], s[40:41]
	s_cbranch_execz .LBB4_7745
; %bb.7740:                             ;   in Loop: Header=BB4_6462 Depth=3
	v_cmp_ne_u16_e32 vcc, s80, v12
	v_bfrev_b32_e32 v13, 1
	s_and_saveexec_b64 s[48:49], vcc
	s_cbranch_execz .LBB4_7744
; %bb.7741:                             ;   in Loop: Header=BB4_6462 Depth=3
	v_and_b32_e32 v0, 0x7f, v12
	v_cmp_ne_u32_e32 vcc, s81, v0
	v_mov_b32_e32 v13, 0x7f800001
	s_and_saveexec_b64 s[50:51], vcc
	s_cbranch_execz .LBB4_7743
; %bb.7742:                             ;   in Loop: Header=BB4_6462 Depth=3
	v_and_b32_e32 v5, 7, v12
	v_lshrrev_b32_e32 v13, 3, v0
	v_cmp_gt_u32_e32 vcc, 8, v0
	v_ffbh_u32_e32 v0, v5
	v_min_u32_e32 v0, 32, v0
	v_subrev_u32_e32 v50, 28, v0
	v_lshlrev_b64 v[50:51], v50, v[12:13]
	v_sub_u32_e32 v0, 29, v0
	v_and_b32_e32 v50, 7, v50
	v_cndmask_b32_e32 v0, v13, v0, vcc
	v_cndmask_b32_e32 v5, v5, v50, vcc
	v_lshlrev_b32_e32 v13, 16, v2
	v_lshlrev_b32_e32 v5, 20, v5
	v_and_b32_e32 v13, 0x80000000, v13
	v_lshl_add_u32 v0, v0, 23, v54
	v_or3_b32 v13, v13, v0, v5
.LBB4_7743:                             ;   in Loop: Header=BB4_6462 Depth=3
	s_or_b64 exec, exec, s[50:51]
.LBB4_7744:                             ;   in Loop: Header=BB4_6462 Depth=3
	s_or_b64 exec, exec, s[48:49]
.LBB4_7745:                             ;   in Loop: Header=BB4_6462 Depth=3
	s_or_b64 exec, exec, s[38:39]
	v_cmp_ne_u16_e32 vcc, 0, v9
	s_and_saveexec_b64 s[38:39], vcc
	s_cbranch_execz .LBB4_7751
; %bb.7746:                             ;   in Loop: Header=BB4_6462 Depth=3
	v_cmp_ne_u16_e32 vcc, s80, v9
	v_bfrev_b32_e32 v17, 1
	s_and_saveexec_b64 s[48:49], vcc
	s_cbranch_execz .LBB4_7750
; %bb.7747:                             ;   in Loop: Header=BB4_6462 Depth=3
	v_and_b32_e32 v0, 0x7f, v9
	v_cmp_ne_u32_e32 vcc, s81, v0
	v_mov_b32_e32 v17, 0x7f800001
	s_and_saveexec_b64 s[50:51], vcc
	s_cbranch_execz .LBB4_7749
; %bb.7748:                             ;   in Loop: Header=BB4_6462 Depth=3
	v_and_b32_e32 v5, 7, v9
	v_lshrrev_b32_e32 v17, 3, v0
	v_cmp_gt_u32_e32 vcc, 8, v0
	v_ffbh_u32_e32 v0, v5
	v_min_u32_e32 v0, 32, v0
	v_subrev_u32_e32 v50, 28, v0
	v_lshlrev_b64 v[50:51], v50, v[9:10]
	v_sub_u32_e32 v0, 29, v0
	v_and_b32_e32 v50, 7, v50
	v_cndmask_b32_e32 v0, v17, v0, vcc
	v_cndmask_b32_e32 v5, v5, v50, vcc
	v_lshlrev_b32_e32 v17, 16, v8
	v_lshlrev_b32_e32 v5, 20, v5
	v_and_b32_e32 v17, 0x80000000, v17
	v_lshl_add_u32 v0, v0, 23, v54
	v_or3_b32 v17, v17, v0, v5
.LBB4_7749:                             ;   in Loop: Header=BB4_6462 Depth=3
	s_or_b64 exec, exec, s[50:51]
.LBB4_7750:                             ;   in Loop: Header=BB4_6462 Depth=3
	s_or_b64 exec, exec, s[48:49]
.LBB4_7751:                             ;   in Loop: Header=BB4_6462 Depth=3
	s_or_b64 exec, exec, s[38:39]
	v_max_f32_e32 v0, v17, v17
	v_max_f32_e32 v5, v13, v13
	;; [unrolled: 1-line block ×3, first 2 shown]
	s_mov_b64 s[38:39], 0
.LBB4_7752:                             ;   in Loop: Header=BB4_6462 Depth=3
	s_and_b64 vcc, exec, s[38:39]
	s_cbranch_vccz .LBB4_7766
; %bb.7753:                             ;   in Loop: Header=BB4_6462 Depth=3
	v_mov_b32_e32 v17, 0
	v_mov_b32_e32 v13, 0
	s_and_saveexec_b64 s[38:39], s[40:41]
	s_cbranch_execz .LBB4_7759
; %bb.7754:                             ;   in Loop: Header=BB4_6462 Depth=3
	v_cmp_ne_u16_e32 vcc, s80, v12
	v_bfrev_b32_e32 v13, 1
	s_and_saveexec_b64 s[40:41], vcc
	s_cbranch_execz .LBB4_7758
; %bb.7755:                             ;   in Loop: Header=BB4_6462 Depth=3
	v_and_b32_e32 v0, 0x7f, v12
	v_cmp_ne_u32_e32 vcc, s81, v0
	v_mov_b32_e32 v13, 0x7f800001
	s_and_saveexec_b64 s[48:49], vcc
	s_cbranch_execz .LBB4_7757
; %bb.7756:                             ;   in Loop: Header=BB4_6462 Depth=3
	v_and_b32_e32 v5, 7, v12
	v_lshrrev_b32_e32 v50, 3, v0
	v_cmp_gt_u32_e32 vcc, 8, v0
	v_ffbh_u32_e32 v0, v5
	v_min_u32_e32 v0, 32, v0
	v_subrev_u32_e32 v13, 28, v0
	v_lshlrev_b64 v[12:13], v13, v[12:13]
	v_sub_u32_e32 v0, 29, v0
	v_and_b32_e32 v12, 7, v12
	v_cndmask_b32_e32 v0, v50, v0, vcc
	v_cndmask_b32_e32 v5, v5, v12, vcc
	v_lshlrev_b32_e32 v2, 16, v2
	v_lshlrev_b32_e32 v5, 20, v5
	v_and_b32_e32 v2, 0x80000000, v2
	v_lshl_add_u32 v0, v0, 23, v54
	v_or3_b32 v13, v2, v0, v5
.LBB4_7757:                             ;   in Loop: Header=BB4_6462 Depth=3
	s_or_b64 exec, exec, s[48:49]
.LBB4_7758:                             ;   in Loop: Header=BB4_6462 Depth=3
	s_or_b64 exec, exec, s[40:41]
.LBB4_7759:                             ;   in Loop: Header=BB4_6462 Depth=3
	s_or_b64 exec, exec, s[38:39]
	v_cmp_ne_u16_e32 vcc, 0, v9
	s_and_saveexec_b64 s[40:41], vcc
	s_cbranch_execz .LBB4_7765
; %bb.7760:                             ;   in Loop: Header=BB4_6462 Depth=3
	v_cmp_ne_u16_e32 vcc, s80, v9
	v_bfrev_b32_e32 v17, 1
	s_and_saveexec_b64 s[38:39], vcc
	s_cbranch_execz .LBB4_7764
; %bb.7761:                             ;   in Loop: Header=BB4_6462 Depth=3
	v_and_b32_e32 v0, 0x7f, v9
	v_cmp_ne_u32_e32 vcc, s81, v0
	v_mov_b32_e32 v17, 0x7f800001
	s_and_saveexec_b64 s[48:49], vcc
	s_cbranch_execz .LBB4_7763
; %bb.7762:                             ;   in Loop: Header=BB4_6462 Depth=3
	v_and_b32_e32 v2, 7, v9
	v_lshrrev_b32_e32 v5, 3, v0
	v_cmp_gt_u32_e32 vcc, 8, v0
	v_ffbh_u32_e32 v0, v2
	v_min_u32_e32 v0, 32, v0
	v_subrev_u32_e32 v12, 28, v0
	v_lshlrev_b64 v[50:51], v12, v[9:10]
	v_sub_u32_e32 v0, 29, v0
	v_and_b32_e32 v9, 7, v50
	v_cndmask_b32_e32 v0, v5, v0, vcc
	v_cndmask_b32_e32 v2, v2, v9, vcc
	v_lshlrev_b32_e32 v5, 16, v8
	v_lshlrev_b32_e32 v2, 20, v2
	v_and_b32_e32 v5, 0x80000000, v5
	v_lshl_add_u32 v0, v0, 23, v54
	v_or3_b32 v17, v5, v0, v2
.LBB4_7763:                             ;   in Loop: Header=BB4_6462 Depth=3
	s_or_b64 exec, exec, s[48:49]
.LBB4_7764:                             ;   in Loop: Header=BB4_6462 Depth=3
	s_or_b64 exec, exec, s[38:39]
.LBB4_7765:                             ;   in Loop: Header=BB4_6462 Depth=3
	s_or_b64 exec, exec, s[40:41]
	v_max_f32_e32 v0, v17, v17
	v_max_f32_e32 v2, v13, v13
	v_min_f32_e32 v13, v2, v0
.LBB4_7766:                             ;   in Loop: Header=BB4_6462 Depth=3
	v_and_b32_e32 v2, 0x7f800000, v13
	v_cmp_ne_u64_e32 vcc, s[76:77], v[2:3]
                                        ; implicit-def: $vgpr17
	s_and_saveexec_b64 s[40:41], vcc
	s_xor_b64 s[38:39], exec, s[40:41]
	s_cbranch_execz .LBB4_7780
; %bb.7767:                             ;   in Loop: Header=BB4_6462 Depth=3
	v_and_b32_e32 v2, 0x7fffffff, v13
	v_cmp_gt_u64_e32 vcc, s[78:79], v[2:3]
	v_and_b32_sdwa v44, v13, s80 dst_sel:DWORD dst_unused:UNUSED_PAD src0_sel:BYTE_3 src1_sel:DWORD
                                        ; implicit-def: $vgpr17
	s_and_saveexec_b64 s[40:41], vcc
	s_xor_b64 s[48:49], exec, s[40:41]
	s_cbranch_execz .LBB4_7777
; %bb.7768:                             ;   in Loop: Header=BB4_6462 Depth=3
	v_mov_b32_e32 v17, 0
	v_cmp_ne_u32_e32 vcc, 0, v13
	s_and_saveexec_b64 s[50:51], vcc
	s_cbranch_execz .LBB4_7776
; %bb.7769:                             ;   in Loop: Header=BB4_6462 Depth=3
	v_bfe_u32 v17, v13, 23, 8
	v_cmp_gt_u32_e64 s[40:41], s83, v17
	v_sub_u32_e32 v2, 0x79, v17
	v_and_b32_e32 v0, 0x7fffff, v13
	v_cmp_eq_u32_e32 vcc, 0, v17
	v_cndmask_b32_e64 v2, 0, v2, s[40:41]
	v_mov_b32_e32 v8, 0x78
	v_or_b32_e32 v5, 0x800000, v0
	v_cndmask_b32_e32 v61, v2, v8, vcc
	v_cndmask_b32_e32 v2, v5, v0, vcc
	v_add_u32_e32 v0, 20, v61
	v_lshlrev_b64 v[8:9], v0, -1
	v_add_u32_e32 v0, 19, v61
	v_lshlrev_b64 v[12:13], v0, 1
	v_bfi_b32 v9, v9, 0, 0
	v_bfi_b32 v8, v8, 0, v2
	v_cmp_eq_u64_e64 s[40:41], v[8:9], v[12:13]
	v_lshrrev_b64 v[8:9], v61, v[2:3]
	v_mov_b32_e32 v13, v9
	v_mov_b32_e32 v12, v8
	s_and_saveexec_b64 s[52:53], s[40:41]
; %bb.7770:                             ;   in Loop: Header=BB4_6462 Depth=3
	v_bfe_u32 v0, v8, 20, 1
	v_add_co_u32_e64 v0, s[40:41], v8, v0
	v_add_co_u32_e64 v12, s[40:41], -1, v0
; %bb.7771:                             ;   in Loop: Header=BB4_6462 Depth=3
	s_or_b64 exec, exec, s[52:53]
	v_add_u32_e32 v0, 0xffffff81, v17
	v_mov_b32_e32 v2, 0xffffff82
	v_cndmask_b32_e32 v0, v0, v2, vcc
	v_lshrrev_b32_e32 v2, 23, v8
	v_add3_u32 v13, v61, v0, v2
	v_add_u32_e32 v5, 6, v13
	v_and_b32_e32 v0, 0xfffff, v12
	v_add_u32_e32 v2, v0, v8
	v_cmp_ne_u32_e32 vcc, 0, v5
                                        ; implicit-def: $vgpr8_vgpr9
                                        ; implicit-def: $vgpr0
	s_and_saveexec_b64 s[40:41], vcc
	s_xor_b64 s[40:41], exec, s[40:41]
; %bb.7772:                             ;   in Loop: Header=BB4_6462 Depth=3
	v_cmp_lt_u64_e32 vcc, s[88:89], v[2:3]
	v_add_u32_e32 v0, 7, v13
	v_cndmask_b32_e32 v0, v5, v0, vcc
	v_cndmask_b32_e64 v5, 0, 1, vcc
	v_lshrrev_b64 v[8:9], v5, v[2:3]
; %bb.7773:                             ;   in Loop: Header=BB4_6462 Depth=3
	s_andn2_saveexec_b64 s[40:41], s[40:41]
; %bb.7774:                             ;   in Loop: Header=BB4_6462 Depth=3
	v_mov_b32_e32 v9, v3
	v_bfe_u32 v0, v2, 23, 1
	v_mov_b32_e32 v8, v2
; %bb.7775:                             ;   in Loop: Header=BB4_6462 Depth=3
	s_or_b64 exec, exec, s[40:41]
	v_lshrrev_b64 v[8:9], 20, v[8:9]
	v_cmp_gt_i32_e32 vcc, 16, v0
	v_cndmask_b32_e32 v9, 0, v9, vcc
	v_cndmask_b32_e32 v8, 7, v8, vcc
	v_cmp_eq_u32_e32 vcc, 0, v0
	v_min_i32_e32 v0, 15, v0
	v_cmp_eq_u64_e64 s[40:41], 0, v[8:9]
	v_lshlrev_b32_e32 v0, 3, v0
	v_and_b32_e32 v0, 0xf8, v0
	v_and_or_b32 v0, v8, 7, v0
	s_and_b64 s[40:41], vcc, s[40:41]
	v_cndmask_b32_e64 v0, v0, 0, s[40:41]
	v_or_b32_e32 v17, v0, v44
.LBB4_7776:                             ;   in Loop: Header=BB4_6462 Depth=3
	s_or_b64 exec, exec, s[50:51]
                                        ; implicit-def: $vgpr44
.LBB4_7777:                             ;   in Loop: Header=BB4_6462 Depth=3
	s_andn2_saveexec_b64 s[40:41], s[48:49]
; %bb.7778:                             ;   in Loop: Header=BB4_6462 Depth=3
	v_or_b32_e32 v17, 0x7e, v44
; %bb.7779:                             ;   in Loop: Header=BB4_6462 Depth=3
	s_or_b64 exec, exec, s[40:41]
                                        ; implicit-def: $vgpr13
.LBB4_7780:                             ;   in Loop: Header=BB4_6462 Depth=3
	s_andn2_saveexec_b64 s[40:41], s[38:39]
; %bb.7781:                             ;   in Loop: Header=BB4_6462 Depth=3
	v_or_b32_sdwa v17, v13, s81 dst_sel:DWORD dst_unused:UNUSED_PAD src0_sel:BYTE_3 src1_sel:DWORD
; %bb.7782:                             ;   in Loop: Header=BB4_6462 Depth=3
	s_or_b64 exec, exec, s[40:41]
	v_lshrrev_b32_e32 v8, 16, v15
	v_lshrrev_b32_e32 v2, 16, v11
	v_cmp_ne_u16_sdwa s[40:41], v8, v3 src0_sel:BYTE_0 src1_sel:DWORD
	s_and_b64 vcc, exec, s[28:29]
	s_mov_b64 s[38:39], -1
                                        ; implicit-def: $vgpr9
	s_cbranch_vccnz .LBB4_7796
; %bb.7783:                             ;   in Loop: Header=BB4_6462 Depth=3
	v_mov_b32_e32 v12, 0
	v_mov_b32_e32 v9, 0
	s_and_saveexec_b64 s[38:39], s[40:41]
	s_cbranch_execz .LBB4_7789
; %bb.7784:                             ;   in Loop: Header=BB4_6462 Depth=3
	v_cmp_ne_u16_sdwa vcc, v8, s80 src0_sel:BYTE_0 src1_sel:DWORD
	v_bfrev_b32_e32 v9, 1
	s_and_saveexec_b64 s[48:49], vcc
	s_cbranch_execz .LBB4_7788
; %bb.7785:                             ;   in Loop: Header=BB4_6462 Depth=3
	v_bfe_u32 v0, v15, 16, 7
	v_cmp_ne_u32_e32 vcc, s81, v0
	v_mov_b32_e32 v9, 0x7f800001
	s_and_saveexec_b64 s[50:51], vcc
	s_cbranch_execz .LBB4_7787
; %bb.7786:                             ;   in Loop: Header=BB4_6462 Depth=3
	v_and_b32_e32 v5, 7, v8
	v_lshrrev_b32_e32 v9, 3, v0
	v_cmp_gt_u32_e32 vcc, 8, v0
	v_ffbh_u32_e32 v0, v5
	v_min_u32_e32 v0, 32, v0
	v_subrev_u32_e32 v13, 28, v0
	v_lshlrev_b64 v[50:51], v13, v[8:9]
	v_sub_u32_e32 v0, 29, v0
	v_and_b32_e32 v13, 7, v50
	v_cndmask_b32_e32 v0, v9, v0, vcc
	v_cndmask_b32_e32 v5, v5, v13, vcc
	v_lshlrev_b32_e32 v9, 24, v8
	v_lshlrev_b32_e32 v5, 20, v5
	v_and_b32_e32 v9, 0x80000000, v9
	v_lshl_add_u32 v0, v0, 23, v54
	v_or3_b32 v9, v9, v0, v5
.LBB4_7787:                             ;   in Loop: Header=BB4_6462 Depth=3
	s_or_b64 exec, exec, s[50:51]
.LBB4_7788:                             ;   in Loop: Header=BB4_6462 Depth=3
	s_or_b64 exec, exec, s[48:49]
.LBB4_7789:                             ;   in Loop: Header=BB4_6462 Depth=3
	s_or_b64 exec, exec, s[38:39]
	v_cmp_ne_u16_sdwa vcc, v2, v3 src0_sel:BYTE_0 src1_sel:DWORD
	s_and_saveexec_b64 s[38:39], vcc
	s_cbranch_execz .LBB4_7795
; %bb.7790:                             ;   in Loop: Header=BB4_6462 Depth=3
	v_cmp_ne_u16_sdwa vcc, v2, s80 src0_sel:BYTE_0 src1_sel:DWORD
	v_bfrev_b32_e32 v12, 1
	s_and_saveexec_b64 s[48:49], vcc
	s_cbranch_execz .LBB4_7794
; %bb.7791:                             ;   in Loop: Header=BB4_6462 Depth=3
	v_bfe_u32 v0, v11, 16, 7
	v_cmp_ne_u32_e32 vcc, s81, v0
	v_mov_b32_e32 v12, 0x7f800001
	s_and_saveexec_b64 s[50:51], vcc
	s_cbranch_execz .LBB4_7793
; %bb.7792:                             ;   in Loop: Header=BB4_6462 Depth=3
	v_and_b32_e32 v5, 7, v2
	v_lshrrev_b32_e32 v50, 3, v0
	v_cmp_gt_u32_e32 vcc, 8, v0
	v_ffbh_u32_e32 v0, v5
	v_min_u32_e32 v0, 32, v0
	v_subrev_u32_e32 v12, 28, v0
	v_lshlrev_b64 v[12:13], v12, v[2:3]
	v_sub_u32_e32 v0, 29, v0
	v_and_b32_e32 v12, 7, v12
	v_cndmask_b32_e32 v0, v50, v0, vcc
	v_cndmask_b32_e32 v5, v5, v12, vcc
	v_lshlrev_b32_e32 v12, 24, v2
	v_lshlrev_b32_e32 v5, 20, v5
	v_and_b32_e32 v12, 0x80000000, v12
	v_lshl_add_u32 v0, v0, 23, v54
	v_or3_b32 v12, v12, v0, v5
.LBB4_7793:                             ;   in Loop: Header=BB4_6462 Depth=3
	s_or_b64 exec, exec, s[50:51]
.LBB4_7794:                             ;   in Loop: Header=BB4_6462 Depth=3
	s_or_b64 exec, exec, s[48:49]
.LBB4_7795:                             ;   in Loop: Header=BB4_6462 Depth=3
	s_or_b64 exec, exec, s[38:39]
	v_max_f32_e32 v0, v12, v12
	v_max_f32_e32 v5, v9, v9
	;; [unrolled: 1-line block ×3, first 2 shown]
	s_mov_b64 s[38:39], 0
.LBB4_7796:                             ;   in Loop: Header=BB4_6462 Depth=3
	s_and_b64 vcc, exec, s[38:39]
	s_cbranch_vccz .LBB4_7810
; %bb.7797:                             ;   in Loop: Header=BB4_6462 Depth=3
	v_mov_b32_e32 v12, 0
	v_mov_b32_e32 v9, 0
	s_and_saveexec_b64 s[38:39], s[40:41]
	s_cbranch_execz .LBB4_7803
; %bb.7798:                             ;   in Loop: Header=BB4_6462 Depth=3
	v_cmp_ne_u16_sdwa vcc, v8, s80 src0_sel:BYTE_0 src1_sel:DWORD
	v_bfrev_b32_e32 v9, 1
	s_and_saveexec_b64 s[40:41], vcc
	s_cbranch_execz .LBB4_7802
; %bb.7799:                             ;   in Loop: Header=BB4_6462 Depth=3
	v_bfe_u32 v0, v15, 16, 7
	v_cmp_ne_u32_e32 vcc, s81, v0
	v_mov_b32_e32 v9, 0x7f800001
	s_and_saveexec_b64 s[48:49], vcc
	s_cbranch_execz .LBB4_7801
; %bb.7800:                             ;   in Loop: Header=BB4_6462 Depth=3
	v_and_b32_e32 v5, 7, v8
	v_lshrrev_b32_e32 v9, 3, v0
	v_cmp_gt_u32_e32 vcc, 8, v0
	v_ffbh_u32_e32 v0, v5
	v_min_u32_e32 v0, 32, v0
	v_subrev_u32_e32 v13, 28, v0
	v_lshlrev_b64 v[50:51], v13, v[8:9]
	v_sub_u32_e32 v0, 29, v0
	v_and_b32_e32 v13, 7, v50
	v_cndmask_b32_e32 v0, v9, v0, vcc
	v_cndmask_b32_e32 v5, v5, v13, vcc
	v_lshlrev_b32_e32 v8, 24, v8
	v_lshlrev_b32_e32 v5, 20, v5
	v_and_b32_e32 v8, 0x80000000, v8
	v_lshl_add_u32 v0, v0, 23, v54
	v_or3_b32 v9, v8, v0, v5
.LBB4_7801:                             ;   in Loop: Header=BB4_6462 Depth=3
	s_or_b64 exec, exec, s[48:49]
.LBB4_7802:                             ;   in Loop: Header=BB4_6462 Depth=3
	s_or_b64 exec, exec, s[40:41]
.LBB4_7803:                             ;   in Loop: Header=BB4_6462 Depth=3
	s_or_b64 exec, exec, s[38:39]
	v_cmp_ne_u16_sdwa vcc, v2, v3 src0_sel:BYTE_0 src1_sel:DWORD
	s_and_saveexec_b64 s[40:41], vcc
	s_cbranch_execz .LBB4_7809
; %bb.7804:                             ;   in Loop: Header=BB4_6462 Depth=3
	v_cmp_ne_u16_sdwa vcc, v2, s80 src0_sel:BYTE_0 src1_sel:DWORD
	v_bfrev_b32_e32 v12, 1
	s_and_saveexec_b64 s[38:39], vcc
	s_cbranch_execz .LBB4_7808
; %bb.7805:                             ;   in Loop: Header=BB4_6462 Depth=3
	v_bfe_u32 v0, v11, 16, 7
	v_cmp_ne_u32_e32 vcc, s81, v0
	v_mov_b32_e32 v12, 0x7f800001
	s_and_saveexec_b64 s[48:49], vcc
	s_cbranch_execz .LBB4_7807
; %bb.7806:                             ;   in Loop: Header=BB4_6462 Depth=3
	v_and_b32_e32 v5, 7, v2
	v_lshrrev_b32_e32 v8, 3, v0
	v_cmp_gt_u32_e32 vcc, 8, v0
	v_ffbh_u32_e32 v0, v5
	v_min_u32_e32 v0, 32, v0
	v_subrev_u32_e32 v12, 28, v0
	v_lshlrev_b64 v[12:13], v12, v[2:3]
	v_sub_u32_e32 v0, 29, v0
	v_and_b32_e32 v12, 7, v12
	v_cndmask_b32_e32 v0, v8, v0, vcc
	v_cndmask_b32_e32 v5, v5, v12, vcc
	v_lshlrev_b32_e32 v2, 24, v2
	v_lshlrev_b32_e32 v5, 20, v5
	v_and_b32_e32 v2, 0x80000000, v2
	v_lshl_add_u32 v0, v0, 23, v54
	v_or3_b32 v12, v2, v0, v5
.LBB4_7807:                             ;   in Loop: Header=BB4_6462 Depth=3
	s_or_b64 exec, exec, s[48:49]
.LBB4_7808:                             ;   in Loop: Header=BB4_6462 Depth=3
	s_or_b64 exec, exec, s[38:39]
.LBB4_7809:                             ;   in Loop: Header=BB4_6462 Depth=3
	s_or_b64 exec, exec, s[40:41]
	v_max_f32_e32 v0, v12, v12
	v_max_f32_e32 v2, v9, v9
	v_min_f32_e32 v9, v2, v0
.LBB4_7810:                             ;   in Loop: Header=BB4_6462 Depth=3
	v_and_b32_e32 v2, 0x7f800000, v9
	v_cmp_ne_u64_e32 vcc, s[76:77], v[2:3]
                                        ; implicit-def: $vgpr12
	s_and_saveexec_b64 s[40:41], vcc
	s_xor_b64 s[38:39], exec, s[40:41]
	s_cbranch_execz .LBB4_7824
; %bb.7811:                             ;   in Loop: Header=BB4_6462 Depth=3
	v_and_b32_e32 v2, 0x7fffffff, v9
	v_cmp_gt_u64_e32 vcc, s[78:79], v[2:3]
	v_and_b32_sdwa v44, v9, s80 dst_sel:DWORD dst_unused:UNUSED_PAD src0_sel:BYTE_3 src1_sel:DWORD
                                        ; implicit-def: $vgpr12
	s_and_saveexec_b64 s[40:41], vcc
	s_xor_b64 s[48:49], exec, s[40:41]
	s_cbranch_execz .LBB4_7821
; %bb.7812:                             ;   in Loop: Header=BB4_6462 Depth=3
	v_mov_b32_e32 v12, 0
	v_cmp_ne_u32_e32 vcc, 0, v9
	s_and_saveexec_b64 s[50:51], vcc
	s_cbranch_execz .LBB4_7820
; %bb.7813:                             ;   in Loop: Header=BB4_6462 Depth=3
	v_bfe_u32 v61, v9, 23, 8
	v_cmp_gt_u32_e64 s[40:41], s83, v61
	v_sub_u32_e32 v2, 0x79, v61
	v_and_b32_e32 v0, 0x7fffff, v9
	v_cmp_eq_u32_e32 vcc, 0, v61
	v_cndmask_b32_e64 v2, 0, v2, s[40:41]
	v_mov_b32_e32 v5, 0x78
	v_or_b32_e32 v8, 0x800000, v0
	v_cndmask_b32_e32 v5, v2, v5, vcc
	v_cndmask_b32_e32 v2, v8, v0, vcc
	v_add_u32_e32 v0, 20, v5
	v_lshlrev_b64 v[8:9], v0, -1
	v_add_u32_e32 v0, 19, v5
	v_lshlrev_b64 v[12:13], v0, 1
	v_bfi_b32 v9, v9, 0, 0
	v_bfi_b32 v8, v8, 0, v2
	v_cmp_eq_u64_e64 s[40:41], v[8:9], v[12:13]
	v_lshrrev_b64 v[8:9], v5, v[2:3]
	v_mov_b32_e32 v13, v9
	v_mov_b32_e32 v12, v8
	s_and_saveexec_b64 s[52:53], s[40:41]
; %bb.7814:                             ;   in Loop: Header=BB4_6462 Depth=3
	v_bfe_u32 v0, v8, 20, 1
	v_add_co_u32_e64 v0, s[40:41], v8, v0
	v_add_co_u32_e64 v12, s[40:41], -1, v0
; %bb.7815:                             ;   in Loop: Header=BB4_6462 Depth=3
	s_or_b64 exec, exec, s[52:53]
	v_add_u32_e32 v0, 0xffffff81, v61
	v_mov_b32_e32 v2, 0xffffff82
	v_cndmask_b32_e32 v0, v0, v2, vcc
	v_lshrrev_b32_e32 v2, 23, v8
	v_add3_u32 v13, v5, v0, v2
	v_add_u32_e32 v5, 6, v13
	v_and_b32_e32 v0, 0xfffff, v12
	v_add_u32_e32 v2, v0, v8
	v_cmp_ne_u32_e32 vcc, 0, v5
                                        ; implicit-def: $vgpr8_vgpr9
                                        ; implicit-def: $vgpr0
	s_and_saveexec_b64 s[40:41], vcc
	s_xor_b64 s[40:41], exec, s[40:41]
; %bb.7816:                             ;   in Loop: Header=BB4_6462 Depth=3
	v_cmp_lt_u64_e32 vcc, s[88:89], v[2:3]
	v_add_u32_e32 v0, 7, v13
	v_cndmask_b32_e32 v0, v5, v0, vcc
	v_cndmask_b32_e64 v5, 0, 1, vcc
	v_lshrrev_b64 v[8:9], v5, v[2:3]
; %bb.7817:                             ;   in Loop: Header=BB4_6462 Depth=3
	s_andn2_saveexec_b64 s[40:41], s[40:41]
; %bb.7818:                             ;   in Loop: Header=BB4_6462 Depth=3
	v_mov_b32_e32 v9, v3
	v_bfe_u32 v0, v2, 23, 1
	v_mov_b32_e32 v8, v2
; %bb.7819:                             ;   in Loop: Header=BB4_6462 Depth=3
	s_or_b64 exec, exec, s[40:41]
	v_lshrrev_b64 v[8:9], 20, v[8:9]
	v_cmp_gt_i32_e32 vcc, 16, v0
	v_cndmask_b32_e32 v9, 0, v9, vcc
	v_cndmask_b32_e32 v8, 7, v8, vcc
	v_cmp_eq_u32_e32 vcc, 0, v0
	v_min_i32_e32 v0, 15, v0
	v_cmp_eq_u64_e64 s[40:41], 0, v[8:9]
	v_lshlrev_b32_e32 v0, 3, v0
	v_and_b32_e32 v0, 0xf8, v0
	v_and_or_b32 v0, v8, 7, v0
	s_and_b64 s[40:41], vcc, s[40:41]
	v_cndmask_b32_e64 v0, v0, 0, s[40:41]
	v_or_b32_e32 v12, v0, v44
.LBB4_7820:                             ;   in Loop: Header=BB4_6462 Depth=3
	s_or_b64 exec, exec, s[50:51]
                                        ; implicit-def: $vgpr44
.LBB4_7821:                             ;   in Loop: Header=BB4_6462 Depth=3
	s_andn2_saveexec_b64 s[40:41], s[48:49]
; %bb.7822:                             ;   in Loop: Header=BB4_6462 Depth=3
	v_or_b32_e32 v12, 0x7e, v44
; %bb.7823:                             ;   in Loop: Header=BB4_6462 Depth=3
	s_or_b64 exec, exec, s[40:41]
                                        ; implicit-def: $vgpr9
.LBB4_7824:                             ;   in Loop: Header=BB4_6462 Depth=3
	s_andn2_saveexec_b64 s[40:41], s[38:39]
; %bb.7825:                             ;   in Loop: Header=BB4_6462 Depth=3
	v_or_b32_sdwa v12, v9, s81 dst_sel:DWORD dst_unused:UNUSED_PAD src0_sel:BYTE_3 src1_sel:DWORD
; %bb.7826:                             ;   in Loop: Header=BB4_6462 Depth=3
	s_or_b64 exec, exec, s[40:41]
	v_cmp_lt_u64_e64 s[40:41], s[62:63], v[14:15]
	v_lshrrev_b32_e32 v8, 24, v15
	v_lshrrev_b32_e32 v2, 24, v11
	s_and_b64 vcc, exec, s[28:29]
	s_mov_b64 s[28:29], -1
                                        ; implicit-def: $vgpr9
	s_cbranch_vccnz .LBB4_7840
; %bb.7827:                             ;   in Loop: Header=BB4_6462 Depth=3
	v_mov_b32_e32 v13, 0
	v_mov_b32_e32 v9, 0
	s_and_saveexec_b64 s[28:29], s[40:41]
	s_cbranch_execz .LBB4_7833
; %bb.7828:                             ;   in Loop: Header=BB4_6462 Depth=3
	v_cmp_ne_u32_e32 vcc, s80, v8
	v_bfrev_b32_e32 v9, 1
	s_and_saveexec_b64 s[38:39], vcc
	s_cbranch_execz .LBB4_7832
; %bb.7829:                             ;   in Loop: Header=BB4_6462 Depth=3
	v_bfe_u32 v0, v15, 24, 7
	v_cmp_ne_u32_e32 vcc, s81, v0
	v_mov_b32_e32 v9, 0x7f800001
	s_and_saveexec_b64 s[48:49], vcc
	s_cbranch_execz .LBB4_7831
; %bb.7830:                             ;   in Loop: Header=BB4_6462 Depth=3
	v_and_b32_e32 v5, 7, v8
	v_lshrrev_b32_e32 v9, 3, v0
	v_cmp_gt_u32_e32 vcc, 8, v0
	v_ffbh_u32_e32 v0, v5
	v_min_u32_e32 v0, 32, v0
	v_subrev_u32_e32 v14, 28, v0
	v_lshlrev_b64 v[50:51], v14, v[8:9]
	v_sub_u32_e32 v0, 29, v0
	v_and_b32_e32 v14, 7, v50
	v_cndmask_b32_e32 v0, v9, v0, vcc
	v_cndmask_b32_e32 v5, v5, v14, vcc
	v_lshlrev_b32_e32 v9, 24, v8
	v_lshlrev_b32_e32 v5, 20, v5
	v_and_b32_e32 v9, 0x80000000, v9
	v_lshl_add_u32 v0, v0, 23, v54
	v_or3_b32 v9, v9, v0, v5
.LBB4_7831:                             ;   in Loop: Header=BB4_6462 Depth=3
	s_or_b64 exec, exec, s[48:49]
.LBB4_7832:                             ;   in Loop: Header=BB4_6462 Depth=3
	s_or_b64 exec, exec, s[38:39]
.LBB4_7833:                             ;   in Loop: Header=BB4_6462 Depth=3
	s_or_b64 exec, exec, s[28:29]
	v_cmp_lt_u64_e32 vcc, s[62:63], v[10:11]
	s_and_saveexec_b64 s[28:29], vcc
	s_cbranch_execz .LBB4_7839
; %bb.7834:                             ;   in Loop: Header=BB4_6462 Depth=3
	v_cmp_ne_u32_e32 vcc, s80, v2
	v_bfrev_b32_e32 v13, 1
	s_and_saveexec_b64 s[38:39], vcc
	s_cbranch_execz .LBB4_7838
; %bb.7835:                             ;   in Loop: Header=BB4_6462 Depth=3
	v_bfe_u32 v0, v11, 24, 7
	v_cmp_ne_u32_e32 vcc, s81, v0
	v_mov_b32_e32 v13, 0x7f800001
	s_and_saveexec_b64 s[48:49], vcc
	s_cbranch_execz .LBB4_7837
; %bb.7836:                             ;   in Loop: Header=BB4_6462 Depth=3
	v_and_b32_e32 v5, 7, v2
	v_lshrrev_b32_e32 v50, 3, v0
	v_cmp_gt_u32_e32 vcc, 8, v0
	v_ffbh_u32_e32 v0, v5
	v_min_u32_e32 v0, 32, v0
	v_subrev_u32_e32 v13, 28, v0
	v_lshlrev_b64 v[13:14], v13, v[2:3]
	v_sub_u32_e32 v0, 29, v0
	v_and_b32_e32 v13, 7, v13
	v_cndmask_b32_e32 v0, v50, v0, vcc
	v_cndmask_b32_e32 v5, v5, v13, vcc
	v_lshlrev_b32_e32 v13, 24, v2
	v_lshlrev_b32_e32 v5, 20, v5
	v_and_b32_e32 v13, 0x80000000, v13
	v_lshl_add_u32 v0, v0, 23, v54
	v_or3_b32 v13, v13, v0, v5
.LBB4_7837:                             ;   in Loop: Header=BB4_6462 Depth=3
	s_or_b64 exec, exec, s[48:49]
.LBB4_7838:                             ;   in Loop: Header=BB4_6462 Depth=3
	s_or_b64 exec, exec, s[38:39]
.LBB4_7839:                             ;   in Loop: Header=BB4_6462 Depth=3
	s_or_b64 exec, exec, s[28:29]
	v_max_f32_e32 v0, v13, v13
	v_max_f32_e32 v5, v9, v9
	;; [unrolled: 1-line block ×3, first 2 shown]
	s_mov_b64 s[28:29], 0
.LBB4_7840:                             ;   in Loop: Header=BB4_6462 Depth=3
	s_and_b64 vcc, exec, s[28:29]
	s_cbranch_vccz .LBB4_7854
; %bb.7841:                             ;   in Loop: Header=BB4_6462 Depth=3
	v_mov_b32_e32 v13, 0
	v_mov_b32_e32 v9, 0
	s_and_saveexec_b64 s[28:29], s[40:41]
	s_cbranch_execz .LBB4_7847
; %bb.7842:                             ;   in Loop: Header=BB4_6462 Depth=3
	v_cmp_ne_u32_e32 vcc, s80, v8
	v_bfrev_b32_e32 v9, 1
	s_and_saveexec_b64 s[40:41], vcc
	s_cbranch_execz .LBB4_7846
; %bb.7843:                             ;   in Loop: Header=BB4_6462 Depth=3
	v_bfe_u32 v0, v15, 24, 7
	v_cmp_ne_u32_e32 vcc, s81, v0
	v_mov_b32_e32 v9, 0x7f800001
	s_and_saveexec_b64 s[38:39], vcc
	s_cbranch_execz .LBB4_7845
; %bb.7844:                             ;   in Loop: Header=BB4_6462 Depth=3
	v_and_b32_e32 v5, 7, v8
	v_lshrrev_b32_e32 v9, 3, v0
	v_cmp_gt_u32_e32 vcc, 8, v0
	v_ffbh_u32_e32 v0, v5
	v_min_u32_e32 v0, 32, v0
	v_subrev_u32_e32 v14, 28, v0
	v_lshlrev_b64 v[14:15], v14, v[8:9]
	v_sub_u32_e32 v0, 29, v0
	v_and_b32_e32 v14, 7, v14
	v_cndmask_b32_e32 v0, v9, v0, vcc
	v_cndmask_b32_e32 v5, v5, v14, vcc
	v_lshlrev_b32_e32 v8, 24, v8
	v_lshlrev_b32_e32 v5, 20, v5
	v_and_b32_e32 v8, 0x80000000, v8
	v_lshl_add_u32 v0, v0, 23, v54
	v_or3_b32 v9, v8, v0, v5
.LBB4_7845:                             ;   in Loop: Header=BB4_6462 Depth=3
	s_or_b64 exec, exec, s[38:39]
.LBB4_7846:                             ;   in Loop: Header=BB4_6462 Depth=3
	s_or_b64 exec, exec, s[40:41]
.LBB4_7847:                             ;   in Loop: Header=BB4_6462 Depth=3
	s_or_b64 exec, exec, s[28:29]
	v_cmp_lt_u64_e32 vcc, s[62:63], v[10:11]
	s_and_saveexec_b64 s[28:29], vcc
	s_cbranch_execz .LBB4_7853
; %bb.7848:                             ;   in Loop: Header=BB4_6462 Depth=3
	v_cmp_ne_u32_e32 vcc, s80, v2
	v_bfrev_b32_e32 v13, 1
	s_and_saveexec_b64 s[40:41], vcc
	s_cbranch_execz .LBB4_7852
; %bb.7849:                             ;   in Loop: Header=BB4_6462 Depth=3
	v_bfe_u32 v0, v11, 24, 7
	v_cmp_ne_u32_e32 vcc, s81, v0
	v_mov_b32_e32 v13, 0x7f800001
	s_and_saveexec_b64 s[38:39], vcc
	s_cbranch_execz .LBB4_7851
; %bb.7850:                             ;   in Loop: Header=BB4_6462 Depth=3
	v_and_b32_e32 v5, 7, v2
	v_lshrrev_b32_e32 v8, 3, v0
	v_cmp_gt_u32_e32 vcc, 8, v0
	v_ffbh_u32_e32 v0, v5
	v_min_u32_e32 v0, 32, v0
	v_subrev_u32_e32 v10, 28, v0
	v_lshlrev_b64 v[10:11], v10, v[2:3]
	v_sub_u32_e32 v0, 29, v0
	v_and_b32_e32 v10, 7, v10
	v_cndmask_b32_e32 v0, v8, v0, vcc
	v_cndmask_b32_e32 v5, v5, v10, vcc
	v_lshlrev_b32_e32 v2, 24, v2
	v_lshlrev_b32_e32 v5, 20, v5
	v_and_b32_e32 v2, 0x80000000, v2
	v_lshl_add_u32 v0, v0, 23, v54
	v_or3_b32 v13, v2, v0, v5
.LBB4_7851:                             ;   in Loop: Header=BB4_6462 Depth=3
	s_or_b64 exec, exec, s[38:39]
.LBB4_7852:                             ;   in Loop: Header=BB4_6462 Depth=3
	s_or_b64 exec, exec, s[40:41]
.LBB4_7853:                             ;   in Loop: Header=BB4_6462 Depth=3
	s_or_b64 exec, exec, s[28:29]
	v_max_f32_e32 v0, v13, v13
	v_max_f32_e32 v2, v9, v9
	v_min_f32_e32 v9, v2, v0
.LBB4_7854:                             ;   in Loop: Header=BB4_6462 Depth=3
	v_and_b32_e32 v2, 0x7f800000, v9
	v_cmp_ne_u64_e32 vcc, s[76:77], v[2:3]
                                        ; implicit-def: $vgpr2
	s_and_saveexec_b64 s[28:29], vcc
	s_xor_b64 s[40:41], exec, s[28:29]
	s_cbranch_execz .LBB4_7868
; %bb.7855:                             ;   in Loop: Header=BB4_6462 Depth=3
	v_and_b32_e32 v2, 0x7fffffff, v9
	v_cmp_gt_u64_e32 vcc, s[78:79], v[2:3]
	v_and_b32_sdwa v11, v9, s80 dst_sel:DWORD dst_unused:UNUSED_PAD src0_sel:BYTE_3 src1_sel:DWORD
                                        ; implicit-def: $vgpr2
	s_and_saveexec_b64 s[28:29], vcc
	s_xor_b64 s[38:39], exec, s[28:29]
	s_cbranch_execz .LBB4_7865
; %bb.7856:                             ;   in Loop: Header=BB4_6462 Depth=3
	v_mov_b32_e32 v2, 0
	v_cmp_ne_u32_e32 vcc, 0, v9
	s_and_saveexec_b64 s[48:49], vcc
	s_cbranch_execz .LBB4_7864
; %bb.7857:                             ;   in Loop: Header=BB4_6462 Depth=3
	v_bfe_u32 v13, v9, 23, 8
	v_cmp_gt_u32_e64 s[28:29], s83, v13
	v_sub_u32_e32 v2, 0x79, v13
	v_and_b32_e32 v0, 0x7fffff, v9
	v_cmp_eq_u32_e32 vcc, 0, v13
	v_cndmask_b32_e64 v2, 0, v2, s[28:29]
	v_mov_b32_e32 v5, 0x78
	v_or_b32_e32 v8, 0x800000, v0
	v_cndmask_b32_e32 v5, v2, v5, vcc
	v_cndmask_b32_e32 v2, v8, v0, vcc
	v_add_u32_e32 v0, 20, v5
	v_lshlrev_b64 v[8:9], v0, -1
	v_add_u32_e32 v0, 19, v5
	v_lshlrev_b64 v[14:15], v0, 1
	v_bfi_b32 v9, v9, 0, 0
	v_bfi_b32 v8, v8, 0, v2
	v_cmp_eq_u64_e64 s[28:29], v[8:9], v[14:15]
	v_lshrrev_b64 v[8:9], v5, v[2:3]
	v_mov_b32_e32 v10, v9
	v_mov_b32_e32 v9, v8
	s_and_saveexec_b64 s[50:51], s[28:29]
; %bb.7858:                             ;   in Loop: Header=BB4_6462 Depth=3
	v_bfe_u32 v0, v8, 20, 1
	v_add_co_u32_e64 v0, s[28:29], v8, v0
	v_add_co_u32_e64 v9, s[28:29], -1, v0
; %bb.7859:                             ;   in Loop: Header=BB4_6462 Depth=3
	s_or_b64 exec, exec, s[50:51]
	v_add_u32_e32 v0, 0xffffff81, v13
	v_mov_b32_e32 v2, 0xffffff82
	v_cndmask_b32_e32 v0, v0, v2, vcc
	v_lshrrev_b32_e32 v2, 23, v8
	v_add3_u32 v10, v5, v0, v2
	v_add_u32_e32 v5, 6, v10
	v_and_b32_e32 v0, 0xfffff, v9
	v_add_u32_e32 v2, v0, v8
	v_cmp_ne_u32_e32 vcc, 0, v5
                                        ; implicit-def: $vgpr8_vgpr9
                                        ; implicit-def: $vgpr0
	s_and_saveexec_b64 s[28:29], vcc
	s_xor_b64 s[28:29], exec, s[28:29]
; %bb.7860:                             ;   in Loop: Header=BB4_6462 Depth=3
	v_cmp_lt_u64_e32 vcc, s[88:89], v[2:3]
	v_add_u32_e32 v0, 7, v10
	v_cndmask_b32_e32 v0, v5, v0, vcc
	v_cndmask_b32_e64 v5, 0, 1, vcc
	v_lshrrev_b64 v[8:9], v5, v[2:3]
; %bb.7861:                             ;   in Loop: Header=BB4_6462 Depth=3
	s_andn2_saveexec_b64 s[28:29], s[28:29]
; %bb.7862:                             ;   in Loop: Header=BB4_6462 Depth=3
	v_mov_b32_e32 v9, v3
	v_bfe_u32 v0, v2, 23, 1
	v_mov_b32_e32 v8, v2
; %bb.7863:                             ;   in Loop: Header=BB4_6462 Depth=3
	s_or_b64 exec, exec, s[28:29]
	v_lshrrev_b64 v[8:9], 20, v[8:9]
	v_cmp_gt_i32_e32 vcc, 16, v0
	v_cndmask_b32_e32 v9, 0, v9, vcc
	v_cndmask_b32_e32 v8, 7, v8, vcc
	v_cmp_eq_u32_e32 vcc, 0, v0
	v_min_i32_e32 v0, 15, v0
	v_cmp_eq_u64_e64 s[28:29], 0, v[8:9]
	v_lshlrev_b32_e32 v0, 3, v0
	v_and_b32_e32 v0, 0xf8, v0
	v_and_or_b32 v0, v8, 7, v0
	s_and_b64 s[28:29], vcc, s[28:29]
	v_cndmask_b32_e64 v0, v0, 0, s[28:29]
	v_or_b32_e32 v2, v0, v11
.LBB4_7864:                             ;   in Loop: Header=BB4_6462 Depth=3
	s_or_b64 exec, exec, s[48:49]
                                        ; implicit-def: $vgpr11
.LBB4_7865:                             ;   in Loop: Header=BB4_6462 Depth=3
	s_andn2_saveexec_b64 s[28:29], s[38:39]
; %bb.7866:                             ;   in Loop: Header=BB4_6462 Depth=3
	v_or_b32_e32 v2, 0x7e, v11
; %bb.7867:                             ;   in Loop: Header=BB4_6462 Depth=3
	s_or_b64 exec, exec, s[28:29]
                                        ; implicit-def: $vgpr9
.LBB4_7868:                             ;   in Loop: Header=BB4_6462 Depth=3
	s_andn2_saveexec_b64 s[28:29], s[40:41]
	s_cbranch_execz .LBB4_6461
; %bb.7869:                             ;   in Loop: Header=BB4_6462 Depth=3
	v_or_b32_sdwa v2, v9, s81 dst_sel:DWORD dst_unused:UNUSED_PAD src0_sel:BYTE_3 src1_sel:DWORD
	s_branch .LBB4_6461
.LBB4_7870:                             ;   in Loop: Header=BB4_3419 Depth=2
	s_or_b64 exec, exec, s[44:45]
	buffer_load_dword v30, off, s[0:3], s33 offset:64 ; 4-byte Folded Reload
	buffer_load_dword v1, off, s[0:3], s33 offset:172 ; 4-byte Folded Reload
.LBB4_7871:                             ;   in Loop: Header=BB4_3419 Depth=2
	s_or_b64 exec, exec, s[42:43]
	buffer_load_dword v0, off, s[0:3], s33 offset:244 ; 4-byte Folded Reload
	s_waitcnt vmcnt(0)
	v_lshlrev_b32_e32 v26, 11, v1
	s_mov_b64 s[28:29], 0
	v_mov_b32_e32 v18, 0
                                        ; implicit-def: $vgpr5
                                        ; implicit-def: $vgpr7
	v_cmp_ne_u32_e32 vcc, v0, v26
	s_and_saveexec_b64 s[38:39], vcc
	s_cbranch_execz .LBB4_8581
; %bb.7872:                             ;   in Loop: Header=BB4_3419 Depth=2
	buffer_load_dword v0, off, s[0:3], s33 offset:244 ; 4-byte Folded Reload
	buffer_load_dword v1, off, s[0:3], s33 offset:196 ; 4-byte Folded Reload
	s_waitcnt vmcnt(0)
	v_sub_u32_e32 v2, v0, v26
	v_lshlrev_b32_e32 v0, 6, v4
	v_sub_u32_e32 v0, v1, v0
	v_ashrrev_i32_e32 v1, 31, v0
	v_lshrrev_b32_e32 v1, 26, v1
	v_add_u32_e32 v1, v0, v1
	v_ashrrev_i32_e32 v6, 6, v1
	v_and_b32_e32 v1, 0xffffffc0, v1
	v_sub_u32_e32 v4, v0, v1
	v_ashrrev_i32_e32 v1, 31, v2
	v_lshrrev_b32_e32 v1, 22, v1
	v_add_u32_e32 v1, v2, v1
	v_ashrrev_i32_e32 v7, 10, v1
	v_and_b32_e32 v1, 0xfffffc00, v1
	v_lshlrev_b32_e32 v0, 4, v4
	v_sub_u32_e32 v5, v2, v1
	v_lshl_add_u32 v0, v6, 10, v0
	v_cmp_lt_i32_e64 s[28:29], 15, v5
	v_sub_u32_e32 v27, v2, v0
	v_addc_co_u32_e64 v2, vcc, 0, v7, s[28:29]
	v_sub_u32_e32 v7, v2, v6
	v_cmp_lt_i32_e32 vcc, 15, v27
	s_and_saveexec_b64 s[48:49], vcc
	s_cbranch_execz .LBB4_8580
; %bb.7873:                             ;   in Loop: Header=BB4_3419 Depth=2
	v_add_u32_e32 v0, v0, v26
	s_trap 2
	ds_read_b64 v[8:9], v0
	buffer_load_dword v10, off, s[0:3], s33 offset:188 ; 4-byte Folded Reload
	buffer_load_dword v11, off, s[0:3], s33 offset:192 ; 4-byte Folded Reload
	v_ashrrev_i32_e32 v2, 31, v0
	s_bitcmp1_b32 s84, 0
	s_mov_b64 s[50:51], 0
	s_cselect_b64 s[52:53], -1, 0
	s_waitcnt vmcnt(0)
	v_add_co_u32_e32 v16, vcc, v0, v10
	v_addc_co_u32_e32 v17, vcc, v2, v11, vcc
	s_waitcnt lgkmcnt(0)
	v_add_co_u32_e32 v18, vcc, v8, v0
	v_addc_co_u32_e32 v19, vcc, v9, v2, vcc
	buffer_load_dword v8, off, s[0:3], s33 offset:208 ; 4-byte Folded Reload
	buffer_load_dword v9, off, s[0:3], s33 offset:212 ; 4-byte Folded Reload
	s_waitcnt vmcnt(1)
	v_add_co_u32_e32 v20, vcc, v0, v8
	s_waitcnt vmcnt(0)
	v_addc_co_u32_e32 v21, vcc, v2, v9, vcc
	s_branch .LBB4_7875
.LBB4_7874:                             ;   in Loop: Header=BB4_7875 Depth=3
	s_or_b64 exec, exec, s[40:41]
	v_lshl_or_b32 v0, v31, 8, v25
	v_lshlrev_b32_e32 v8, 16, v24
	v_lshlrev_b32_e32 v9, 24, v34
	v_or3_b32 v9, v0, v8, v9
	v_lshlrev_b32_e32 v8, 16, v30
	buffer_load_dword v30, off, s[0:3], s33 offset:64 ; 4-byte Folded Reload
	v_lshl_or_b32 v0, v29, 8, v28
	v_lshlrev_b32_e32 v6, 24, v6
	v_or3_b32 v8, v0, v8, v6
	v_lshl_or_b32 v0, v36, 8, v35
	v_lshlrev_b32_e32 v6, 16, v37
	v_lshlrev_b32_e32 v10, 24, v50
	v_or3_b32 v10, v0, v6, v10
	v_lshlrev_b32_e32 v0, 24, v2
	v_lshlrev_b32_e32 v2, 16, v12
	v_lshl_or_b32 v6, v23, 8, v22
	v_or3_b32 v11, v6, v2, v0
	global_store_dwordx4 v[20:21], v[8:11], off glc slc
	v_sub_u32_e32 v7, v7, v57
	s_waitcnt vmcnt(1)
	v_add_co_u32_e32 v16, vcc, v16, v30
	v_addc_co_u32_e32 v17, vcc, 0, v17, vcc
	v_add_co_u32_e32 v18, vcc, v18, v30
	v_addc_co_u32_e32 v19, vcc, 0, v19, vcc
	;; [unrolled: 2-line block ×3, first 2 shown]
	v_sub_u32_e32 v27, v27, v30
	v_cmp_gt_i32_e32 vcc, 16, v27
	s_or_b64 s[50:51], vcc, s[50:51]
	s_andn2_b64 exec, exec, s[50:51]
	s_cbranch_execz .LBB4_8579
.LBB4_7875:                             ;   Parent Loop BB4_47 Depth=1
                                        ;     Parent Loop BB4_3419 Depth=2
                                        ; =>    This Inner Loop Header: Depth=3
	global_load_dwordx4 v[8:11], v[16:17], off glc slc
	global_load_dwordx4 v[12:15], v[18:19], off glc slc
	s_mov_b64 s[44:45], -1
	s_waitcnt vmcnt(1)
	v_cmp_ne_u16_sdwa s[42:43], v8, v3 src0_sel:BYTE_0 src1_sel:DWORD
	s_waitcnt vmcnt(0)
	v_and_b32_e32 v0, 7, v12
	v_ffbh_u32_e32 v0, v0
	v_and_b32_e32 v2, 0x7f, v12
	v_min_u32_e32 v0, 32, v0
	v_cmp_eq_u32_e64 s[40:41], s81, v2
	v_cmp_gt_u32_e32 vcc, 8, v2
	v_subrev_u32_e32 v2, 28, v0
	v_cndmask_b32_e32 v2, 0, v2, vcc
	v_lshlrev_b64 v[22:23], v2, v[12:13]
	v_bfe_u32 v6, v12, 3, 4
	v_sub_u32_e32 v0, 29, v0
	v_cndmask_b32_e32 v0, v6, v0, vcc
	v_lshlrev_b32_e32 v2, 20, v22
	v_lshlrev_b32_e32 v6, 24, v12
	v_and_b32_e32 v2, 0x700000, v2
	v_and_b32_e32 v6, 0x80000000, v6
	v_lshl_add_u32 v0, v0, 23, v54
	v_or3_b32 v2, v6, v0, v2
	s_and_b64 vcc, exec, s[52:53]
                                        ; implicit-def: $vgpr22
	s_cbranch_vccz .LBB4_7889
; %bb.7876:                             ;   in Loop: Header=BB4_7875 Depth=3
	v_mov_b32_e32 v6, 0
	s_and_saveexec_b64 s[44:45], s[42:43]
	s_cbranch_execz .LBB4_7882
; %bb.7877:                             ;   in Loop: Header=BB4_7875 Depth=3
	v_cmp_ne_u16_sdwa vcc, v8, s80 src0_sel:BYTE_0 src1_sel:DWORD
	v_bfrev_b32_e32 v6, 1
	s_and_saveexec_b64 s[46:47], vcc
	s_cbranch_execz .LBB4_7881
; %bb.7878:                             ;   in Loop: Header=BB4_7875 Depth=3
	v_and_b32_e32 v0, 0x7f, v8
	v_cmp_ne_u32_e32 vcc, s81, v0
	v_mov_b32_e32 v6, 0x7f800001
	s_and_saveexec_b64 s[54:55], vcc
	s_cbranch_execz .LBB4_7880
; %bb.7879:                             ;   in Loop: Header=BB4_7875 Depth=3
	v_and_b32_e32 v6, 7, v8
	v_lshrrev_b32_e32 v22, 3, v0
	v_cmp_gt_u32_e32 vcc, 8, v0
	v_ffbh_u32_e32 v0, v6
	v_min_u32_e32 v0, 32, v0
	v_subrev_u32_e32 v6, 28, v0
	v_sub_u32_e32 v0, 29, v0
	v_cndmask_b32_e32 v6, 0, v6, vcc
	v_cndmask_b32_e32 v0, v22, v0, vcc
	v_lshlrev_b64 v[22:23], v6, v[8:9]
	v_lshl_add_u32 v0, v0, 23, v54
	v_lshlrev_b32_e32 v6, 20, v22
	v_lshlrev_b32_e32 v22, 24, v8
	v_and_b32_e32 v6, 0x700000, v6
	v_and_b32_e32 v22, 0x80000000, v22
	v_or3_b32 v6, v22, v0, v6
.LBB4_7880:                             ;   in Loop: Header=BB4_7875 Depth=3
	s_or_b64 exec, exec, s[54:55]
.LBB4_7881:                             ;   in Loop: Header=BB4_7875 Depth=3
	s_or_b64 exec, exec, s[46:47]
.LBB4_7882:                             ;   in Loop: Header=BB4_7875 Depth=3
	s_or_b64 exec, exec, s[44:45]
	v_cmp_gt_i16_sdwa s[46:47], v12, s81 src0_sel:BYTE_0 src1_sel:DWORD
	s_mov_b64 s[44:45], 0
	s_and_saveexec_b64 vcc, s[46:47]
	s_xor_b64 s[46:47], exec, vcc
	s_cbranch_execz .LBB4_8531
; %bb.7883:                             ;   in Loop: Header=BB4_7875 Depth=3
	v_cmp_eq_u16_sdwa s[54:55], v12, s80 src0_sel:BYTE_0 src1_sel:DWORD
	s_mov_b64 s[44:45], -1
	s_and_saveexec_b64 vcc, s[54:55]
; %bb.7884:                             ;   in Loop: Header=BB4_7875 Depth=3
	s_xor_b64 s[44:45], exec, -1
; %bb.7885:                             ;   in Loop: Header=BB4_7875 Depth=3
	s_or_b64 exec, exec, vcc
	s_and_b64 s[44:45], s[44:45], exec
	s_or_saveexec_b64 s[46:47], s[46:47]
	v_bfrev_b32_e32 v0, 1
	s_xor_b64 exec, exec, s[46:47]
	s_cbranch_execnz .LBB4_8532
.LBB4_7886:                             ;   in Loop: Header=BB4_7875 Depth=3
	s_or_b64 exec, exec, s[46:47]
	s_and_saveexec_b64 s[46:47], s[44:45]
.LBB4_7887:                             ;   in Loop: Header=BB4_7875 Depth=3
	v_mov_b32_e32 v0, 0x7f800001
	v_cndmask_b32_e64 v0, v2, v0, s[40:41]
.LBB4_7888:                             ;   in Loop: Header=BB4_7875 Depth=3
	s_or_b64 exec, exec, s[46:47]
	v_max_f32_e32 v0, v0, v0
	v_max_f32_e32 v6, v6, v6
	;; [unrolled: 1-line block ×3, first 2 shown]
	s_mov_b64 s[44:45], 0
.LBB4_7889:                             ;   in Loop: Header=BB4_7875 Depth=3
	s_and_b64 vcc, exec, s[44:45]
	s_cbranch_vccz .LBB4_7903
; %bb.7890:                             ;   in Loop: Header=BB4_7875 Depth=3
	v_mov_b32_e32 v6, 0
	s_and_saveexec_b64 s[44:45], s[42:43]
	s_cbranch_execz .LBB4_7896
; %bb.7891:                             ;   in Loop: Header=BB4_7875 Depth=3
	v_cmp_ne_u16_sdwa s[46:47], v8, s80 src0_sel:BYTE_0 src1_sel:DWORD
	v_bfrev_b32_e32 v6, 1
	s_and_saveexec_b64 s[42:43], s[46:47]
	s_cbranch_execz .LBB4_7895
; %bb.7892:                             ;   in Loop: Header=BB4_7875 Depth=3
	v_and_b32_e32 v0, 0x7f, v8
	v_cmp_ne_u32_e32 vcc, s81, v0
	v_mov_b32_e32 v6, 0x7f800001
	s_and_saveexec_b64 s[46:47], vcc
	s_cbranch_execz .LBB4_7894
; %bb.7893:                             ;   in Loop: Header=BB4_7875 Depth=3
	v_and_b32_e32 v6, 7, v8
	v_lshrrev_b32_e32 v22, 3, v0
	v_cmp_gt_u32_e32 vcc, 8, v0
	v_ffbh_u32_e32 v0, v6
	v_min_u32_e32 v0, 32, v0
	v_subrev_u32_e32 v6, 28, v0
	v_sub_u32_e32 v0, 29, v0
	v_cndmask_b32_e32 v6, 0, v6, vcc
	v_cndmask_b32_e32 v0, v22, v0, vcc
	v_lshlrev_b64 v[22:23], v6, v[8:9]
	v_lshl_add_u32 v0, v0, 23, v54
	v_lshlrev_b32_e32 v6, 20, v22
	v_lshlrev_b32_e32 v22, 24, v8
	v_and_b32_e32 v6, 0x700000, v6
	v_and_b32_e32 v22, 0x80000000, v22
	v_or3_b32 v6, v22, v0, v6
.LBB4_7894:                             ;   in Loop: Header=BB4_7875 Depth=3
	s_or_b64 exec, exec, s[46:47]
.LBB4_7895:                             ;   in Loop: Header=BB4_7875 Depth=3
	s_or_b64 exec, exec, s[42:43]
.LBB4_7896:                             ;   in Loop: Header=BB4_7875 Depth=3
	s_or_b64 exec, exec, s[44:45]
	v_cmp_gt_i16_sdwa s[44:45], v12, s81 src0_sel:BYTE_0 src1_sel:DWORD
	s_mov_b64 s[42:43], 0
	s_and_saveexec_b64 s[46:47], s[44:45]
	s_xor_b64 s[44:45], exec, s[46:47]
	s_cbranch_execz .LBB4_8533
; %bb.7897:                             ;   in Loop: Header=BB4_7875 Depth=3
	v_cmp_eq_u16_sdwa vcc, v12, s80 src0_sel:BYTE_0 src1_sel:DWORD
	s_mov_b64 s[42:43], -1
	s_and_saveexec_b64 s[46:47], vcc
; %bb.7898:                             ;   in Loop: Header=BB4_7875 Depth=3
	s_xor_b64 s[42:43], exec, -1
; %bb.7899:                             ;   in Loop: Header=BB4_7875 Depth=3
	s_or_b64 exec, exec, s[46:47]
	s_and_b64 s[42:43], s[42:43], exec
	s_or_saveexec_b64 s[44:45], s[44:45]
	v_bfrev_b32_e32 v0, 1
	s_xor_b64 exec, exec, s[44:45]
	s_cbranch_execnz .LBB4_8534
.LBB4_7900:                             ;   in Loop: Header=BB4_7875 Depth=3
	s_or_b64 exec, exec, s[44:45]
	s_and_saveexec_b64 s[44:45], s[42:43]
.LBB4_7901:                             ;   in Loop: Header=BB4_7875 Depth=3
	v_mov_b32_e32 v0, 0x7f800001
	v_cndmask_b32_e64 v0, v2, v0, s[40:41]
.LBB4_7902:                             ;   in Loop: Header=BB4_7875 Depth=3
	s_or_b64 exec, exec, s[44:45]
	v_max_f32_e32 v0, v0, v0
	v_max_f32_e32 v2, v6, v6
	v_min_f32_e32 v22, v2, v0
.LBB4_7903:                             ;   in Loop: Header=BB4_7875 Depth=3
	v_and_b32_e32 v2, 0x7f800000, v22
	v_cmp_ne_u64_e32 vcc, s[76:77], v[2:3]
                                        ; implicit-def: $vgpr28
	s_and_saveexec_b64 s[40:41], vcc
	s_xor_b64 s[42:43], exec, s[40:41]
	s_cbranch_execz .LBB4_7917
; %bb.7904:                             ;   in Loop: Header=BB4_7875 Depth=3
	v_and_b32_e32 v2, 0x7fffffff, v22
	v_cmp_gt_u64_e32 vcc, s[78:79], v[2:3]
	v_and_b32_sdwa v6, v22, s80 dst_sel:DWORD dst_unused:UNUSED_PAD src0_sel:BYTE_3 src1_sel:DWORD
                                        ; implicit-def: $vgpr28
	s_and_saveexec_b64 s[40:41], vcc
	s_xor_b64 s[44:45], exec, s[40:41]
	s_cbranch_execz .LBB4_7914
; %bb.7905:                             ;   in Loop: Header=BB4_7875 Depth=3
	v_mov_b32_e32 v28, 0
	v_cmp_ne_u32_e32 vcc, 0, v22
	s_and_saveexec_b64 s[46:47], vcc
	s_cbranch_execz .LBB4_7913
; %bb.7906:                             ;   in Loop: Header=BB4_7875 Depth=3
	v_bfe_u32 v25, v22, 23, 8
	v_cmp_gt_u32_e64 s[40:41], s83, v25
	v_sub_u32_e32 v2, 0x79, v25
	v_and_b32_e32 v0, 0x7fffff, v22
	v_cmp_eq_u32_e32 vcc, 0, v25
	v_cndmask_b32_e64 v2, 0, v2, s[40:41]
	v_mov_b32_e32 v23, 0x78
	v_or_b32_e32 v22, 0x800000, v0
	v_cndmask_b32_e32 v28, v2, v23, vcc
	v_cndmask_b32_e32 v2, v22, v0, vcc
	v_add_u32_e32 v0, 20, v28
	v_lshlrev_b64 v[22:23], v0, -1
	v_add_u32_e32 v0, 19, v28
	v_lshlrev_b64 v[29:30], v0, 1
	v_bfi_b32 v23, v23, 0, 0
	v_bfi_b32 v22, v22, 0, v2
	v_cmp_eq_u64_e64 s[40:41], v[22:23], v[29:30]
	v_lshrrev_b64 v[22:23], v28, v[2:3]
	v_mov_b32_e32 v24, v23
	v_mov_b32_e32 v23, v22
	s_and_saveexec_b64 s[54:55], s[40:41]
; %bb.7907:                             ;   in Loop: Header=BB4_7875 Depth=3
	v_bfe_u32 v0, v22, 20, 1
	v_add_co_u32_e64 v0, s[40:41], v22, v0
	v_add_co_u32_e64 v23, s[40:41], -1, v0
; %bb.7908:                             ;   in Loop: Header=BB4_7875 Depth=3
	s_or_b64 exec, exec, s[54:55]
	v_add_u32_e32 v0, 0xffffff81, v25
	v_mov_b32_e32 v2, 0xffffff82
	v_cndmask_b32_e32 v0, v0, v2, vcc
	v_lshrrev_b32_e32 v2, 23, v22
	v_add3_u32 v25, v28, v0, v2
	v_add_u32_e32 v0, 6, v25
	v_and_b32_e32 v2, 0xfffff, v23
	v_add_u32_e32 v2, v2, v22
	v_cmp_ne_u32_e32 vcc, 0, v0
                                        ; implicit-def: $vgpr22_vgpr23
                                        ; implicit-def: $vgpr24
	s_and_saveexec_b64 s[40:41], vcc
	s_xor_b64 s[40:41], exec, s[40:41]
; %bb.7909:                             ;   in Loop: Header=BB4_7875 Depth=3
	v_cmp_lt_u64_e32 vcc, s[88:89], v[2:3]
	v_add_u32_e32 v22, 7, v25
	v_cndmask_b32_e32 v24, v0, v22, vcc
	v_cndmask_b32_e64 v0, 0, 1, vcc
	v_lshrrev_b64 v[22:23], v0, v[2:3]
; %bb.7910:                             ;   in Loop: Header=BB4_7875 Depth=3
	s_andn2_saveexec_b64 s[40:41], s[40:41]
; %bb.7911:                             ;   in Loop: Header=BB4_7875 Depth=3
	v_mov_b32_e32 v23, v3
	v_bfe_u32 v24, v2, 23, 1
	v_mov_b32_e32 v22, v2
; %bb.7912:                             ;   in Loop: Header=BB4_7875 Depth=3
	s_or_b64 exec, exec, s[40:41]
	v_lshrrev_b64 v[22:23], 20, v[22:23]
	v_cmp_gt_i32_e32 vcc, 16, v24
	v_cndmask_b32_e32 v23, 0, v23, vcc
	v_cndmask_b32_e32 v22, 7, v22, vcc
	v_min_i32_e32 v0, 15, v24
	v_cmp_eq_u64_e64 s[40:41], 0, v[22:23]
	v_lshlrev_b32_e32 v0, 3, v0
	v_cmp_eq_u32_e32 vcc, 0, v24
	v_and_b32_e32 v0, 0xf8, v0
	v_and_or_b32 v0, v22, 7, v0
	s_and_b64 s[40:41], vcc, s[40:41]
	v_cndmask_b32_e64 v0, v0, 0, s[40:41]
	v_or_b32_e32 v28, v0, v6
.LBB4_7913:                             ;   in Loop: Header=BB4_7875 Depth=3
	s_or_b64 exec, exec, s[46:47]
                                        ; implicit-def: $vgpr6
.LBB4_7914:                             ;   in Loop: Header=BB4_7875 Depth=3
	s_andn2_saveexec_b64 s[40:41], s[44:45]
; %bb.7915:                             ;   in Loop: Header=BB4_7875 Depth=3
	v_or_b32_e32 v28, 0x7e, v6
; %bb.7916:                             ;   in Loop: Header=BB4_7875 Depth=3
	s_or_b64 exec, exec, s[40:41]
                                        ; implicit-def: $vgpr22
.LBB4_7917:                             ;   in Loop: Header=BB4_7875 Depth=3
	s_andn2_saveexec_b64 s[40:41], s[42:43]
; %bb.7918:                             ;   in Loop: Header=BB4_7875 Depth=3
	v_or_b32_sdwa v28, v22, s81 dst_sel:DWORD dst_unused:UNUSED_PAD src0_sel:BYTE_3 src1_sel:DWORD
; %bb.7919:                             ;   in Loop: Header=BB4_7875 Depth=3
	s_or_b64 exec, exec, s[40:41]
	v_lshrrev_b16_e32 v2, 8, v12
	v_and_b32_e32 v0, 7, v2
	v_and_b32_e32 v6, 0x7f, v2
	v_cmp_eq_u32_e64 s[40:41], s81, v6
	v_cmp_gt_u32_e32 vcc, 8, v6
	v_ffbh_u32_e32 v6, v0
	v_min_u32_e32 v6, 32, v6
	v_subrev_u32_e32 v22, 28, v6
	v_lshlrev_b64 v[22:23], v22, v[2:3]
	v_bfe_u32 v24, v2, 3, 4
	v_sub_u32_e32 v6, 29, v6
	v_and_b32_e32 v22, 7, v22
	v_cndmask_b32_e32 v6, v24, v6, vcc
	v_cndmask_b32_e32 v0, v0, v22, vcc
	v_lshlrev_b32_e32 v22, 24, v2
	v_lshlrev_b32_e32 v0, 20, v0
	v_and_b32_e32 v22, 0x80000000, v22
	v_lshl_add_u32 v6, v6, 23, v54
	v_or3_b32 v6, v22, v6, v0
	v_lshrrev_b16_e32 v22, 8, v8
	v_cmp_ne_u16_e64 s[42:43], 0, v22
	s_mov_b64 s[44:45], -1
	s_and_b64 vcc, exec, s[52:53]
                                        ; implicit-def: $vgpr23
	s_cbranch_vccz .LBB4_7933
; %bb.7920:                             ;   in Loop: Header=BB4_7875 Depth=3
	v_mov_b32_e32 v23, 0
	s_and_saveexec_b64 s[44:45], s[42:43]
	s_cbranch_execz .LBB4_7926
; %bb.7921:                             ;   in Loop: Header=BB4_7875 Depth=3
	v_cmp_ne_u16_e32 vcc, s80, v22
	v_bfrev_b32_e32 v23, 1
	s_and_saveexec_b64 s[46:47], vcc
	s_cbranch_execz .LBB4_7925
; %bb.7922:                             ;   in Loop: Header=BB4_7875 Depth=3
	v_and_b32_e32 v0, 0x7f, v22
	v_cmp_ne_u32_e32 vcc, s81, v0
	v_mov_b32_e32 v23, 0x7f800001
	s_and_saveexec_b64 s[54:55], vcc
	s_cbranch_execz .LBB4_7924
; %bb.7923:                             ;   in Loop: Header=BB4_7875 Depth=3
	v_and_b32_e32 v25, 7, v22
	v_lshrrev_b32_e32 v29, 3, v0
	v_cmp_gt_u32_e32 vcc, 8, v0
	v_ffbh_u32_e32 v0, v25
	v_min_u32_e32 v0, 32, v0
	v_subrev_u32_e32 v23, 28, v0
	v_lshlrev_b64 v[23:24], v23, v[22:23]
	v_sub_u32_e32 v0, 29, v0
	v_and_b32_e32 v23, 7, v23
	v_cndmask_b32_e32 v0, v29, v0, vcc
	v_cndmask_b32_e32 v23, v25, v23, vcc
	v_lshlrev_b32_e32 v24, 16, v8
	v_lshlrev_b32_e32 v23, 20, v23
	v_and_b32_e32 v24, 0x80000000, v24
	v_lshl_add_u32 v0, v0, 23, v54
	v_or3_b32 v23, v24, v0, v23
.LBB4_7924:                             ;   in Loop: Header=BB4_7875 Depth=3
	s_or_b64 exec, exec, s[54:55]
.LBB4_7925:                             ;   in Loop: Header=BB4_7875 Depth=3
	s_or_b64 exec, exec, s[46:47]
.LBB4_7926:                             ;   in Loop: Header=BB4_7875 Depth=3
	s_or_b64 exec, exec, s[44:45]
	v_cmp_lt_i16_e32 vcc, s81, v2
	s_mov_b64 s[44:45], 0
	s_and_saveexec_b64 s[46:47], vcc
	s_xor_b64 s[46:47], exec, s[46:47]
	s_cbranch_execz .LBB4_8535
; %bb.7927:                             ;   in Loop: Header=BB4_7875 Depth=3
	v_cmp_eq_u16_e32 vcc, s80, v2
	s_mov_b64 s[44:45], -1
	s_and_saveexec_b64 s[54:55], vcc
; %bb.7928:                             ;   in Loop: Header=BB4_7875 Depth=3
	s_xor_b64 s[44:45], exec, -1
; %bb.7929:                             ;   in Loop: Header=BB4_7875 Depth=3
	s_or_b64 exec, exec, s[54:55]
	s_and_b64 s[44:45], s[44:45], exec
	s_or_saveexec_b64 s[46:47], s[46:47]
	v_bfrev_b32_e32 v0, 1
	s_xor_b64 exec, exec, s[46:47]
	s_cbranch_execnz .LBB4_8536
.LBB4_7930:                             ;   in Loop: Header=BB4_7875 Depth=3
	s_or_b64 exec, exec, s[46:47]
	s_and_saveexec_b64 s[46:47], s[44:45]
.LBB4_7931:                             ;   in Loop: Header=BB4_7875 Depth=3
	v_mov_b32_e32 v0, 0x7f800001
	v_cndmask_b32_e64 v0, v6, v0, s[40:41]
.LBB4_7932:                             ;   in Loop: Header=BB4_7875 Depth=3
	s_or_b64 exec, exec, s[46:47]
	v_max_f32_e32 v0, v0, v0
	v_max_f32_e32 v23, v23, v23
	;; [unrolled: 1-line block ×3, first 2 shown]
	s_mov_b64 s[44:45], 0
.LBB4_7933:                             ;   in Loop: Header=BB4_7875 Depth=3
	s_and_b64 vcc, exec, s[44:45]
	s_cbranch_vccz .LBB4_7947
; %bb.7934:                             ;   in Loop: Header=BB4_7875 Depth=3
	v_mov_b32_e32 v23, 0
	s_and_saveexec_b64 s[44:45], s[42:43]
	s_cbranch_execz .LBB4_7940
; %bb.7935:                             ;   in Loop: Header=BB4_7875 Depth=3
	v_cmp_ne_u16_e32 vcc, s80, v22
	v_bfrev_b32_e32 v23, 1
	s_and_saveexec_b64 s[42:43], vcc
	s_cbranch_execz .LBB4_7939
; %bb.7936:                             ;   in Loop: Header=BB4_7875 Depth=3
	v_and_b32_e32 v0, 0x7f, v22
	v_cmp_ne_u32_e32 vcc, s81, v0
	v_mov_b32_e32 v23, 0x7f800001
	s_and_saveexec_b64 s[46:47], vcc
	s_cbranch_execz .LBB4_7938
; %bb.7937:                             ;   in Loop: Header=BB4_7875 Depth=3
	v_and_b32_e32 v24, 7, v22
	v_lshrrev_b32_e32 v25, 3, v0
	v_cmp_gt_u32_e32 vcc, 8, v0
	v_ffbh_u32_e32 v0, v24
	v_min_u32_e32 v0, 32, v0
	v_subrev_u32_e32 v23, 28, v0
	v_lshlrev_b64 v[22:23], v23, v[22:23]
	v_sub_u32_e32 v0, 29, v0
	v_and_b32_e32 v22, 7, v22
	v_cndmask_b32_e32 v0, v25, v0, vcc
	v_cndmask_b32_e32 v22, v24, v22, vcc
	v_lshlrev_b32_e32 v23, 16, v8
	v_lshlrev_b32_e32 v22, 20, v22
	v_and_b32_e32 v23, 0x80000000, v23
	v_lshl_add_u32 v0, v0, 23, v54
	v_or3_b32 v23, v23, v0, v22
.LBB4_7938:                             ;   in Loop: Header=BB4_7875 Depth=3
	s_or_b64 exec, exec, s[46:47]
.LBB4_7939:                             ;   in Loop: Header=BB4_7875 Depth=3
	s_or_b64 exec, exec, s[42:43]
.LBB4_7940:                             ;   in Loop: Header=BB4_7875 Depth=3
	s_or_b64 exec, exec, s[44:45]
	v_cmp_lt_i16_e32 vcc, s81, v2
	s_mov_b64 s[42:43], 0
	s_and_saveexec_b64 s[44:45], vcc
	s_xor_b64 s[44:45], exec, s[44:45]
	s_cbranch_execz .LBB4_8537
; %bb.7941:                             ;   in Loop: Header=BB4_7875 Depth=3
	v_cmp_eq_u16_e32 vcc, s80, v2
	s_mov_b64 s[42:43], -1
	s_and_saveexec_b64 s[46:47], vcc
; %bb.7942:                             ;   in Loop: Header=BB4_7875 Depth=3
	s_xor_b64 s[42:43], exec, -1
; %bb.7943:                             ;   in Loop: Header=BB4_7875 Depth=3
	s_or_b64 exec, exec, s[46:47]
	s_and_b64 s[42:43], s[42:43], exec
	s_or_saveexec_b64 s[44:45], s[44:45]
	v_bfrev_b32_e32 v0, 1
	s_xor_b64 exec, exec, s[44:45]
	s_cbranch_execnz .LBB4_8538
.LBB4_7944:                             ;   in Loop: Header=BB4_7875 Depth=3
	s_or_b64 exec, exec, s[44:45]
	s_and_saveexec_b64 s[44:45], s[42:43]
.LBB4_7945:                             ;   in Loop: Header=BB4_7875 Depth=3
	v_mov_b32_e32 v0, 0x7f800001
	v_cndmask_b32_e64 v0, v6, v0, s[40:41]
.LBB4_7946:                             ;   in Loop: Header=BB4_7875 Depth=3
	s_or_b64 exec, exec, s[44:45]
	v_max_f32_e32 v0, v0, v0
	v_max_f32_e32 v2, v23, v23
	v_min_f32_e32 v23, v2, v0
.LBB4_7947:                             ;   in Loop: Header=BB4_7875 Depth=3
	v_and_b32_e32 v2, 0x7f800000, v23
	v_cmp_ne_u64_e32 vcc, s[76:77], v[2:3]
                                        ; implicit-def: $vgpr29
	s_and_saveexec_b64 s[40:41], vcc
	s_xor_b64 s[42:43], exec, s[40:41]
	s_cbranch_execz .LBB4_7961
; %bb.7948:                             ;   in Loop: Header=BB4_7875 Depth=3
	v_and_b32_e32 v2, 0x7fffffff, v23
	v_cmp_gt_u64_e32 vcc, s[78:79], v[2:3]
	v_and_b32_sdwa v6, v23, s80 dst_sel:DWORD dst_unused:UNUSED_PAD src0_sel:BYTE_3 src1_sel:DWORD
                                        ; implicit-def: $vgpr29
	s_and_saveexec_b64 s[40:41], vcc
	s_xor_b64 s[44:45], exec, s[40:41]
	s_cbranch_execz .LBB4_7958
; %bb.7949:                             ;   in Loop: Header=BB4_7875 Depth=3
	v_mov_b32_e32 v29, 0
	v_cmp_ne_u32_e32 vcc, 0, v23
	s_and_saveexec_b64 s[46:47], vcc
	s_cbranch_execz .LBB4_7957
; %bb.7950:                             ;   in Loop: Header=BB4_7875 Depth=3
	v_bfe_u32 v25, v23, 23, 8
	v_cmp_gt_u32_e64 s[40:41], s83, v25
	v_sub_u32_e32 v2, 0x79, v25
	v_and_b32_e32 v0, 0x7fffff, v23
	v_cmp_eq_u32_e32 vcc, 0, v25
	v_cndmask_b32_e64 v2, 0, v2, s[40:41]
	v_mov_b32_e32 v23, 0x78
	v_or_b32_e32 v22, 0x800000, v0
	v_cndmask_b32_e32 v29, v2, v23, vcc
	v_cndmask_b32_e32 v2, v22, v0, vcc
	v_add_u32_e32 v0, 20, v29
	v_lshlrev_b64 v[22:23], v0, -1
	v_add_u32_e32 v0, 19, v29
	v_lshlrev_b64 v[30:31], v0, 1
	v_bfi_b32 v23, v23, 0, 0
	v_bfi_b32 v22, v22, 0, v2
	v_cmp_eq_u64_e64 s[40:41], v[22:23], v[30:31]
	v_lshrrev_b64 v[22:23], v29, v[2:3]
	v_mov_b32_e32 v24, v23
	v_mov_b32_e32 v23, v22
	s_and_saveexec_b64 s[54:55], s[40:41]
; %bb.7951:                             ;   in Loop: Header=BB4_7875 Depth=3
	v_bfe_u32 v0, v22, 20, 1
	v_add_co_u32_e64 v0, s[40:41], v22, v0
	v_add_co_u32_e64 v23, s[40:41], -1, v0
; %bb.7952:                             ;   in Loop: Header=BB4_7875 Depth=3
	s_or_b64 exec, exec, s[54:55]
	v_add_u32_e32 v0, 0xffffff81, v25
	v_mov_b32_e32 v2, 0xffffff82
	v_cndmask_b32_e32 v0, v0, v2, vcc
	v_lshrrev_b32_e32 v2, 23, v22
	v_add3_u32 v25, v29, v0, v2
	v_add_u32_e32 v0, 6, v25
	v_and_b32_e32 v2, 0xfffff, v23
	v_add_u32_e32 v2, v2, v22
	v_cmp_ne_u32_e32 vcc, 0, v0
                                        ; implicit-def: $vgpr22_vgpr23
                                        ; implicit-def: $vgpr24
	s_and_saveexec_b64 s[40:41], vcc
	s_xor_b64 s[40:41], exec, s[40:41]
; %bb.7953:                             ;   in Loop: Header=BB4_7875 Depth=3
	v_cmp_lt_u64_e32 vcc, s[88:89], v[2:3]
	v_add_u32_e32 v22, 7, v25
	v_cndmask_b32_e32 v24, v0, v22, vcc
	v_cndmask_b32_e64 v0, 0, 1, vcc
	v_lshrrev_b64 v[22:23], v0, v[2:3]
; %bb.7954:                             ;   in Loop: Header=BB4_7875 Depth=3
	s_andn2_saveexec_b64 s[40:41], s[40:41]
; %bb.7955:                             ;   in Loop: Header=BB4_7875 Depth=3
	v_mov_b32_e32 v23, v3
	v_bfe_u32 v24, v2, 23, 1
	v_mov_b32_e32 v22, v2
; %bb.7956:                             ;   in Loop: Header=BB4_7875 Depth=3
	s_or_b64 exec, exec, s[40:41]
	v_lshrrev_b64 v[22:23], 20, v[22:23]
	v_cmp_gt_i32_e32 vcc, 16, v24
	v_cndmask_b32_e32 v23, 0, v23, vcc
	v_cndmask_b32_e32 v22, 7, v22, vcc
	v_min_i32_e32 v0, 15, v24
	v_cmp_eq_u64_e64 s[40:41], 0, v[22:23]
	v_lshlrev_b32_e32 v0, 3, v0
	v_cmp_eq_u32_e32 vcc, 0, v24
	v_and_b32_e32 v0, 0xf8, v0
	v_and_or_b32 v0, v22, 7, v0
	s_and_b64 s[40:41], vcc, s[40:41]
	v_cndmask_b32_e64 v0, v0, 0, s[40:41]
	v_or_b32_e32 v29, v0, v6
.LBB4_7957:                             ;   in Loop: Header=BB4_7875 Depth=3
	s_or_b64 exec, exec, s[46:47]
                                        ; implicit-def: $vgpr6
.LBB4_7958:                             ;   in Loop: Header=BB4_7875 Depth=3
	s_andn2_saveexec_b64 s[40:41], s[44:45]
; %bb.7959:                             ;   in Loop: Header=BB4_7875 Depth=3
	v_or_b32_e32 v29, 0x7e, v6
; %bb.7960:                             ;   in Loop: Header=BB4_7875 Depth=3
	s_or_b64 exec, exec, s[40:41]
                                        ; implicit-def: $vgpr23
.LBB4_7961:                             ;   in Loop: Header=BB4_7875 Depth=3
	s_andn2_saveexec_b64 s[40:41], s[42:43]
; %bb.7962:                             ;   in Loop: Header=BB4_7875 Depth=3
	v_or_b32_sdwa v29, v23, s81 dst_sel:DWORD dst_unused:UNUSED_PAD src0_sel:BYTE_3 src1_sel:DWORD
; %bb.7963:                             ;   in Loop: Header=BB4_7875 Depth=3
	s_or_b64 exec, exec, s[40:41]
	v_bfe_u32 v0, v12, 16, 3
	v_bfe_u32 v6, v12, 16, 7
	v_cmp_eq_u32_e64 s[40:41], s81, v6
	v_cmp_gt_u32_e32 vcc, 8, v6
	v_ffbh_u32_e32 v6, v0
	v_min_u32_e32 v6, 32, v6
	v_lshrrev_b32_e32 v2, 16, v12
	v_subrev_u32_e32 v22, 28, v6
	v_lshlrev_b64 v[22:23], v22, v[2:3]
	v_bfe_u32 v24, v2, 3, 4
	v_sub_u32_e32 v6, 29, v6
	v_and_b32_e32 v22, 7, v22
	v_cndmask_b32_e32 v6, v24, v6, vcc
	v_cndmask_b32_e32 v0, v0, v22, vcc
	v_lshlrev_b32_e32 v22, 8, v12
	v_lshlrev_b32_e32 v0, 20, v0
	v_and_b32_e32 v22, 0x80000000, v22
	v_lshl_add_u32 v6, v6, 23, v54
	v_or3_b32 v6, v22, v6, v0
	v_lshrrev_b32_e32 v22, 16, v8
	v_cmp_ne_u16_sdwa s[42:43], v22, v3 src0_sel:BYTE_0 src1_sel:DWORD
	s_mov_b64 s[44:45], -1
	s_and_b64 vcc, exec, s[52:53]
                                        ; implicit-def: $vgpr23
	s_cbranch_vccz .LBB4_7977
; %bb.7964:                             ;   in Loop: Header=BB4_7875 Depth=3
	v_mov_b32_e32 v23, 0
	s_and_saveexec_b64 s[44:45], s[42:43]
	s_cbranch_execz .LBB4_7970
; %bb.7965:                             ;   in Loop: Header=BB4_7875 Depth=3
	v_cmp_ne_u16_sdwa vcc, v22, s80 src0_sel:BYTE_0 src1_sel:DWORD
	v_bfrev_b32_e32 v23, 1
	s_and_saveexec_b64 s[46:47], vcc
	s_cbranch_execz .LBB4_7969
; %bb.7966:                             ;   in Loop: Header=BB4_7875 Depth=3
	v_bfe_u32 v0, v8, 16, 7
	v_cmp_ne_u32_e32 vcc, s81, v0
	v_mov_b32_e32 v23, 0x7f800001
	s_and_saveexec_b64 s[54:55], vcc
	s_cbranch_execz .LBB4_7968
; %bb.7967:                             ;   in Loop: Header=BB4_7875 Depth=3
	v_and_b32_e32 v25, 7, v22
	v_lshrrev_b32_e32 v30, 3, v0
	v_cmp_gt_u32_e32 vcc, 8, v0
	v_ffbh_u32_e32 v0, v25
	v_min_u32_e32 v0, 32, v0
	v_subrev_u32_e32 v23, 28, v0
	v_lshlrev_b64 v[23:24], v23, v[22:23]
	v_sub_u32_e32 v0, 29, v0
	v_and_b32_e32 v23, 7, v23
	v_cndmask_b32_e32 v0, v30, v0, vcc
	v_cndmask_b32_e32 v23, v25, v23, vcc
	v_lshlrev_b32_e32 v24, 24, v22
	v_lshlrev_b32_e32 v23, 20, v23
	v_and_b32_e32 v24, 0x80000000, v24
	v_lshl_add_u32 v0, v0, 23, v54
	v_or3_b32 v23, v24, v0, v23
.LBB4_7968:                             ;   in Loop: Header=BB4_7875 Depth=3
	s_or_b64 exec, exec, s[54:55]
.LBB4_7969:                             ;   in Loop: Header=BB4_7875 Depth=3
	s_or_b64 exec, exec, s[46:47]
.LBB4_7970:                             ;   in Loop: Header=BB4_7875 Depth=3
	s_or_b64 exec, exec, s[44:45]
	v_cmp_gt_i16_sdwa s[46:47], v2, s81 src0_sel:BYTE_0 src1_sel:DWORD
	s_mov_b64 s[44:45], 0
	s_and_saveexec_b64 vcc, s[46:47]
	s_xor_b64 s[46:47], exec, vcc
	s_cbranch_execz .LBB4_8539
; %bb.7971:                             ;   in Loop: Header=BB4_7875 Depth=3
	v_cmp_eq_u16_sdwa s[54:55], v2, s80 src0_sel:BYTE_0 src1_sel:DWORD
	s_mov_b64 s[44:45], -1
	s_and_saveexec_b64 vcc, s[54:55]
; %bb.7972:                             ;   in Loop: Header=BB4_7875 Depth=3
	s_xor_b64 s[44:45], exec, -1
; %bb.7973:                             ;   in Loop: Header=BB4_7875 Depth=3
	s_or_b64 exec, exec, vcc
	s_and_b64 s[44:45], s[44:45], exec
	s_or_saveexec_b64 s[46:47], s[46:47]
	v_bfrev_b32_e32 v0, 1
	s_xor_b64 exec, exec, s[46:47]
	s_cbranch_execnz .LBB4_8540
.LBB4_7974:                             ;   in Loop: Header=BB4_7875 Depth=3
	s_or_b64 exec, exec, s[46:47]
	s_and_saveexec_b64 s[46:47], s[44:45]
.LBB4_7975:                             ;   in Loop: Header=BB4_7875 Depth=3
	v_mov_b32_e32 v0, 0x7f800001
	v_cndmask_b32_e64 v0, v6, v0, s[40:41]
.LBB4_7976:                             ;   in Loop: Header=BB4_7875 Depth=3
	s_or_b64 exec, exec, s[46:47]
	v_max_f32_e32 v0, v0, v0
	v_max_f32_e32 v23, v23, v23
	;; [unrolled: 1-line block ×3, first 2 shown]
	s_mov_b64 s[44:45], 0
.LBB4_7977:                             ;   in Loop: Header=BB4_7875 Depth=3
	s_and_b64 vcc, exec, s[44:45]
	s_cbranch_vccz .LBB4_7991
; %bb.7978:                             ;   in Loop: Header=BB4_7875 Depth=3
	v_mov_b32_e32 v23, 0
	s_and_saveexec_b64 s[44:45], s[42:43]
	s_cbranch_execz .LBB4_7984
; %bb.7979:                             ;   in Loop: Header=BB4_7875 Depth=3
	v_cmp_ne_u16_sdwa s[46:47], v22, s80 src0_sel:BYTE_0 src1_sel:DWORD
	v_bfrev_b32_e32 v23, 1
	s_and_saveexec_b64 s[42:43], s[46:47]
	s_cbranch_execz .LBB4_7983
; %bb.7980:                             ;   in Loop: Header=BB4_7875 Depth=3
	v_bfe_u32 v0, v8, 16, 7
	v_cmp_ne_u32_e32 vcc, s81, v0
	v_mov_b32_e32 v23, 0x7f800001
	s_and_saveexec_b64 s[46:47], vcc
	s_cbranch_execz .LBB4_7982
; %bb.7981:                             ;   in Loop: Header=BB4_7875 Depth=3
	v_and_b32_e32 v25, 7, v22
	v_lshrrev_b32_e32 v30, 3, v0
	v_cmp_gt_u32_e32 vcc, 8, v0
	v_ffbh_u32_e32 v0, v25
	v_min_u32_e32 v0, 32, v0
	v_subrev_u32_e32 v23, 28, v0
	v_lshlrev_b64 v[23:24], v23, v[22:23]
	v_sub_u32_e32 v0, 29, v0
	v_and_b32_e32 v23, 7, v23
	v_cndmask_b32_e32 v0, v30, v0, vcc
	v_cndmask_b32_e32 v23, v25, v23, vcc
	v_lshlrev_b32_e32 v22, 24, v22
	v_lshlrev_b32_e32 v23, 20, v23
	v_and_b32_e32 v22, 0x80000000, v22
	v_lshl_add_u32 v0, v0, 23, v54
	v_or3_b32 v23, v22, v0, v23
.LBB4_7982:                             ;   in Loop: Header=BB4_7875 Depth=3
	s_or_b64 exec, exec, s[46:47]
.LBB4_7983:                             ;   in Loop: Header=BB4_7875 Depth=3
	s_or_b64 exec, exec, s[42:43]
.LBB4_7984:                             ;   in Loop: Header=BB4_7875 Depth=3
	s_or_b64 exec, exec, s[44:45]
	v_cmp_gt_i16_sdwa s[44:45], v2, s81 src0_sel:BYTE_0 src1_sel:DWORD
	s_mov_b64 s[42:43], 0
	s_and_saveexec_b64 s[46:47], s[44:45]
	s_xor_b64 s[44:45], exec, s[46:47]
	s_cbranch_execz .LBB4_8541
; %bb.7985:                             ;   in Loop: Header=BB4_7875 Depth=3
	v_cmp_eq_u16_sdwa vcc, v2, s80 src0_sel:BYTE_0 src1_sel:DWORD
	s_mov_b64 s[42:43], -1
	s_and_saveexec_b64 s[46:47], vcc
; %bb.7986:                             ;   in Loop: Header=BB4_7875 Depth=3
	s_xor_b64 s[42:43], exec, -1
; %bb.7987:                             ;   in Loop: Header=BB4_7875 Depth=3
	s_or_b64 exec, exec, s[46:47]
	s_and_b64 s[42:43], s[42:43], exec
                                        ; implicit-def: $vgpr2
	s_or_saveexec_b64 s[44:45], s[44:45]
	v_bfrev_b32_e32 v0, 1
	s_xor_b64 exec, exec, s[44:45]
	s_cbranch_execnz .LBB4_8542
.LBB4_7988:                             ;   in Loop: Header=BB4_7875 Depth=3
	s_or_b64 exec, exec, s[44:45]
	s_and_saveexec_b64 s[44:45], s[42:43]
.LBB4_7989:                             ;   in Loop: Header=BB4_7875 Depth=3
	v_mov_b32_e32 v0, 0x7f800001
	v_cndmask_b32_e64 v0, v6, v0, s[40:41]
.LBB4_7990:                             ;   in Loop: Header=BB4_7875 Depth=3
	s_or_b64 exec, exec, s[44:45]
	v_max_f32_e32 v0, v0, v0
	v_max_f32_e32 v2, v23, v23
	v_min_f32_e32 v23, v2, v0
.LBB4_7991:                             ;   in Loop: Header=BB4_7875 Depth=3
	v_and_b32_e32 v2, 0x7f800000, v23
	v_cmp_ne_u64_e32 vcc, s[76:77], v[2:3]
                                        ; implicit-def: $vgpr30
	s_and_saveexec_b64 s[40:41], vcc
	s_xor_b64 s[42:43], exec, s[40:41]
	s_cbranch_execz .LBB4_8005
; %bb.7992:                             ;   in Loop: Header=BB4_7875 Depth=3
	v_and_b32_e32 v2, 0x7fffffff, v23
	v_cmp_gt_u64_e32 vcc, s[78:79], v[2:3]
	v_and_b32_sdwa v6, v23, s80 dst_sel:DWORD dst_unused:UNUSED_PAD src0_sel:BYTE_3 src1_sel:DWORD
                                        ; implicit-def: $vgpr30
	s_and_saveexec_b64 s[40:41], vcc
	s_xor_b64 s[44:45], exec, s[40:41]
	s_cbranch_execz .LBB4_8002
; %bb.7993:                             ;   in Loop: Header=BB4_7875 Depth=3
	v_mov_b32_e32 v30, 0
	v_cmp_ne_u32_e32 vcc, 0, v23
	s_and_saveexec_b64 s[46:47], vcc
	s_cbranch_execz .LBB4_8001
; %bb.7994:                             ;   in Loop: Header=BB4_7875 Depth=3
	v_bfe_u32 v25, v23, 23, 8
	v_cmp_gt_u32_e64 s[40:41], s83, v25
	v_sub_u32_e32 v2, 0x79, v25
	v_and_b32_e32 v0, 0x7fffff, v23
	v_cmp_eq_u32_e32 vcc, 0, v25
	v_cndmask_b32_e64 v2, 0, v2, s[40:41]
	v_mov_b32_e32 v23, 0x78
	v_or_b32_e32 v22, 0x800000, v0
	v_cndmask_b32_e32 v30, v2, v23, vcc
	v_cndmask_b32_e32 v2, v22, v0, vcc
	v_add_u32_e32 v0, 20, v30
	v_lshlrev_b64 v[22:23], v0, -1
	v_add_u32_e32 v0, 19, v30
	v_lshlrev_b64 v[34:35], v0, 1
	v_bfi_b32 v23, v23, 0, 0
	v_bfi_b32 v22, v22, 0, v2
	v_cmp_eq_u64_e64 s[40:41], v[22:23], v[34:35]
	v_lshrrev_b64 v[22:23], v30, v[2:3]
	v_mov_b32_e32 v24, v23
	v_mov_b32_e32 v23, v22
	s_and_saveexec_b64 s[54:55], s[40:41]
; %bb.7995:                             ;   in Loop: Header=BB4_7875 Depth=3
	v_bfe_u32 v0, v22, 20, 1
	v_add_co_u32_e64 v0, s[40:41], v22, v0
	v_add_co_u32_e64 v23, s[40:41], -1, v0
; %bb.7996:                             ;   in Loop: Header=BB4_7875 Depth=3
	s_or_b64 exec, exec, s[54:55]
	v_add_u32_e32 v0, 0xffffff81, v25
	v_mov_b32_e32 v2, 0xffffff82
	v_cndmask_b32_e32 v0, v0, v2, vcc
	v_lshrrev_b32_e32 v2, 23, v22
	v_add3_u32 v25, v30, v0, v2
	v_add_u32_e32 v0, 6, v25
	v_and_b32_e32 v2, 0xfffff, v23
	v_add_u32_e32 v2, v2, v22
	v_cmp_ne_u32_e32 vcc, 0, v0
                                        ; implicit-def: $vgpr22_vgpr23
                                        ; implicit-def: $vgpr24
	s_and_saveexec_b64 s[40:41], vcc
	s_xor_b64 s[40:41], exec, s[40:41]
; %bb.7997:                             ;   in Loop: Header=BB4_7875 Depth=3
	v_cmp_lt_u64_e32 vcc, s[88:89], v[2:3]
	v_add_u32_e32 v22, 7, v25
	v_cndmask_b32_e32 v24, v0, v22, vcc
	v_cndmask_b32_e64 v0, 0, 1, vcc
	v_lshrrev_b64 v[22:23], v0, v[2:3]
; %bb.7998:                             ;   in Loop: Header=BB4_7875 Depth=3
	s_andn2_saveexec_b64 s[40:41], s[40:41]
; %bb.7999:                             ;   in Loop: Header=BB4_7875 Depth=3
	v_mov_b32_e32 v23, v3
	v_bfe_u32 v24, v2, 23, 1
	v_mov_b32_e32 v22, v2
; %bb.8000:                             ;   in Loop: Header=BB4_7875 Depth=3
	s_or_b64 exec, exec, s[40:41]
	v_lshrrev_b64 v[22:23], 20, v[22:23]
	v_cmp_gt_i32_e32 vcc, 16, v24
	v_cndmask_b32_e32 v23, 0, v23, vcc
	v_cndmask_b32_e32 v22, 7, v22, vcc
	v_min_i32_e32 v0, 15, v24
	v_cmp_eq_u64_e64 s[40:41], 0, v[22:23]
	v_lshlrev_b32_e32 v0, 3, v0
	v_cmp_eq_u32_e32 vcc, 0, v24
	v_and_b32_e32 v0, 0xf8, v0
	v_and_or_b32 v0, v22, 7, v0
	s_and_b64 s[40:41], vcc, s[40:41]
	v_cndmask_b32_e64 v0, v0, 0, s[40:41]
	v_or_b32_e32 v30, v0, v6
.LBB4_8001:                             ;   in Loop: Header=BB4_7875 Depth=3
	s_or_b64 exec, exec, s[46:47]
                                        ; implicit-def: $vgpr6
.LBB4_8002:                             ;   in Loop: Header=BB4_7875 Depth=3
	s_andn2_saveexec_b64 s[40:41], s[44:45]
; %bb.8003:                             ;   in Loop: Header=BB4_7875 Depth=3
	v_or_b32_e32 v30, 0x7e, v6
; %bb.8004:                             ;   in Loop: Header=BB4_7875 Depth=3
	s_or_b64 exec, exec, s[40:41]
                                        ; implicit-def: $vgpr23
.LBB4_8005:                             ;   in Loop: Header=BB4_7875 Depth=3
	s_andn2_saveexec_b64 s[40:41], s[42:43]
; %bb.8006:                             ;   in Loop: Header=BB4_7875 Depth=3
	v_or_b32_sdwa v30, v23, s81 dst_sel:DWORD dst_unused:UNUSED_PAD src0_sel:BYTE_3 src1_sel:DWORD
; %bb.8007:                             ;   in Loop: Header=BB4_7875 Depth=3
	s_or_b64 exec, exec, s[40:41]
	v_bfe_u32 v6, v12, 24, 3
	v_bfe_u32 v22, v12, 24, 7
	v_cmp_eq_u32_e64 s[44:45], s81, v22
	v_cmp_gt_u32_e32 vcc, 8, v22
	v_ffbh_u32_e32 v22, v6
	v_min_u32_e32 v25, 32, v22
	v_lshrrev_b32_e32 v0, 24, v12
	v_subrev_u32_e32 v22, 28, v25
	v_lshlrev_b64 v[22:23], v22, v[0:1]
	v_bfe_u32 v24, v0, 3, 4
	v_cmp_eq_u32_e64 s[42:43], s80, v0
	v_sub_u32_e32 v0, 29, v25
	v_and_b32_e32 v22, 7, v22
	v_cndmask_b32_e32 v0, v24, v0, vcc
	v_cndmask_b32_e32 v6, v6, v22, vcc
	v_lshlrev_b32_e32 v6, 20, v6
	v_and_b32_e32 v22, 0x80000000, v12
	v_lshl_add_u32 v0, v0, 23, v54
	v_lshrrev_b32_e32 v2, 24, v8
	v_cmp_gt_u32_e64 s[40:41], s61, v12
	v_or3_b32 v6, v22, v0, v6
	v_cmp_lt_u32_e64 s[46:47], s63, v8
	s_mov_b64 s[54:55], -1
	s_and_b64 vcc, exec, s[52:53]
                                        ; implicit-def: $vgpr22
	s_cbranch_vccz .LBB4_8015
; %bb.8008:                             ;   in Loop: Header=BB4_7875 Depth=3
	v_mov_b32_e32 v0, 0
	s_and_saveexec_b64 s[54:55], s[46:47]
	s_cbranch_execz .LBB4_8014
; %bb.8009:                             ;   in Loop: Header=BB4_7875 Depth=3
	v_cmp_ne_u32_e32 vcc, s80, v2
	v_bfrev_b32_e32 v0, 1
	s_and_saveexec_b64 s[64:65], vcc
	s_cbranch_execz .LBB4_8013
; %bb.8010:                             ;   in Loop: Header=BB4_7875 Depth=3
	v_bfe_u32 v22, v8, 24, 7
	v_cmp_ne_u32_e32 vcc, s81, v22
	v_mov_b32_e32 v0, 0x7f800001
	s_and_saveexec_b64 s[66:67], vcc
	s_cbranch_execz .LBB4_8012
; %bb.8011:                             ;   in Loop: Header=BB4_7875 Depth=3
	v_and_b32_e32 v0, 7, v2
	v_lshrrev_b32_e32 v24, 3, v22
	v_cmp_gt_u32_e32 vcc, 8, v22
	v_ffbh_u32_e32 v22, v0
	v_min_u32_e32 v25, 32, v22
	v_subrev_u32_e32 v22, 28, v25
	v_lshlrev_b64 v[22:23], v22, v[2:3]
	v_sub_u32_e32 v23, 29, v25
	v_and_b32_e32 v22, 7, v22
	v_cndmask_b32_e32 v23, v24, v23, vcc
	v_cndmask_b32_e32 v0, v0, v22, vcc
	v_lshlrev_b32_e32 v22, 24, v2
	v_lshlrev_b32_e32 v0, 20, v0
	v_and_b32_e32 v22, 0x80000000, v22
	v_lshl_add_u32 v23, v23, 23, v54
	v_or3_b32 v0, v22, v23, v0
.LBB4_8012:                             ;   in Loop: Header=BB4_7875 Depth=3
	s_or_b64 exec, exec, s[66:67]
.LBB4_8013:                             ;   in Loop: Header=BB4_7875 Depth=3
	s_or_b64 exec, exec, s[64:65]
.LBB4_8014:                             ;   in Loop: Header=BB4_7875 Depth=3
	s_or_b64 exec, exec, s[54:55]
	v_mov_b32_e32 v22, 0x7f800001
	v_cndmask_b32_e64 v22, v6, v22, s[44:45]
	v_bfrev_b32_e32 v23, 1
	v_cndmask_b32_e64 v22, v22, v23, s[42:43]
	v_cndmask_b32_e64 v22, v22, 0, s[40:41]
	v_max_f32_e32 v22, v22, v22
	v_max_f32_e32 v0, v0, v0
	;; [unrolled: 1-line block ×3, first 2 shown]
	s_mov_b64 s[54:55], 0
.LBB4_8015:                             ;   in Loop: Header=BB4_7875 Depth=3
	s_and_b64 vcc, exec, s[54:55]
	s_cbranch_vccz .LBB4_8023
; %bb.8016:                             ;   in Loop: Header=BB4_7875 Depth=3
	v_mov_b32_e32 v0, 0
	s_and_saveexec_b64 s[54:55], s[46:47]
	s_cbranch_execz .LBB4_8022
; %bb.8017:                             ;   in Loop: Header=BB4_7875 Depth=3
	v_cmp_ne_u32_e32 vcc, s80, v2
	v_bfrev_b32_e32 v0, 1
	s_and_saveexec_b64 s[46:47], vcc
	s_cbranch_execz .LBB4_8021
; %bb.8018:                             ;   in Loop: Header=BB4_7875 Depth=3
	v_bfe_u32 v22, v8, 24, 7
	v_cmp_ne_u32_e32 vcc, s81, v22
	v_mov_b32_e32 v0, 0x7f800001
	s_and_saveexec_b64 s[64:65], vcc
	s_cbranch_execz .LBB4_8020
; %bb.8019:                             ;   in Loop: Header=BB4_7875 Depth=3
	v_and_b32_e32 v0, 7, v2
	v_lshrrev_b32_e32 v24, 3, v22
	v_cmp_gt_u32_e32 vcc, 8, v22
	v_ffbh_u32_e32 v22, v0
	v_min_u32_e32 v25, 32, v22
	v_subrev_u32_e32 v22, 28, v25
	v_lshlrev_b64 v[22:23], v22, v[2:3]
	v_sub_u32_e32 v23, 29, v25
	v_and_b32_e32 v22, 7, v22
	v_cndmask_b32_e32 v23, v24, v23, vcc
	v_cndmask_b32_e32 v0, v0, v22, vcc
	v_lshlrev_b32_e32 v2, 24, v2
	v_lshlrev_b32_e32 v0, 20, v0
	v_and_b32_e32 v2, 0x80000000, v2
	v_lshl_add_u32 v22, v23, 23, v54
	v_or3_b32 v0, v2, v22, v0
.LBB4_8020:                             ;   in Loop: Header=BB4_7875 Depth=3
	s_or_b64 exec, exec, s[64:65]
.LBB4_8021:                             ;   in Loop: Header=BB4_7875 Depth=3
	s_or_b64 exec, exec, s[46:47]
.LBB4_8022:                             ;   in Loop: Header=BB4_7875 Depth=3
	s_or_b64 exec, exec, s[54:55]
	v_mov_b32_e32 v2, 0x7f800001
	v_cndmask_b32_e64 v2, v6, v2, s[44:45]
	v_bfrev_b32_e32 v6, 1
	v_cndmask_b32_e64 v2, v2, v6, s[42:43]
	v_cndmask_b32_e64 v2, v2, 0, s[40:41]
	v_max_f32_e32 v2, v2, v2
	v_max_f32_e32 v0, v0, v0
	v_min_f32_e32 v22, v0, v2
.LBB4_8023:                             ;   in Loop: Header=BB4_7875 Depth=3
	v_and_b32_e32 v2, 0x7f800000, v22
	v_cmp_ne_u64_e32 vcc, s[76:77], v[2:3]
                                        ; implicit-def: $vgpr6
	s_and_saveexec_b64 s[40:41], vcc
	s_xor_b64 s[42:43], exec, s[40:41]
	s_cbranch_execz .LBB4_8037
; %bb.8024:                             ;   in Loop: Header=BB4_7875 Depth=3
	v_and_b32_e32 v2, 0x7fffffff, v22
	v_cmp_gt_u64_e32 vcc, s[78:79], v[2:3]
	v_and_b32_sdwa v25, v22, s80 dst_sel:DWORD dst_unused:UNUSED_PAD src0_sel:BYTE_3 src1_sel:DWORD
                                        ; implicit-def: $vgpr6
	s_and_saveexec_b64 s[40:41], vcc
	s_xor_b64 s[44:45], exec, s[40:41]
	s_cbranch_execz .LBB4_8034
; %bb.8025:                             ;   in Loop: Header=BB4_7875 Depth=3
	v_mov_b32_e32 v6, 0
	v_cmp_ne_u32_e32 vcc, 0, v22
	s_and_saveexec_b64 s[46:47], vcc
	s_cbranch_execz .LBB4_8033
; %bb.8026:                             ;   in Loop: Header=BB4_7875 Depth=3
	v_bfe_u32 v6, v22, 23, 8
	v_cmp_gt_u32_e64 s[40:41], s83, v6
	v_sub_u32_e32 v2, 0x79, v6
	v_and_b32_e32 v0, 0x7fffff, v22
	v_cmp_eq_u32_e32 vcc, 0, v6
	v_cndmask_b32_e64 v2, 0, v2, s[40:41]
	v_mov_b32_e32 v23, 0x78
	v_or_b32_e32 v22, 0x800000, v0
	v_cndmask_b32_e32 v31, v2, v23, vcc
	v_cndmask_b32_e32 v2, v22, v0, vcc
	v_add_u32_e32 v0, 20, v31
	v_lshlrev_b64 v[22:23], v0, -1
	v_add_u32_e32 v0, 19, v31
	v_lshlrev_b64 v[34:35], v0, 1
	v_bfi_b32 v23, v23, 0, 0
	v_bfi_b32 v22, v22, 0, v2
	v_cmp_eq_u64_e64 s[40:41], v[22:23], v[34:35]
	v_lshrrev_b64 v[22:23], v31, v[2:3]
	v_mov_b32_e32 v24, v23
	v_mov_b32_e32 v23, v22
	s_and_saveexec_b64 s[54:55], s[40:41]
; %bb.8027:                             ;   in Loop: Header=BB4_7875 Depth=3
	v_bfe_u32 v0, v22, 20, 1
	v_add_co_u32_e64 v0, s[40:41], v22, v0
	v_add_co_u32_e64 v23, s[40:41], -1, v0
; %bb.8028:                             ;   in Loop: Header=BB4_7875 Depth=3
	s_or_b64 exec, exec, s[54:55]
	v_add_u32_e32 v0, 0xffffff81, v6
	v_mov_b32_e32 v2, 0xffffff82
	v_cndmask_b32_e32 v0, v0, v2, vcc
	v_lshrrev_b32_e32 v2, 23, v22
	v_add3_u32 v24, v31, v0, v2
	v_add_u32_e32 v0, 6, v24
	v_and_b32_e32 v2, 0xfffff, v23
	v_add_u32_e32 v2, v2, v22
	v_cmp_ne_u32_e32 vcc, 0, v0
                                        ; implicit-def: $vgpr22_vgpr23
                                        ; implicit-def: $vgpr6
	s_and_saveexec_b64 s[40:41], vcc
	s_xor_b64 s[40:41], exec, s[40:41]
; %bb.8029:                             ;   in Loop: Header=BB4_7875 Depth=3
	v_cmp_lt_u64_e32 vcc, s[88:89], v[2:3]
	v_add_u32_e32 v6, 7, v24
	v_cndmask_b32_e32 v6, v0, v6, vcc
	v_cndmask_b32_e64 v0, 0, 1, vcc
	v_lshrrev_b64 v[22:23], v0, v[2:3]
; %bb.8030:                             ;   in Loop: Header=BB4_7875 Depth=3
	s_andn2_saveexec_b64 s[40:41], s[40:41]
; %bb.8031:                             ;   in Loop: Header=BB4_7875 Depth=3
	v_mov_b32_e32 v23, v3
	v_bfe_u32 v6, v2, 23, 1
	v_mov_b32_e32 v22, v2
; %bb.8032:                             ;   in Loop: Header=BB4_7875 Depth=3
	s_or_b64 exec, exec, s[40:41]
	v_lshrrev_b64 v[22:23], 20, v[22:23]
	v_cmp_gt_i32_e32 vcc, 16, v6
	v_cndmask_b32_e32 v23, 0, v23, vcc
	v_cndmask_b32_e32 v22, 7, v22, vcc
	v_min_i32_e32 v0, 15, v6
	v_cmp_eq_u64_e64 s[40:41], 0, v[22:23]
	v_lshlrev_b32_e32 v0, 3, v0
	v_cmp_eq_u32_e32 vcc, 0, v6
	v_and_b32_e32 v0, 0xf8, v0
	v_and_or_b32 v0, v22, 7, v0
	s_and_b64 s[40:41], vcc, s[40:41]
	v_cndmask_b32_e64 v0, v0, 0, s[40:41]
	v_or_b32_e32 v6, v0, v25
.LBB4_8033:                             ;   in Loop: Header=BB4_7875 Depth=3
	s_or_b64 exec, exec, s[46:47]
                                        ; implicit-def: $vgpr25
.LBB4_8034:                             ;   in Loop: Header=BB4_7875 Depth=3
	s_andn2_saveexec_b64 s[40:41], s[44:45]
; %bb.8035:                             ;   in Loop: Header=BB4_7875 Depth=3
	v_or_b32_e32 v6, 0x7e, v25
; %bb.8036:                             ;   in Loop: Header=BB4_7875 Depth=3
	s_or_b64 exec, exec, s[40:41]
                                        ; implicit-def: $vgpr22
.LBB4_8037:                             ;   in Loop: Header=BB4_7875 Depth=3
	s_andn2_saveexec_b64 s[40:41], s[42:43]
; %bb.8038:                             ;   in Loop: Header=BB4_7875 Depth=3
	v_or_b32_sdwa v6, v22, s81 dst_sel:DWORD dst_unused:UNUSED_PAD src0_sel:BYTE_3 src1_sel:DWORD
; %bb.8039:                             ;   in Loop: Header=BB4_7875 Depth=3
	s_or_b64 exec, exec, s[40:41]
	v_and_b32_e32 v0, 7, v13
	v_ffbh_u32_e32 v0, v0
	v_and_b32_e32 v22, 0x7f, v13
	v_min_u32_e32 v0, 32, v0
	v_cmp_eq_u32_e64 s[40:41], s81, v22
	v_cmp_gt_u32_e32 vcc, 8, v22
	v_subrev_u32_e32 v22, 28, v0
	v_mov_b32_e32 v2, v13
	v_bfe_u32 v23, v13, 3, 4
	v_sub_u32_e32 v0, 29, v0
	v_cndmask_b32_e32 v22, 0, v22, vcc
	v_cndmask_b32_e32 v0, v23, v0, vcc
	v_lshlrev_b64 v[22:23], v22, v[2:3]
	v_lshlrev_b32_e32 v23, 24, v13
	v_lshlrev_b32_e32 v22, 20, v22
	v_and_b32_e32 v22, 0x700000, v22
	v_and_b32_e32 v23, 0x80000000, v23
	v_lshl_add_u32 v0, v0, 23, v54
	v_or3_b32 v24, v23, v0, v22
	v_mov_b32_e32 v22, v9
	v_mov_b32_e32 v23, v3
	v_cmp_ne_u16_sdwa s[42:43], v9, v3 src0_sel:BYTE_0 src1_sel:DWORD
	s_mov_b64 s[44:45], -1
	s_and_b64 vcc, exec, s[52:53]
                                        ; implicit-def: $vgpr34
	s_cbranch_vccz .LBB4_8053
; %bb.8040:                             ;   in Loop: Header=BB4_7875 Depth=3
	v_mov_b32_e32 v25, 0
	s_and_saveexec_b64 s[44:45], s[42:43]
	s_cbranch_execz .LBB4_8046
; %bb.8041:                             ;   in Loop: Header=BB4_7875 Depth=3
	v_cmp_ne_u16_sdwa vcc, v9, s80 src0_sel:BYTE_0 src1_sel:DWORD
	v_bfrev_b32_e32 v25, 1
	s_and_saveexec_b64 s[46:47], vcc
	s_cbranch_execz .LBB4_8045
; %bb.8042:                             ;   in Loop: Header=BB4_7875 Depth=3
	v_and_b32_e32 v0, 0x7f, v9
	v_cmp_ne_u32_e32 vcc, s81, v0
	v_mov_b32_e32 v25, 0x7f800001
	s_and_saveexec_b64 s[54:55], vcc
	s_cbranch_execz .LBB4_8044
; %bb.8043:                             ;   in Loop: Header=BB4_7875 Depth=3
	v_and_b32_e32 v25, 7, v9
	v_lshrrev_b32_e32 v31, 3, v0
	v_cmp_gt_u32_e32 vcc, 8, v0
	v_ffbh_u32_e32 v0, v25
	v_min_u32_e32 v0, 32, v0
	v_subrev_u32_e32 v25, 28, v0
	v_cndmask_b32_e32 v25, 0, v25, vcc
	v_lshlrev_b64 v[34:35], v25, v[22:23]
	v_sub_u32_e32 v0, 29, v0
	v_cndmask_b32_e32 v0, v31, v0, vcc
	v_lshlrev_b32_e32 v25, 20, v34
	v_lshlrev_b32_e32 v31, 24, v22
	v_and_b32_e32 v25, 0x700000, v25
	v_and_b32_e32 v31, 0x80000000, v31
	v_lshl_add_u32 v0, v0, 23, v54
	v_or3_b32 v25, v31, v0, v25
.LBB4_8044:                             ;   in Loop: Header=BB4_7875 Depth=3
	s_or_b64 exec, exec, s[54:55]
.LBB4_8045:                             ;   in Loop: Header=BB4_7875 Depth=3
	s_or_b64 exec, exec, s[46:47]
.LBB4_8046:                             ;   in Loop: Header=BB4_7875 Depth=3
	s_or_b64 exec, exec, s[44:45]
	v_cmp_gt_i16_sdwa s[46:47], v13, s81 src0_sel:BYTE_0 src1_sel:DWORD
	s_mov_b64 s[44:45], 0
	s_and_saveexec_b64 vcc, s[46:47]
	s_xor_b64 s[46:47], exec, vcc
	s_cbranch_execz .LBB4_8543
; %bb.8047:                             ;   in Loop: Header=BB4_7875 Depth=3
	v_cmp_eq_u16_sdwa s[54:55], v13, s80 src0_sel:BYTE_0 src1_sel:DWORD
	s_mov_b64 s[44:45], -1
	s_and_saveexec_b64 vcc, s[54:55]
; %bb.8048:                             ;   in Loop: Header=BB4_7875 Depth=3
	s_xor_b64 s[44:45], exec, -1
; %bb.8049:                             ;   in Loop: Header=BB4_7875 Depth=3
	s_or_b64 exec, exec, vcc
	s_and_b64 s[44:45], s[44:45], exec
	s_or_saveexec_b64 s[46:47], s[46:47]
	v_bfrev_b32_e32 v0, 1
	s_xor_b64 exec, exec, s[46:47]
	s_cbranch_execnz .LBB4_8544
.LBB4_8050:                             ;   in Loop: Header=BB4_7875 Depth=3
	s_or_b64 exec, exec, s[46:47]
	s_and_saveexec_b64 s[46:47], s[44:45]
.LBB4_8051:                             ;   in Loop: Header=BB4_7875 Depth=3
	v_mov_b32_e32 v0, 0x7f800001
	v_cndmask_b32_e64 v0, v24, v0, s[40:41]
.LBB4_8052:                             ;   in Loop: Header=BB4_7875 Depth=3
	s_or_b64 exec, exec, s[46:47]
	v_max_f32_e32 v0, v0, v0
	v_max_f32_e32 v25, v25, v25
	;; [unrolled: 1-line block ×3, first 2 shown]
	s_mov_b64 s[44:45], 0
.LBB4_8053:                             ;   in Loop: Header=BB4_7875 Depth=3
	s_and_b64 vcc, exec, s[44:45]
	s_cbranch_vccz .LBB4_8067
; %bb.8054:                             ;   in Loop: Header=BB4_7875 Depth=3
	v_mov_b32_e32 v25, 0
	s_and_saveexec_b64 s[44:45], s[42:43]
	s_cbranch_execz .LBB4_8060
; %bb.8055:                             ;   in Loop: Header=BB4_7875 Depth=3
	v_cmp_ne_u16_sdwa s[46:47], v9, s80 src0_sel:BYTE_0 src1_sel:DWORD
	v_bfrev_b32_e32 v25, 1
	s_and_saveexec_b64 s[42:43], s[46:47]
	s_cbranch_execz .LBB4_8059
; %bb.8056:                             ;   in Loop: Header=BB4_7875 Depth=3
	v_and_b32_e32 v0, 0x7f, v9
	v_cmp_ne_u32_e32 vcc, s81, v0
	v_mov_b32_e32 v25, 0x7f800001
	s_and_saveexec_b64 s[46:47], vcc
	s_cbranch_execz .LBB4_8058
; %bb.8057:                             ;   in Loop: Header=BB4_7875 Depth=3
	v_and_b32_e32 v25, 7, v9
	v_lshrrev_b32_e32 v31, 3, v0
	v_cmp_gt_u32_e32 vcc, 8, v0
	v_ffbh_u32_e32 v0, v25
	v_min_u32_e32 v0, 32, v0
	v_subrev_u32_e32 v25, 28, v0
	v_cndmask_b32_e32 v25, 0, v25, vcc
	v_lshlrev_b64 v[34:35], v25, v[22:23]
	v_sub_u32_e32 v0, 29, v0
	v_cndmask_b32_e32 v0, v31, v0, vcc
	v_lshlrev_b32_e32 v23, 20, v34
	v_lshlrev_b32_e32 v25, 24, v22
	v_and_b32_e32 v23, 0x700000, v23
	v_and_b32_e32 v25, 0x80000000, v25
	v_lshl_add_u32 v0, v0, 23, v54
	v_or3_b32 v25, v25, v0, v23
.LBB4_8058:                             ;   in Loop: Header=BB4_7875 Depth=3
	s_or_b64 exec, exec, s[46:47]
.LBB4_8059:                             ;   in Loop: Header=BB4_7875 Depth=3
	s_or_b64 exec, exec, s[42:43]
.LBB4_8060:                             ;   in Loop: Header=BB4_7875 Depth=3
	s_or_b64 exec, exec, s[44:45]
	v_cmp_gt_i16_sdwa s[44:45], v13, s81 src0_sel:BYTE_0 src1_sel:DWORD
	s_mov_b64 s[42:43], 0
	s_and_saveexec_b64 s[46:47], s[44:45]
	s_xor_b64 s[44:45], exec, s[46:47]
	s_cbranch_execz .LBB4_8545
; %bb.8061:                             ;   in Loop: Header=BB4_7875 Depth=3
	v_cmp_eq_u16_sdwa vcc, v13, s80 src0_sel:BYTE_0 src1_sel:DWORD
	s_mov_b64 s[42:43], -1
	s_and_saveexec_b64 s[46:47], vcc
; %bb.8062:                             ;   in Loop: Header=BB4_7875 Depth=3
	s_xor_b64 s[42:43], exec, -1
; %bb.8063:                             ;   in Loop: Header=BB4_7875 Depth=3
	s_or_b64 exec, exec, s[46:47]
	s_and_b64 s[42:43], s[42:43], exec
	s_or_saveexec_b64 s[44:45], s[44:45]
	v_bfrev_b32_e32 v0, 1
	s_xor_b64 exec, exec, s[44:45]
	s_cbranch_execnz .LBB4_8546
.LBB4_8064:                             ;   in Loop: Header=BB4_7875 Depth=3
	s_or_b64 exec, exec, s[44:45]
	s_and_saveexec_b64 s[44:45], s[42:43]
.LBB4_8065:                             ;   in Loop: Header=BB4_7875 Depth=3
	v_mov_b32_e32 v0, 0x7f800001
	v_cndmask_b32_e64 v0, v24, v0, s[40:41]
.LBB4_8066:                             ;   in Loop: Header=BB4_7875 Depth=3
	s_or_b64 exec, exec, s[44:45]
	v_max_f32_e32 v0, v0, v0
	v_max_f32_e32 v23, v25, v25
	v_min_f32_e32 v34, v23, v0
.LBB4_8067:                             ;   in Loop: Header=BB4_7875 Depth=3
	v_and_b32_e32 v23, 0x7f800000, v34
	v_mov_b32_e32 v24, v3
	v_cmp_ne_u64_e32 vcc, s[76:77], v[23:24]
                                        ; implicit-def: $vgpr25
	s_and_saveexec_b64 s[40:41], vcc
	s_xor_b64 s[42:43], exec, s[40:41]
	s_cbranch_execz .LBB4_8081
; %bb.8068:                             ;   in Loop: Header=BB4_7875 Depth=3
	v_and_b32_e32 v23, 0x7fffffff, v34
	v_mov_b32_e32 v24, v3
	v_cmp_gt_u64_e32 vcc, s[78:79], v[23:24]
	v_and_b32_sdwa v31, v34, s80 dst_sel:DWORD dst_unused:UNUSED_PAD src0_sel:BYTE_3 src1_sel:DWORD
                                        ; implicit-def: $vgpr25
	s_and_saveexec_b64 s[40:41], vcc
	s_xor_b64 s[44:45], exec, s[40:41]
	s_cbranch_execz .LBB4_8078
; %bb.8069:                             ;   in Loop: Header=BB4_7875 Depth=3
	v_mov_b32_e32 v25, 0
	v_cmp_ne_u32_e32 vcc, 0, v34
	s_and_saveexec_b64 s[46:47], vcc
	s_cbranch_execz .LBB4_8077
; %bb.8070:                             ;   in Loop: Header=BB4_7875 Depth=3
	v_and_b32_e32 v0, 0x7fffff, v34
	v_bfe_u32 v34, v34, 23, 8
	v_cmp_gt_u32_e64 s[40:41], s83, v34
	v_sub_u32_e32 v23, 0x79, v34
	v_cmp_eq_u32_e32 vcc, 0, v34
	v_cndmask_b32_e64 v23, 0, v23, s[40:41]
	v_mov_b32_e32 v25, 0x78
	v_or_b32_e32 v24, 0x800000, v0
	v_cndmask_b32_e32 v35, v23, v25, vcc
	v_cndmask_b32_e32 v23, v24, v0, vcc
	v_add_u32_e32 v0, 20, v35
	v_lshlrev_b64 v[36:37], v0, -1
	v_mov_b32_e32 v24, v3
	v_add_u32_e32 v0, 19, v35
	v_bfi_b32 v36, v36, 0, v23
	v_lshlrev_b64 v[50:51], v0, 1
	v_lshrrev_b64 v[23:24], v35, v[23:24]
	v_bfi_b32 v37, v37, 0, 0
	v_cmp_eq_u64_e64 s[40:41], v[36:37], v[50:51]
	v_mov_b32_e32 v25, v24
	v_mov_b32_e32 v24, v23
	s_and_saveexec_b64 s[54:55], s[40:41]
; %bb.8071:                             ;   in Loop: Header=BB4_7875 Depth=3
	v_bfe_u32 v0, v23, 20, 1
	v_add_co_u32_e64 v0, s[40:41], v23, v0
	v_add_co_u32_e64 v24, s[40:41], -1, v0
; %bb.8072:                             ;   in Loop: Header=BB4_7875 Depth=3
	s_or_b64 exec, exec, s[54:55]
	v_add_u32_e32 v0, 0xffffff81, v34
	v_mov_b32_e32 v25, 0xffffff82
	v_cndmask_b32_e32 v0, v0, v25, vcc
	v_lshrrev_b32_e32 v25, 23, v23
	v_add3_u32 v34, v35, v0, v25
	v_add_u32_e32 v0, 6, v34
	v_and_b32_e32 v24, 0xfffff, v24
	v_add_u32_e32 v23, v24, v23
	v_mov_b32_e32 v24, v3
	v_cmp_ne_u32_e32 vcc, 0, v0
                                        ; implicit-def: $vgpr25
	s_and_saveexec_b64 s[40:41], vcc
	s_xor_b64 s[40:41], exec, s[40:41]
; %bb.8073:                             ;   in Loop: Header=BB4_7875 Depth=3
	v_cmp_lt_u64_e32 vcc, s[88:89], v[23:24]
	v_add_u32_e32 v25, 7, v34
	v_cndmask_b32_e32 v25, v0, v25, vcc
	v_cndmask_b32_e64 v0, 0, 1, vcc
	v_lshrrev_b64 v[23:24], v0, v[23:24]
; %bb.8074:                             ;   in Loop: Header=BB4_7875 Depth=3
	s_andn2_saveexec_b64 s[40:41], s[40:41]
; %bb.8075:                             ;   in Loop: Header=BB4_7875 Depth=3
	v_bfe_u32 v25, v23, 23, 1
; %bb.8076:                             ;   in Loop: Header=BB4_7875 Depth=3
	s_or_b64 exec, exec, s[40:41]
	v_lshrrev_b64 v[23:24], 20, v[23:24]
	v_cmp_gt_i32_e32 vcc, 16, v25
	v_cndmask_b32_e32 v24, 0, v24, vcc
	v_cndmask_b32_e32 v23, 7, v23, vcc
	v_min_i32_e32 v0, 15, v25
	v_cmp_eq_u64_e64 s[40:41], 0, v[23:24]
	v_lshlrev_b32_e32 v0, 3, v0
	v_cmp_eq_u32_e32 vcc, 0, v25
	v_and_b32_e32 v0, 0xf8, v0
	v_and_or_b32 v0, v23, 7, v0
	s_and_b64 s[40:41], vcc, s[40:41]
	v_cndmask_b32_e64 v0, v0, 0, s[40:41]
	v_or_b32_e32 v25, v0, v31
.LBB4_8077:                             ;   in Loop: Header=BB4_7875 Depth=3
	s_or_b64 exec, exec, s[46:47]
                                        ; implicit-def: $vgpr31
.LBB4_8078:                             ;   in Loop: Header=BB4_7875 Depth=3
	s_andn2_saveexec_b64 s[40:41], s[44:45]
; %bb.8079:                             ;   in Loop: Header=BB4_7875 Depth=3
	v_or_b32_e32 v25, 0x7e, v31
; %bb.8080:                             ;   in Loop: Header=BB4_7875 Depth=3
	s_or_b64 exec, exec, s[40:41]
                                        ; implicit-def: $vgpr34
.LBB4_8081:                             ;   in Loop: Header=BB4_7875 Depth=3
	s_andn2_saveexec_b64 s[40:41], s[42:43]
; %bb.8082:                             ;   in Loop: Header=BB4_7875 Depth=3
	v_or_b32_sdwa v25, v34, s81 dst_sel:DWORD dst_unused:UNUSED_PAD src0_sel:BYTE_3 src1_sel:DWORD
; %bb.8083:                             ;   in Loop: Header=BB4_7875 Depth=3
	s_or_b64 exec, exec, s[40:41]
	v_lshrrev_b16_e32 v2, 8, v2
	v_and_b32_e32 v0, 7, v2
	v_and_b32_e32 v24, 0x7f, v2
	v_cmp_eq_u32_e64 s[40:41], s81, v24
	v_cmp_gt_u32_e32 vcc, 8, v24
	v_ffbh_u32_e32 v24, v0
	v_min_u32_e32 v24, 32, v24
	v_subrev_u32_e32 v34, 28, v24
	v_lshlrev_b64 v[34:35], v34, v[2:3]
	v_bfe_u32 v31, v2, 3, 4
	v_sub_u32_e32 v24, 29, v24
	v_and_b32_e32 v34, 7, v34
	v_cndmask_b32_e32 v24, v31, v24, vcc
	v_cndmask_b32_e32 v0, v0, v34, vcc
	v_lshlrev_b32_e32 v31, 24, v2
	v_lshrrev_b16_e32 v23, 8, v22
	v_lshlrev_b32_e32 v0, 20, v0
	v_and_b32_e32 v31, 0x80000000, v31
	v_lshl_add_u32 v24, v24, 23, v54
	v_or3_b32 v24, v31, v24, v0
	v_cmp_ne_u16_e64 s[42:43], 0, v23
	s_mov_b64 s[44:45], -1
	s_and_b64 vcc, exec, s[52:53]
                                        ; implicit-def: $vgpr35
	s_cbranch_vccz .LBB4_8097
; %bb.8084:                             ;   in Loop: Header=BB4_7875 Depth=3
	v_mov_b32_e32 v31, 0
	s_and_saveexec_b64 s[44:45], s[42:43]
	s_cbranch_execz .LBB4_8090
; %bb.8085:                             ;   in Loop: Header=BB4_7875 Depth=3
	v_cmp_ne_u16_e32 vcc, s80, v23
	v_bfrev_b32_e32 v31, 1
	s_and_saveexec_b64 s[46:47], vcc
	s_cbranch_execz .LBB4_8089
; %bb.8086:                             ;   in Loop: Header=BB4_7875 Depth=3
	v_and_b32_e32 v0, 0x7f, v23
	v_cmp_ne_u32_e32 vcc, s81, v0
	v_mov_b32_e32 v31, 0x7f800001
	s_and_saveexec_b64 s[54:55], vcc
	s_cbranch_execz .LBB4_8088
; %bb.8087:                             ;   in Loop: Header=BB4_7875 Depth=3
	v_and_b32_e32 v31, 7, v23
	v_lshrrev_b32_e32 v36, 3, v0
	v_cmp_gt_u32_e32 vcc, 8, v0
	v_ffbh_u32_e32 v0, v31
	v_min_u32_e32 v0, 32, v0
	v_subrev_u32_e32 v34, 28, v0
	v_lshlrev_b64 v[34:35], v34, v[23:24]
	v_sub_u32_e32 v0, 29, v0
	v_and_b32_e32 v34, 7, v34
	v_cndmask_b32_e32 v0, v36, v0, vcc
	v_cndmask_b32_e32 v31, v31, v34, vcc
	v_lshlrev_b32_e32 v34, 16, v22
	v_lshlrev_b32_e32 v31, 20, v31
	v_and_b32_e32 v34, 0x80000000, v34
	v_lshl_add_u32 v0, v0, 23, v54
	v_or3_b32 v31, v34, v0, v31
.LBB4_8088:                             ;   in Loop: Header=BB4_7875 Depth=3
	s_or_b64 exec, exec, s[54:55]
.LBB4_8089:                             ;   in Loop: Header=BB4_7875 Depth=3
	s_or_b64 exec, exec, s[46:47]
.LBB4_8090:                             ;   in Loop: Header=BB4_7875 Depth=3
	s_or_b64 exec, exec, s[44:45]
	v_cmp_lt_i16_e32 vcc, s81, v2
	s_mov_b64 s[44:45], 0
	s_and_saveexec_b64 s[46:47], vcc
	s_xor_b64 s[46:47], exec, s[46:47]
	s_cbranch_execz .LBB4_8547
; %bb.8091:                             ;   in Loop: Header=BB4_7875 Depth=3
	v_cmp_eq_u16_e32 vcc, s80, v2
	s_mov_b64 s[44:45], -1
	s_and_saveexec_b64 s[54:55], vcc
; %bb.8092:                             ;   in Loop: Header=BB4_7875 Depth=3
	s_xor_b64 s[44:45], exec, -1
; %bb.8093:                             ;   in Loop: Header=BB4_7875 Depth=3
	s_or_b64 exec, exec, s[54:55]
	s_and_b64 s[44:45], s[44:45], exec
	s_or_saveexec_b64 s[46:47], s[46:47]
	v_bfrev_b32_e32 v0, 1
	s_xor_b64 exec, exec, s[46:47]
	s_cbranch_execnz .LBB4_8548
.LBB4_8094:                             ;   in Loop: Header=BB4_7875 Depth=3
	s_or_b64 exec, exec, s[46:47]
	s_and_saveexec_b64 s[46:47], s[44:45]
.LBB4_8095:                             ;   in Loop: Header=BB4_7875 Depth=3
	v_mov_b32_e32 v0, 0x7f800001
	v_cndmask_b32_e64 v0, v24, v0, s[40:41]
.LBB4_8096:                             ;   in Loop: Header=BB4_7875 Depth=3
	s_or_b64 exec, exec, s[46:47]
	v_max_f32_e32 v0, v0, v0
	v_max_f32_e32 v31, v31, v31
	;; [unrolled: 1-line block ×3, first 2 shown]
	s_mov_b64 s[44:45], 0
.LBB4_8097:                             ;   in Loop: Header=BB4_7875 Depth=3
	s_and_b64 vcc, exec, s[44:45]
	s_cbranch_vccz .LBB4_8111
; %bb.8098:                             ;   in Loop: Header=BB4_7875 Depth=3
	v_mov_b32_e32 v31, 0
	s_and_saveexec_b64 s[44:45], s[42:43]
	s_cbranch_execz .LBB4_8104
; %bb.8099:                             ;   in Loop: Header=BB4_7875 Depth=3
	v_cmp_ne_u16_e32 vcc, s80, v23
	v_bfrev_b32_e32 v31, 1
	s_and_saveexec_b64 s[42:43], vcc
	s_cbranch_execz .LBB4_8103
; %bb.8100:                             ;   in Loop: Header=BB4_7875 Depth=3
	v_and_b32_e32 v0, 0x7f, v23
	v_cmp_ne_u32_e32 vcc, s81, v0
	v_mov_b32_e32 v31, 0x7f800001
	s_and_saveexec_b64 s[46:47], vcc
	s_cbranch_execz .LBB4_8102
; %bb.8101:                             ;   in Loop: Header=BB4_7875 Depth=3
	v_and_b32_e32 v31, 7, v23
	v_lshrrev_b32_e32 v36, 3, v0
	v_cmp_gt_u32_e32 vcc, 8, v0
	v_ffbh_u32_e32 v0, v31
	v_min_u32_e32 v0, 32, v0
	v_subrev_u32_e32 v34, 28, v0
	v_lshlrev_b64 v[34:35], v34, v[23:24]
	v_sub_u32_e32 v0, 29, v0
	v_and_b32_e32 v23, 7, v34
	v_cndmask_b32_e32 v0, v36, v0, vcc
	v_cndmask_b32_e32 v23, v31, v23, vcc
	v_lshlrev_b32_e32 v22, 16, v22
	v_lshlrev_b32_e32 v23, 20, v23
	v_and_b32_e32 v22, 0x80000000, v22
	v_lshl_add_u32 v0, v0, 23, v54
	v_or3_b32 v31, v22, v0, v23
.LBB4_8102:                             ;   in Loop: Header=BB4_7875 Depth=3
	s_or_b64 exec, exec, s[46:47]
.LBB4_8103:                             ;   in Loop: Header=BB4_7875 Depth=3
	s_or_b64 exec, exec, s[42:43]
.LBB4_8104:                             ;   in Loop: Header=BB4_7875 Depth=3
	s_or_b64 exec, exec, s[44:45]
	v_cmp_lt_i16_e32 vcc, s81, v2
	s_mov_b64 s[42:43], 0
	s_and_saveexec_b64 s[44:45], vcc
	s_xor_b64 s[44:45], exec, s[44:45]
	s_cbranch_execz .LBB4_8549
; %bb.8105:                             ;   in Loop: Header=BB4_7875 Depth=3
	v_cmp_eq_u16_e32 vcc, s80, v2
	s_mov_b64 s[42:43], -1
	s_and_saveexec_b64 s[46:47], vcc
; %bb.8106:                             ;   in Loop: Header=BB4_7875 Depth=3
	s_xor_b64 s[42:43], exec, -1
; %bb.8107:                             ;   in Loop: Header=BB4_7875 Depth=3
	s_or_b64 exec, exec, s[46:47]
	s_and_b64 s[42:43], s[42:43], exec
	s_or_saveexec_b64 s[44:45], s[44:45]
	v_bfrev_b32_e32 v0, 1
	s_xor_b64 exec, exec, s[44:45]
	s_cbranch_execnz .LBB4_8550
.LBB4_8108:                             ;   in Loop: Header=BB4_7875 Depth=3
	s_or_b64 exec, exec, s[44:45]
	s_and_saveexec_b64 s[44:45], s[42:43]
.LBB4_8109:                             ;   in Loop: Header=BB4_7875 Depth=3
	v_mov_b32_e32 v0, 0x7f800001
	v_cndmask_b32_e64 v0, v24, v0, s[40:41]
.LBB4_8110:                             ;   in Loop: Header=BB4_7875 Depth=3
	s_or_b64 exec, exec, s[44:45]
	v_max_f32_e32 v0, v0, v0
	v_max_f32_e32 v2, v31, v31
	v_min_f32_e32 v35, v2, v0
.LBB4_8111:                             ;   in Loop: Header=BB4_7875 Depth=3
	v_and_b32_e32 v2, 0x7f800000, v35
	v_cmp_ne_u64_e32 vcc, s[76:77], v[2:3]
                                        ; implicit-def: $vgpr31
	s_and_saveexec_b64 s[40:41], vcc
	s_xor_b64 s[42:43], exec, s[40:41]
	s_cbranch_execz .LBB4_8125
; %bb.8112:                             ;   in Loop: Header=BB4_7875 Depth=3
	v_and_b32_e32 v2, 0x7fffffff, v35
	v_cmp_gt_u64_e32 vcc, s[78:79], v[2:3]
	v_and_b32_sdwa v34, v35, s80 dst_sel:DWORD dst_unused:UNUSED_PAD src0_sel:BYTE_3 src1_sel:DWORD
                                        ; implicit-def: $vgpr31
	s_and_saveexec_b64 s[40:41], vcc
	s_xor_b64 s[44:45], exec, s[40:41]
	s_cbranch_execz .LBB4_8122
; %bb.8113:                             ;   in Loop: Header=BB4_7875 Depth=3
	v_mov_b32_e32 v31, 0
	v_cmp_ne_u32_e32 vcc, 0, v35
	s_and_saveexec_b64 s[46:47], vcc
	s_cbranch_execz .LBB4_8121
; %bb.8114:                             ;   in Loop: Header=BB4_7875 Depth=3
	v_bfe_u32 v31, v35, 23, 8
	v_cmp_gt_u32_e64 s[40:41], s83, v31
	v_sub_u32_e32 v2, 0x79, v31
	v_and_b32_e32 v0, 0x7fffff, v35
	v_cmp_eq_u32_e32 vcc, 0, v31
	v_cndmask_b32_e64 v2, 0, v2, s[40:41]
	v_mov_b32_e32 v23, 0x78
	v_or_b32_e32 v22, 0x800000, v0
	v_cndmask_b32_e32 v35, v2, v23, vcc
	v_cndmask_b32_e32 v2, v22, v0, vcc
	v_add_u32_e32 v0, 20, v35
	v_lshlrev_b64 v[22:23], v0, -1
	v_add_u32_e32 v0, 19, v35
	v_lshlrev_b64 v[36:37], v0, 1
	v_bfi_b32 v23, v23, 0, 0
	v_bfi_b32 v22, v22, 0, v2
	v_cmp_eq_u64_e64 s[40:41], v[22:23], v[36:37]
	v_lshrrev_b64 v[22:23], v35, v[2:3]
	v_mov_b32_e32 v24, v23
	v_mov_b32_e32 v23, v22
	s_and_saveexec_b64 s[54:55], s[40:41]
; %bb.8115:                             ;   in Loop: Header=BB4_7875 Depth=3
	v_bfe_u32 v0, v22, 20, 1
	v_add_co_u32_e64 v0, s[40:41], v22, v0
	v_add_co_u32_e64 v23, s[40:41], -1, v0
; %bb.8116:                             ;   in Loop: Header=BB4_7875 Depth=3
	s_or_b64 exec, exec, s[54:55]
	v_add_u32_e32 v0, 0xffffff81, v31
	v_mov_b32_e32 v2, 0xffffff82
	v_cndmask_b32_e32 v0, v0, v2, vcc
	v_lshrrev_b32_e32 v2, 23, v22
	v_add3_u32 v31, v35, v0, v2
	v_add_u32_e32 v0, 6, v31
	v_and_b32_e32 v2, 0xfffff, v23
	v_add_u32_e32 v2, v2, v22
	v_cmp_ne_u32_e32 vcc, 0, v0
                                        ; implicit-def: $vgpr22_vgpr23
                                        ; implicit-def: $vgpr24
	s_and_saveexec_b64 s[40:41], vcc
	s_xor_b64 s[40:41], exec, s[40:41]
; %bb.8117:                             ;   in Loop: Header=BB4_7875 Depth=3
	v_cmp_lt_u64_e32 vcc, s[88:89], v[2:3]
	v_add_u32_e32 v22, 7, v31
	v_cndmask_b32_e32 v24, v0, v22, vcc
	v_cndmask_b32_e64 v0, 0, 1, vcc
	v_lshrrev_b64 v[22:23], v0, v[2:3]
; %bb.8118:                             ;   in Loop: Header=BB4_7875 Depth=3
	s_andn2_saveexec_b64 s[40:41], s[40:41]
; %bb.8119:                             ;   in Loop: Header=BB4_7875 Depth=3
	v_mov_b32_e32 v23, v3
	v_bfe_u32 v24, v2, 23, 1
	v_mov_b32_e32 v22, v2
; %bb.8120:                             ;   in Loop: Header=BB4_7875 Depth=3
	s_or_b64 exec, exec, s[40:41]
	v_lshrrev_b64 v[22:23], 20, v[22:23]
	v_cmp_gt_i32_e32 vcc, 16, v24
	v_cndmask_b32_e32 v23, 0, v23, vcc
	v_cndmask_b32_e32 v22, 7, v22, vcc
	v_min_i32_e32 v0, 15, v24
	v_cmp_eq_u64_e64 s[40:41], 0, v[22:23]
	v_lshlrev_b32_e32 v0, 3, v0
	v_cmp_eq_u32_e32 vcc, 0, v24
	v_and_b32_e32 v0, 0xf8, v0
	v_and_or_b32 v0, v22, 7, v0
	s_and_b64 s[40:41], vcc, s[40:41]
	v_cndmask_b32_e64 v0, v0, 0, s[40:41]
	v_or_b32_e32 v31, v0, v34
.LBB4_8121:                             ;   in Loop: Header=BB4_7875 Depth=3
	s_or_b64 exec, exec, s[46:47]
                                        ; implicit-def: $vgpr34
.LBB4_8122:                             ;   in Loop: Header=BB4_7875 Depth=3
	s_andn2_saveexec_b64 s[40:41], s[44:45]
; %bb.8123:                             ;   in Loop: Header=BB4_7875 Depth=3
	v_or_b32_e32 v31, 0x7e, v34
; %bb.8124:                             ;   in Loop: Header=BB4_7875 Depth=3
	s_or_b64 exec, exec, s[40:41]
                                        ; implicit-def: $vgpr35
.LBB4_8125:                             ;   in Loop: Header=BB4_7875 Depth=3
	s_andn2_saveexec_b64 s[40:41], s[42:43]
; %bb.8126:                             ;   in Loop: Header=BB4_7875 Depth=3
	v_or_b32_sdwa v31, v35, s81 dst_sel:DWORD dst_unused:UNUSED_PAD src0_sel:BYTE_3 src1_sel:DWORD
; %bb.8127:                             ;   in Loop: Header=BB4_7875 Depth=3
	s_or_b64 exec, exec, s[40:41]
	v_bfe_u32 v0, v13, 16, 3
	v_bfe_u32 v22, v13, 16, 7
	v_cmp_eq_u32_e64 s[40:41], s81, v22
	v_cmp_gt_u32_e32 vcc, 8, v22
	v_ffbh_u32_e32 v22, v0
	v_min_u32_e32 v34, 32, v22
	v_lshrrev_b32_e32 v2, 16, v13
	v_subrev_u32_e32 v22, 28, v34
	v_lshlrev_b64 v[22:23], v22, v[2:3]
	v_bfe_u32 v24, v2, 3, 4
	v_sub_u32_e32 v23, 29, v34
	v_and_b32_e32 v22, 7, v22
	v_cndmask_b32_e32 v23, v24, v23, vcc
	v_cndmask_b32_e32 v0, v0, v22, vcc
	v_lshlrev_b32_e32 v22, 8, v13
	v_lshlrev_b32_e32 v0, 20, v0
	v_and_b32_e32 v22, 0x80000000, v22
	v_lshl_add_u32 v23, v23, 23, v54
	v_or3_b32 v23, v22, v23, v0
	v_lshrrev_b32_e32 v22, 16, v9
	v_cmp_ne_u16_sdwa s[42:43], v22, v3 src0_sel:BYTE_0 src1_sel:DWORD
	s_mov_b64 s[44:45], -1
	s_and_b64 vcc, exec, s[52:53]
                                        ; implicit-def: $vgpr35
	s_cbranch_vccz .LBB4_8141
; %bb.8128:                             ;   in Loop: Header=BB4_7875 Depth=3
	v_mov_b32_e32 v24, 0
	s_and_saveexec_b64 s[44:45], s[42:43]
	s_cbranch_execz .LBB4_8134
; %bb.8129:                             ;   in Loop: Header=BB4_7875 Depth=3
	v_cmp_ne_u16_sdwa vcc, v22, s80 src0_sel:BYTE_0 src1_sel:DWORD
	v_bfrev_b32_e32 v24, 1
	s_and_saveexec_b64 s[46:47], vcc
	s_cbranch_execz .LBB4_8133
; %bb.8130:                             ;   in Loop: Header=BB4_7875 Depth=3
	v_bfe_u32 v0, v9, 16, 7
	v_cmp_ne_u32_e32 vcc, s81, v0
	v_mov_b32_e32 v24, 0x7f800001
	s_and_saveexec_b64 s[54:55], vcc
	s_cbranch_execz .LBB4_8132
; %bb.8131:                             ;   in Loop: Header=BB4_7875 Depth=3
	v_and_b32_e32 v24, 7, v22
	v_lshrrev_b32_e32 v36, 3, v0
	v_cmp_gt_u32_e32 vcc, 8, v0
	v_ffbh_u32_e32 v0, v24
	v_min_u32_e32 v0, 32, v0
	v_subrev_u32_e32 v34, 28, v0
	v_lshlrev_b64 v[34:35], v34, v[22:23]
	v_sub_u32_e32 v0, 29, v0
	v_and_b32_e32 v34, 7, v34
	v_cndmask_b32_e32 v0, v36, v0, vcc
	v_cndmask_b32_e32 v24, v24, v34, vcc
	v_lshlrev_b32_e32 v34, 24, v22
	v_lshlrev_b32_e32 v24, 20, v24
	v_and_b32_e32 v34, 0x80000000, v34
	v_lshl_add_u32 v0, v0, 23, v54
	v_or3_b32 v24, v34, v0, v24
.LBB4_8132:                             ;   in Loop: Header=BB4_7875 Depth=3
	s_or_b64 exec, exec, s[54:55]
.LBB4_8133:                             ;   in Loop: Header=BB4_7875 Depth=3
	s_or_b64 exec, exec, s[46:47]
.LBB4_8134:                             ;   in Loop: Header=BB4_7875 Depth=3
	s_or_b64 exec, exec, s[44:45]
	v_cmp_gt_i16_sdwa s[46:47], v2, s81 src0_sel:BYTE_0 src1_sel:DWORD
	s_mov_b64 s[44:45], 0
	s_and_saveexec_b64 vcc, s[46:47]
	s_xor_b64 s[46:47], exec, vcc
	s_cbranch_execz .LBB4_8551
; %bb.8135:                             ;   in Loop: Header=BB4_7875 Depth=3
	v_cmp_eq_u16_sdwa s[54:55], v2, s80 src0_sel:BYTE_0 src1_sel:DWORD
	s_mov_b64 s[44:45], -1
	s_and_saveexec_b64 vcc, s[54:55]
; %bb.8136:                             ;   in Loop: Header=BB4_7875 Depth=3
	s_xor_b64 s[44:45], exec, -1
; %bb.8137:                             ;   in Loop: Header=BB4_7875 Depth=3
	s_or_b64 exec, exec, vcc
	s_and_b64 s[44:45], s[44:45], exec
	s_or_saveexec_b64 s[46:47], s[46:47]
	v_bfrev_b32_e32 v0, 1
	s_xor_b64 exec, exec, s[46:47]
	s_cbranch_execnz .LBB4_8552
.LBB4_8138:                             ;   in Loop: Header=BB4_7875 Depth=3
	s_or_b64 exec, exec, s[46:47]
	s_and_saveexec_b64 s[46:47], s[44:45]
.LBB4_8139:                             ;   in Loop: Header=BB4_7875 Depth=3
	v_mov_b32_e32 v0, 0x7f800001
	v_cndmask_b32_e64 v0, v23, v0, s[40:41]
.LBB4_8140:                             ;   in Loop: Header=BB4_7875 Depth=3
	s_or_b64 exec, exec, s[46:47]
	v_max_f32_e32 v0, v0, v0
	v_max_f32_e32 v24, v24, v24
	;; [unrolled: 1-line block ×3, first 2 shown]
	s_mov_b64 s[44:45], 0
.LBB4_8141:                             ;   in Loop: Header=BB4_7875 Depth=3
	s_and_b64 vcc, exec, s[44:45]
	s_cbranch_vccz .LBB4_8155
; %bb.8142:                             ;   in Loop: Header=BB4_7875 Depth=3
	v_mov_b32_e32 v24, 0
	s_and_saveexec_b64 s[44:45], s[42:43]
	s_cbranch_execz .LBB4_8148
; %bb.8143:                             ;   in Loop: Header=BB4_7875 Depth=3
	v_cmp_ne_u16_sdwa s[46:47], v22, s80 src0_sel:BYTE_0 src1_sel:DWORD
	v_bfrev_b32_e32 v24, 1
	s_and_saveexec_b64 s[42:43], s[46:47]
	s_cbranch_execz .LBB4_8147
; %bb.8144:                             ;   in Loop: Header=BB4_7875 Depth=3
	v_bfe_u32 v0, v9, 16, 7
	v_cmp_ne_u32_e32 vcc, s81, v0
	v_mov_b32_e32 v24, 0x7f800001
	s_and_saveexec_b64 s[46:47], vcc
	s_cbranch_execz .LBB4_8146
; %bb.8145:                             ;   in Loop: Header=BB4_7875 Depth=3
	v_and_b32_e32 v24, 7, v22
	v_lshrrev_b32_e32 v36, 3, v0
	v_cmp_gt_u32_e32 vcc, 8, v0
	v_ffbh_u32_e32 v0, v24
	v_min_u32_e32 v0, 32, v0
	v_subrev_u32_e32 v34, 28, v0
	v_lshlrev_b64 v[34:35], v34, v[22:23]
	v_sub_u32_e32 v0, 29, v0
	v_and_b32_e32 v34, 7, v34
	v_cndmask_b32_e32 v0, v36, v0, vcc
	v_cndmask_b32_e32 v24, v24, v34, vcc
	v_lshlrev_b32_e32 v22, 24, v22
	v_lshlrev_b32_e32 v24, 20, v24
	v_and_b32_e32 v22, 0x80000000, v22
	v_lshl_add_u32 v0, v0, 23, v54
	v_or3_b32 v24, v22, v0, v24
.LBB4_8146:                             ;   in Loop: Header=BB4_7875 Depth=3
	s_or_b64 exec, exec, s[46:47]
.LBB4_8147:                             ;   in Loop: Header=BB4_7875 Depth=3
	s_or_b64 exec, exec, s[42:43]
.LBB4_8148:                             ;   in Loop: Header=BB4_7875 Depth=3
	s_or_b64 exec, exec, s[44:45]
	v_cmp_gt_i16_sdwa s[44:45], v2, s81 src0_sel:BYTE_0 src1_sel:DWORD
	s_mov_b64 s[42:43], 0
	s_and_saveexec_b64 s[46:47], s[44:45]
	s_xor_b64 s[44:45], exec, s[46:47]
	s_cbranch_execz .LBB4_8553
; %bb.8149:                             ;   in Loop: Header=BB4_7875 Depth=3
	v_cmp_eq_u16_sdwa vcc, v2, s80 src0_sel:BYTE_0 src1_sel:DWORD
	s_mov_b64 s[42:43], -1
	s_and_saveexec_b64 s[46:47], vcc
; %bb.8150:                             ;   in Loop: Header=BB4_7875 Depth=3
	s_xor_b64 s[42:43], exec, -1
; %bb.8151:                             ;   in Loop: Header=BB4_7875 Depth=3
	s_or_b64 exec, exec, s[46:47]
	s_and_b64 s[42:43], s[42:43], exec
                                        ; implicit-def: $vgpr2
	s_or_saveexec_b64 s[44:45], s[44:45]
	v_bfrev_b32_e32 v0, 1
	s_xor_b64 exec, exec, s[44:45]
	s_cbranch_execnz .LBB4_8554
.LBB4_8152:                             ;   in Loop: Header=BB4_7875 Depth=3
	s_or_b64 exec, exec, s[44:45]
	s_and_saveexec_b64 s[44:45], s[42:43]
.LBB4_8153:                             ;   in Loop: Header=BB4_7875 Depth=3
	v_mov_b32_e32 v0, 0x7f800001
	v_cndmask_b32_e64 v0, v23, v0, s[40:41]
.LBB4_8154:                             ;   in Loop: Header=BB4_7875 Depth=3
	s_or_b64 exec, exec, s[44:45]
	v_max_f32_e32 v0, v0, v0
	v_max_f32_e32 v2, v24, v24
	v_min_f32_e32 v35, v2, v0
.LBB4_8155:                             ;   in Loop: Header=BB4_7875 Depth=3
	v_and_b32_e32 v2, 0x7f800000, v35
	v_cmp_ne_u64_e32 vcc, s[76:77], v[2:3]
                                        ; implicit-def: $vgpr24
	s_and_saveexec_b64 s[40:41], vcc
	s_xor_b64 s[42:43], exec, s[40:41]
	s_cbranch_execz .LBB4_8169
; %bb.8156:                             ;   in Loop: Header=BB4_7875 Depth=3
	v_and_b32_e32 v2, 0x7fffffff, v35
	v_cmp_gt_u64_e32 vcc, s[78:79], v[2:3]
	v_and_b32_sdwa v34, v35, s80 dst_sel:DWORD dst_unused:UNUSED_PAD src0_sel:BYTE_3 src1_sel:DWORD
                                        ; implicit-def: $vgpr24
	s_and_saveexec_b64 s[40:41], vcc
	s_xor_b64 s[44:45], exec, s[40:41]
	s_cbranch_execz .LBB4_8166
; %bb.8157:                             ;   in Loop: Header=BB4_7875 Depth=3
	v_mov_b32_e32 v24, 0
	v_cmp_ne_u32_e32 vcc, 0, v35
	s_and_saveexec_b64 s[46:47], vcc
	s_cbranch_execz .LBB4_8165
; %bb.8158:                             ;   in Loop: Header=BB4_7875 Depth=3
	v_and_b32_e32 v0, 0x7fffff, v35
	v_bfe_u32 v35, v35, 23, 8
	v_cmp_gt_u32_e64 s[40:41], s83, v35
	v_sub_u32_e32 v2, 0x79, v35
	v_cmp_eq_u32_e32 vcc, 0, v35
	v_cndmask_b32_e64 v2, 0, v2, s[40:41]
	v_mov_b32_e32 v23, 0x78
	v_or_b32_e32 v22, 0x800000, v0
	v_cndmask_b32_e32 v36, v2, v23, vcc
	v_cndmask_b32_e32 v2, v22, v0, vcc
	v_add_u32_e32 v0, 20, v36
	v_lshlrev_b64 v[22:23], v0, -1
	v_add_u32_e32 v0, 19, v36
	v_lshlrev_b64 v[50:51], v0, 1
	v_bfi_b32 v23, v23, 0, 0
	v_bfi_b32 v22, v22, 0, v2
	v_cmp_eq_u64_e64 s[40:41], v[22:23], v[50:51]
	v_lshrrev_b64 v[22:23], v36, v[2:3]
	v_mov_b32_e32 v24, v23
	v_mov_b32_e32 v23, v22
	s_and_saveexec_b64 s[54:55], s[40:41]
; %bb.8159:                             ;   in Loop: Header=BB4_7875 Depth=3
	v_bfe_u32 v0, v22, 20, 1
	v_add_co_u32_e64 v0, s[40:41], v22, v0
	v_add_co_u32_e64 v23, s[40:41], -1, v0
; %bb.8160:                             ;   in Loop: Header=BB4_7875 Depth=3
	s_or_b64 exec, exec, s[54:55]
	v_add_u32_e32 v0, 0xffffff81, v35
	v_mov_b32_e32 v2, 0xffffff82
	v_cndmask_b32_e32 v0, v0, v2, vcc
	v_lshrrev_b32_e32 v2, 23, v22
	v_add3_u32 v35, v36, v0, v2
	v_add_u32_e32 v0, 6, v35
	v_and_b32_e32 v2, 0xfffff, v23
	v_add_u32_e32 v2, v2, v22
	v_cmp_ne_u32_e32 vcc, 0, v0
                                        ; implicit-def: $vgpr22_vgpr23
                                        ; implicit-def: $vgpr24
	s_and_saveexec_b64 s[40:41], vcc
	s_xor_b64 s[40:41], exec, s[40:41]
; %bb.8161:                             ;   in Loop: Header=BB4_7875 Depth=3
	v_cmp_lt_u64_e32 vcc, s[88:89], v[2:3]
	v_add_u32_e32 v22, 7, v35
	v_cndmask_b32_e32 v24, v0, v22, vcc
	v_cndmask_b32_e64 v0, 0, 1, vcc
	v_lshrrev_b64 v[22:23], v0, v[2:3]
; %bb.8162:                             ;   in Loop: Header=BB4_7875 Depth=3
	s_andn2_saveexec_b64 s[40:41], s[40:41]
; %bb.8163:                             ;   in Loop: Header=BB4_7875 Depth=3
	v_mov_b32_e32 v23, v3
	v_bfe_u32 v24, v2, 23, 1
	v_mov_b32_e32 v22, v2
; %bb.8164:                             ;   in Loop: Header=BB4_7875 Depth=3
	s_or_b64 exec, exec, s[40:41]
	v_lshrrev_b64 v[22:23], 20, v[22:23]
	v_cmp_gt_i32_e32 vcc, 16, v24
	v_cndmask_b32_e32 v23, 0, v23, vcc
	v_cndmask_b32_e32 v22, 7, v22, vcc
	v_min_i32_e32 v0, 15, v24
	v_cmp_eq_u64_e64 s[40:41], 0, v[22:23]
	v_lshlrev_b32_e32 v0, 3, v0
	v_cmp_eq_u32_e32 vcc, 0, v24
	v_and_b32_e32 v0, 0xf8, v0
	v_and_or_b32 v0, v22, 7, v0
	s_and_b64 s[40:41], vcc, s[40:41]
	v_cndmask_b32_e64 v0, v0, 0, s[40:41]
	v_or_b32_e32 v24, v0, v34
.LBB4_8165:                             ;   in Loop: Header=BB4_7875 Depth=3
	s_or_b64 exec, exec, s[46:47]
                                        ; implicit-def: $vgpr34
.LBB4_8166:                             ;   in Loop: Header=BB4_7875 Depth=3
	s_andn2_saveexec_b64 s[40:41], s[44:45]
; %bb.8167:                             ;   in Loop: Header=BB4_7875 Depth=3
	v_or_b32_e32 v24, 0x7e, v34
; %bb.8168:                             ;   in Loop: Header=BB4_7875 Depth=3
	s_or_b64 exec, exec, s[40:41]
                                        ; implicit-def: $vgpr35
.LBB4_8169:                             ;   in Loop: Header=BB4_7875 Depth=3
	s_andn2_saveexec_b64 s[40:41], s[42:43]
; %bb.8170:                             ;   in Loop: Header=BB4_7875 Depth=3
	v_or_b32_sdwa v24, v35, s81 dst_sel:DWORD dst_unused:UNUSED_PAD src0_sel:BYTE_3 src1_sel:DWORD
; %bb.8171:                             ;   in Loop: Header=BB4_7875 Depth=3
	s_or_b64 exec, exec, s[40:41]
	v_cmp_gt_u64_e64 s[40:41], s[60:61], v[12:13]
	v_bfe_u32 v12, v13, 24, 3
	v_bfe_u32 v22, v13, 24, 7
	v_cmp_eq_u32_e64 s[44:45], s81, v22
	v_cmp_gt_u32_e32 vcc, 8, v22
	v_ffbh_u32_e32 v22, v12
	v_min_u32_e32 v35, 32, v22
	v_lshrrev_b32_e32 v0, 24, v13
	v_subrev_u32_e32 v22, 28, v35
	v_lshlrev_b64 v[22:23], v22, v[0:1]
	v_bfe_u32 v34, v0, 3, 4
	v_cmp_eq_u32_e64 s[42:43], s80, v0
	v_sub_u32_e32 v0, 29, v35
	v_and_b32_e32 v22, 7, v22
	v_cndmask_b32_e32 v0, v34, v0, vcc
	v_cndmask_b32_e32 v12, v12, v22, vcc
	v_lshlrev_b32_e32 v12, 20, v12
	v_and_b32_e32 v13, 0x80000000, v13
	v_lshl_add_u32 v0, v0, 23, v54
	v_cmp_lt_u64_e64 s[46:47], s[62:63], v[8:9]
	v_lshrrev_b32_e32 v2, 24, v9
	v_or3_b32 v12, v13, v0, v12
	s_mov_b64 s[54:55], -1
	s_and_b64 vcc, exec, s[52:53]
                                        ; implicit-def: $vgpr8
	s_cbranch_vccz .LBB4_8179
; %bb.8172:                             ;   in Loop: Header=BB4_7875 Depth=3
	v_mov_b32_e32 v0, 0
	s_and_saveexec_b64 s[54:55], s[46:47]
	s_cbranch_execz .LBB4_8178
; %bb.8173:                             ;   in Loop: Header=BB4_7875 Depth=3
	v_cmp_ne_u32_e32 vcc, s80, v2
	v_bfrev_b32_e32 v0, 1
	s_and_saveexec_b64 s[64:65], vcc
	s_cbranch_execz .LBB4_8177
; %bb.8174:                             ;   in Loop: Header=BB4_7875 Depth=3
	v_bfe_u32 v8, v9, 24, 7
	v_cmp_ne_u32_e32 vcc, s81, v8
	v_mov_b32_e32 v0, 0x7f800001
	s_and_saveexec_b64 s[66:67], vcc
	s_cbranch_execz .LBB4_8176
; %bb.8175:                             ;   in Loop: Header=BB4_7875 Depth=3
	v_and_b32_e32 v0, 7, v2
	v_lshrrev_b32_e32 v13, 3, v8
	v_cmp_gt_u32_e32 vcc, 8, v8
	v_ffbh_u32_e32 v8, v0
	v_min_u32_e32 v8, 32, v8
	v_subrev_u32_e32 v22, 28, v8
	v_lshlrev_b64 v[22:23], v22, v[2:3]
	v_sub_u32_e32 v8, 29, v8
	v_and_b32_e32 v22, 7, v22
	v_cndmask_b32_e32 v8, v13, v8, vcc
	v_cndmask_b32_e32 v0, v0, v22, vcc
	v_lshlrev_b32_e32 v13, 24, v2
	v_lshlrev_b32_e32 v0, 20, v0
	v_and_b32_e32 v13, 0x80000000, v13
	v_lshl_add_u32 v8, v8, 23, v54
	v_or3_b32 v0, v13, v8, v0
.LBB4_8176:                             ;   in Loop: Header=BB4_7875 Depth=3
	s_or_b64 exec, exec, s[66:67]
.LBB4_8177:                             ;   in Loop: Header=BB4_7875 Depth=3
	s_or_b64 exec, exec, s[64:65]
.LBB4_8178:                             ;   in Loop: Header=BB4_7875 Depth=3
	s_or_b64 exec, exec, s[54:55]
	v_mov_b32_e32 v8, 0x7f800001
	v_cndmask_b32_e64 v8, v12, v8, s[44:45]
	v_bfrev_b32_e32 v13, 1
	v_cndmask_b32_e64 v8, v8, v13, s[42:43]
	v_cndmask_b32_e64 v8, v8, 0, s[40:41]
	v_max_f32_e32 v8, v8, v8
	v_max_f32_e32 v0, v0, v0
	;; [unrolled: 1-line block ×3, first 2 shown]
	s_mov_b64 s[54:55], 0
.LBB4_8179:                             ;   in Loop: Header=BB4_7875 Depth=3
	s_and_b64 vcc, exec, s[54:55]
	s_cbranch_vccz .LBB4_8187
; %bb.8180:                             ;   in Loop: Header=BB4_7875 Depth=3
	v_mov_b32_e32 v0, 0
	s_and_saveexec_b64 s[54:55], s[46:47]
	s_cbranch_execz .LBB4_8186
; %bb.8181:                             ;   in Loop: Header=BB4_7875 Depth=3
	v_cmp_ne_u32_e32 vcc, s80, v2
	v_bfrev_b32_e32 v0, 1
	s_and_saveexec_b64 s[46:47], vcc
	s_cbranch_execz .LBB4_8185
; %bb.8182:                             ;   in Loop: Header=BB4_7875 Depth=3
	v_bfe_u32 v8, v9, 24, 7
	v_cmp_ne_u32_e32 vcc, s81, v8
	v_mov_b32_e32 v0, 0x7f800001
	s_and_saveexec_b64 s[64:65], vcc
	s_cbranch_execz .LBB4_8184
; %bb.8183:                             ;   in Loop: Header=BB4_7875 Depth=3
	v_and_b32_e32 v0, 7, v2
	v_lshrrev_b32_e32 v13, 3, v8
	v_cmp_gt_u32_e32 vcc, 8, v8
	v_ffbh_u32_e32 v8, v0
	v_min_u32_e32 v22, 32, v8
	v_subrev_u32_e32 v8, 28, v22
	v_lshlrev_b64 v[8:9], v8, v[2:3]
	v_sub_u32_e32 v9, 29, v22
	v_and_b32_e32 v8, 7, v8
	v_cndmask_b32_e32 v9, v13, v9, vcc
	v_cndmask_b32_e32 v0, v0, v8, vcc
	v_lshlrev_b32_e32 v2, 24, v2
	v_lshlrev_b32_e32 v0, 20, v0
	v_and_b32_e32 v2, 0x80000000, v2
	v_lshl_add_u32 v8, v9, 23, v54
	v_or3_b32 v0, v2, v8, v0
.LBB4_8184:                             ;   in Loop: Header=BB4_7875 Depth=3
	s_or_b64 exec, exec, s[64:65]
.LBB4_8185:                             ;   in Loop: Header=BB4_7875 Depth=3
	s_or_b64 exec, exec, s[46:47]
.LBB4_8186:                             ;   in Loop: Header=BB4_7875 Depth=3
	s_or_b64 exec, exec, s[54:55]
	v_mov_b32_e32 v2, 0x7f800001
	v_cndmask_b32_e64 v2, v12, v2, s[44:45]
	v_bfrev_b32_e32 v8, 1
	v_cndmask_b32_e64 v2, v2, v8, s[42:43]
	v_cndmask_b32_e64 v2, v2, 0, s[40:41]
	v_max_f32_e32 v2, v2, v2
	v_max_f32_e32 v0, v0, v0
	v_min_f32_e32 v8, v0, v2
.LBB4_8187:                             ;   in Loop: Header=BB4_7875 Depth=3
	v_and_b32_e32 v2, 0x7f800000, v8
	v_cmp_ne_u64_e32 vcc, s[76:77], v[2:3]
                                        ; implicit-def: $vgpr34
	s_and_saveexec_b64 s[40:41], vcc
	s_xor_b64 s[42:43], exec, s[40:41]
	s_cbranch_execz .LBB4_8201
; %bb.8188:                             ;   in Loop: Header=BB4_7875 Depth=3
	v_and_b32_e32 v2, 0x7fffffff, v8
	v_cmp_gt_u64_e32 vcc, s[78:79], v[2:3]
	v_and_b32_sdwa v22, v8, s80 dst_sel:DWORD dst_unused:UNUSED_PAD src0_sel:BYTE_3 src1_sel:DWORD
                                        ; implicit-def: $vgpr34
	s_and_saveexec_b64 s[40:41], vcc
	s_xor_b64 s[44:45], exec, s[40:41]
	s_cbranch_execz .LBB4_8198
; %bb.8189:                             ;   in Loop: Header=BB4_7875 Depth=3
	v_mov_b32_e32 v34, 0
	v_cmp_ne_u32_e32 vcc, 0, v8
	s_and_saveexec_b64 s[46:47], vcc
	s_cbranch_execz .LBB4_8197
; %bb.8190:                             ;   in Loop: Header=BB4_7875 Depth=3
	v_bfe_u32 v23, v8, 23, 8
	v_cmp_gt_u32_e64 s[40:41], s83, v23
	v_sub_u32_e32 v2, 0x79, v23
	v_and_b32_e32 v0, 0x7fffff, v8
	v_cmp_eq_u32_e32 vcc, 0, v23
	v_cndmask_b32_e64 v2, 0, v2, s[40:41]
	v_mov_b32_e32 v9, 0x78
	v_or_b32_e32 v8, 0x800000, v0
	v_cndmask_b32_e32 v34, v2, v9, vcc
	v_cndmask_b32_e32 v2, v8, v0, vcc
	v_add_u32_e32 v0, 20, v34
	v_lshlrev_b64 v[8:9], v0, -1
	v_add_u32_e32 v0, 19, v34
	v_lshlrev_b64 v[12:13], v0, 1
	v_bfi_b32 v9, v9, 0, 0
	v_bfi_b32 v8, v8, 0, v2
	v_cmp_eq_u64_e64 s[40:41], v[8:9], v[12:13]
	v_lshrrev_b64 v[8:9], v34, v[2:3]
	v_mov_b32_e32 v13, v9
	v_mov_b32_e32 v12, v8
	s_and_saveexec_b64 s[54:55], s[40:41]
; %bb.8191:                             ;   in Loop: Header=BB4_7875 Depth=3
	v_bfe_u32 v0, v8, 20, 1
	v_add_co_u32_e64 v0, s[40:41], v8, v0
	v_add_co_u32_e64 v12, s[40:41], -1, v0
; %bb.8192:                             ;   in Loop: Header=BB4_7875 Depth=3
	s_or_b64 exec, exec, s[54:55]
	v_add_u32_e32 v0, 0xffffff81, v23
	v_mov_b32_e32 v2, 0xffffff82
	v_cndmask_b32_e32 v0, v0, v2, vcc
	v_lshrrev_b32_e32 v2, 23, v8
	v_add3_u32 v13, v34, v0, v2
	v_add_u32_e32 v0, 6, v13
	v_and_b32_e32 v2, 0xfffff, v12
	v_add_u32_e32 v2, v2, v8
	v_cmp_ne_u32_e32 vcc, 0, v0
                                        ; implicit-def: $vgpr8_vgpr9
                                        ; implicit-def: $vgpr12
	s_and_saveexec_b64 s[40:41], vcc
	s_xor_b64 s[40:41], exec, s[40:41]
; %bb.8193:                             ;   in Loop: Header=BB4_7875 Depth=3
	v_cmp_lt_u64_e32 vcc, s[88:89], v[2:3]
	v_add_u32_e32 v8, 7, v13
	v_cndmask_b32_e32 v12, v0, v8, vcc
	v_cndmask_b32_e64 v0, 0, 1, vcc
	v_lshrrev_b64 v[8:9], v0, v[2:3]
; %bb.8194:                             ;   in Loop: Header=BB4_7875 Depth=3
	s_andn2_saveexec_b64 s[40:41], s[40:41]
; %bb.8195:                             ;   in Loop: Header=BB4_7875 Depth=3
	v_mov_b32_e32 v9, v3
	v_bfe_u32 v12, v2, 23, 1
	v_mov_b32_e32 v8, v2
; %bb.8196:                             ;   in Loop: Header=BB4_7875 Depth=3
	s_or_b64 exec, exec, s[40:41]
	v_lshrrev_b64 v[8:9], 20, v[8:9]
	v_cmp_gt_i32_e32 vcc, 16, v12
	v_cndmask_b32_e32 v9, 0, v9, vcc
	v_cndmask_b32_e32 v8, 7, v8, vcc
	v_min_i32_e32 v0, 15, v12
	v_cmp_eq_u64_e64 s[40:41], 0, v[8:9]
	v_lshlrev_b32_e32 v0, 3, v0
	v_cmp_eq_u32_e32 vcc, 0, v12
	v_and_b32_e32 v0, 0xf8, v0
	v_and_or_b32 v0, v8, 7, v0
	s_and_b64 s[40:41], vcc, s[40:41]
	v_cndmask_b32_e64 v0, v0, 0, s[40:41]
	v_or_b32_e32 v34, v0, v22
.LBB4_8197:                             ;   in Loop: Header=BB4_7875 Depth=3
	s_or_b64 exec, exec, s[46:47]
                                        ; implicit-def: $vgpr22
.LBB4_8198:                             ;   in Loop: Header=BB4_7875 Depth=3
	s_andn2_saveexec_b64 s[40:41], s[44:45]
; %bb.8199:                             ;   in Loop: Header=BB4_7875 Depth=3
	v_or_b32_e32 v34, 0x7e, v22
; %bb.8200:                             ;   in Loop: Header=BB4_7875 Depth=3
	s_or_b64 exec, exec, s[40:41]
                                        ; implicit-def: $vgpr8
.LBB4_8201:                             ;   in Loop: Header=BB4_7875 Depth=3
	s_andn2_saveexec_b64 s[40:41], s[42:43]
; %bb.8202:                             ;   in Loop: Header=BB4_7875 Depth=3
	v_or_b32_sdwa v34, v8, s81 dst_sel:DWORD dst_unused:UNUSED_PAD src0_sel:BYTE_3 src1_sel:DWORD
; %bb.8203:                             ;   in Loop: Header=BB4_7875 Depth=3
	s_or_b64 exec, exec, s[40:41]
	v_and_b32_e32 v0, 7, v14
	v_ffbh_u32_e32 v0, v0
	v_and_b32_e32 v2, 0x7f, v14
	v_min_u32_e32 v0, 32, v0
	v_cmp_eq_u32_e64 s[40:41], s81, v2
	v_cmp_gt_u32_e32 vcc, 8, v2
	v_subrev_u32_e32 v2, 28, v0
	v_bfe_u32 v8, v14, 3, 4
	v_sub_u32_e32 v0, 29, v0
	v_cndmask_b32_e32 v2, 0, v2, vcc
	v_cndmask_b32_e32 v0, v8, v0, vcc
	v_lshlrev_b64 v[8:9], v2, v[14:15]
	v_lshl_add_u32 v0, v0, 23, v54
	v_lshlrev_b32_e32 v2, 20, v8
	v_lshlrev_b32_e32 v8, 24, v14
	v_and_b32_e32 v2, 0x700000, v2
	v_and_b32_e32 v8, 0x80000000, v8
	v_or3_b32 v2, v8, v0, v2
	v_cmp_ne_u16_sdwa s[42:43], v10, v3 src0_sel:BYTE_0 src1_sel:DWORD
	s_mov_b64 s[44:45], -1
	s_and_b64 vcc, exec, s[52:53]
                                        ; implicit-def: $vgpr8
	s_cbranch_vccz .LBB4_8217
; %bb.8204:                             ;   in Loop: Header=BB4_7875 Depth=3
	v_mov_b32_e32 v8, 0
	s_and_saveexec_b64 s[44:45], s[42:43]
	s_cbranch_execz .LBB4_8210
; %bb.8205:                             ;   in Loop: Header=BB4_7875 Depth=3
	v_cmp_ne_u16_sdwa vcc, v10, s80 src0_sel:BYTE_0 src1_sel:DWORD
	v_bfrev_b32_e32 v8, 1
	s_and_saveexec_b64 s[46:47], vcc
	s_cbranch_execz .LBB4_8209
; %bb.8206:                             ;   in Loop: Header=BB4_7875 Depth=3
	v_and_b32_e32 v0, 0x7f, v10
	v_cmp_ne_u32_e32 vcc, s81, v0
	v_mov_b32_e32 v8, 0x7f800001
	s_and_saveexec_b64 s[54:55], vcc
	s_cbranch_execz .LBB4_8208
; %bb.8207:                             ;   in Loop: Header=BB4_7875 Depth=3
	v_and_b32_e32 v8, 7, v10
	v_lshrrev_b32_e32 v9, 3, v0
	v_cmp_gt_u32_e32 vcc, 8, v0
	v_ffbh_u32_e32 v0, v8
	v_min_u32_e32 v0, 32, v0
	v_subrev_u32_e32 v8, 28, v0
	v_sub_u32_e32 v0, 29, v0
	v_cndmask_b32_e32 v8, 0, v8, vcc
	v_cndmask_b32_e32 v0, v9, v0, vcc
	v_lshlrev_b64 v[8:9], v8, v[10:11]
	v_lshlrev_b32_e32 v9, 24, v10
	v_lshlrev_b32_e32 v8, 20, v8
	v_and_b32_e32 v8, 0x700000, v8
	v_and_b32_e32 v9, 0x80000000, v9
	v_lshl_add_u32 v0, v0, 23, v54
	v_or3_b32 v8, v9, v0, v8
.LBB4_8208:                             ;   in Loop: Header=BB4_7875 Depth=3
	s_or_b64 exec, exec, s[54:55]
.LBB4_8209:                             ;   in Loop: Header=BB4_7875 Depth=3
	s_or_b64 exec, exec, s[46:47]
.LBB4_8210:                             ;   in Loop: Header=BB4_7875 Depth=3
	s_or_b64 exec, exec, s[44:45]
	v_cmp_gt_i16_sdwa s[46:47], v14, s81 src0_sel:BYTE_0 src1_sel:DWORD
	s_mov_b64 s[44:45], 0
	s_and_saveexec_b64 vcc, s[46:47]
	s_xor_b64 s[46:47], exec, vcc
	s_cbranch_execz .LBB4_8555
; %bb.8211:                             ;   in Loop: Header=BB4_7875 Depth=3
	v_cmp_eq_u16_sdwa s[54:55], v14, s80 src0_sel:BYTE_0 src1_sel:DWORD
	s_mov_b64 s[44:45], -1
	s_and_saveexec_b64 vcc, s[54:55]
; %bb.8212:                             ;   in Loop: Header=BB4_7875 Depth=3
	s_xor_b64 s[44:45], exec, -1
; %bb.8213:                             ;   in Loop: Header=BB4_7875 Depth=3
	s_or_b64 exec, exec, vcc
	s_and_b64 s[44:45], s[44:45], exec
	s_or_saveexec_b64 s[46:47], s[46:47]
	v_bfrev_b32_e32 v0, 1
	s_xor_b64 exec, exec, s[46:47]
	s_cbranch_execnz .LBB4_8556
.LBB4_8214:                             ;   in Loop: Header=BB4_7875 Depth=3
	s_or_b64 exec, exec, s[46:47]
	s_and_saveexec_b64 s[46:47], s[44:45]
.LBB4_8215:                             ;   in Loop: Header=BB4_7875 Depth=3
	v_mov_b32_e32 v0, 0x7f800001
	v_cndmask_b32_e64 v0, v2, v0, s[40:41]
.LBB4_8216:                             ;   in Loop: Header=BB4_7875 Depth=3
	s_or_b64 exec, exec, s[46:47]
	v_max_f32_e32 v0, v0, v0
	v_max_f32_e32 v8, v8, v8
	;; [unrolled: 1-line block ×3, first 2 shown]
	s_mov_b64 s[44:45], 0
.LBB4_8217:                             ;   in Loop: Header=BB4_7875 Depth=3
	s_and_b64 vcc, exec, s[44:45]
	s_cbranch_vccz .LBB4_8231
; %bb.8218:                             ;   in Loop: Header=BB4_7875 Depth=3
	v_mov_b32_e32 v8, 0
	s_and_saveexec_b64 s[44:45], s[42:43]
	s_cbranch_execz .LBB4_8224
; %bb.8219:                             ;   in Loop: Header=BB4_7875 Depth=3
	v_cmp_ne_u16_sdwa s[46:47], v10, s80 src0_sel:BYTE_0 src1_sel:DWORD
	v_bfrev_b32_e32 v8, 1
	s_and_saveexec_b64 s[42:43], s[46:47]
	s_cbranch_execz .LBB4_8223
; %bb.8220:                             ;   in Loop: Header=BB4_7875 Depth=3
	v_and_b32_e32 v0, 0x7f, v10
	v_cmp_ne_u32_e32 vcc, s81, v0
	v_mov_b32_e32 v8, 0x7f800001
	s_and_saveexec_b64 s[46:47], vcc
	s_cbranch_execz .LBB4_8222
; %bb.8221:                             ;   in Loop: Header=BB4_7875 Depth=3
	v_and_b32_e32 v8, 7, v10
	v_lshrrev_b32_e32 v9, 3, v0
	v_cmp_gt_u32_e32 vcc, 8, v0
	v_ffbh_u32_e32 v0, v8
	v_min_u32_e32 v0, 32, v0
	v_subrev_u32_e32 v8, 28, v0
	v_sub_u32_e32 v0, 29, v0
	v_cndmask_b32_e32 v8, 0, v8, vcc
	v_cndmask_b32_e32 v0, v9, v0, vcc
	v_lshlrev_b64 v[8:9], v8, v[10:11]
	v_lshlrev_b32_e32 v9, 24, v10
	v_lshlrev_b32_e32 v8, 20, v8
	v_and_b32_e32 v8, 0x700000, v8
	v_and_b32_e32 v9, 0x80000000, v9
	v_lshl_add_u32 v0, v0, 23, v54
	v_or3_b32 v8, v9, v0, v8
.LBB4_8222:                             ;   in Loop: Header=BB4_7875 Depth=3
	s_or_b64 exec, exec, s[46:47]
.LBB4_8223:                             ;   in Loop: Header=BB4_7875 Depth=3
	s_or_b64 exec, exec, s[42:43]
.LBB4_8224:                             ;   in Loop: Header=BB4_7875 Depth=3
	s_or_b64 exec, exec, s[44:45]
	v_cmp_gt_i16_sdwa s[44:45], v14, s81 src0_sel:BYTE_0 src1_sel:DWORD
	s_mov_b64 s[42:43], 0
	s_and_saveexec_b64 s[46:47], s[44:45]
	s_xor_b64 s[44:45], exec, s[46:47]
	s_cbranch_execz .LBB4_8557
; %bb.8225:                             ;   in Loop: Header=BB4_7875 Depth=3
	v_cmp_eq_u16_sdwa vcc, v14, s80 src0_sel:BYTE_0 src1_sel:DWORD
	s_mov_b64 s[42:43], -1
	s_and_saveexec_b64 s[46:47], vcc
; %bb.8226:                             ;   in Loop: Header=BB4_7875 Depth=3
	s_xor_b64 s[42:43], exec, -1
; %bb.8227:                             ;   in Loop: Header=BB4_7875 Depth=3
	s_or_b64 exec, exec, s[46:47]
	s_and_b64 s[42:43], s[42:43], exec
	s_or_saveexec_b64 s[44:45], s[44:45]
	v_bfrev_b32_e32 v0, 1
	s_xor_b64 exec, exec, s[44:45]
	s_cbranch_execnz .LBB4_8558
.LBB4_8228:                             ;   in Loop: Header=BB4_7875 Depth=3
	s_or_b64 exec, exec, s[44:45]
	s_and_saveexec_b64 s[44:45], s[42:43]
.LBB4_8229:                             ;   in Loop: Header=BB4_7875 Depth=3
	v_mov_b32_e32 v0, 0x7f800001
	v_cndmask_b32_e64 v0, v2, v0, s[40:41]
.LBB4_8230:                             ;   in Loop: Header=BB4_7875 Depth=3
	s_or_b64 exec, exec, s[44:45]
	v_max_f32_e32 v0, v0, v0
	v_max_f32_e32 v2, v8, v8
	v_min_f32_e32 v8, v2, v0
.LBB4_8231:                             ;   in Loop: Header=BB4_7875 Depth=3
	v_and_b32_e32 v2, 0x7f800000, v8
	v_cmp_ne_u64_e32 vcc, s[76:77], v[2:3]
                                        ; implicit-def: $vgpr35
	s_and_saveexec_b64 s[40:41], vcc
	s_xor_b64 s[42:43], exec, s[40:41]
	s_cbranch_execz .LBB4_8245
; %bb.8232:                             ;   in Loop: Header=BB4_7875 Depth=3
	v_and_b32_e32 v2, 0x7fffffff, v8
	v_cmp_gt_u64_e32 vcc, s[78:79], v[2:3]
	v_and_b32_sdwa v22, v8, s80 dst_sel:DWORD dst_unused:UNUSED_PAD src0_sel:BYTE_3 src1_sel:DWORD
                                        ; implicit-def: $vgpr35
	s_and_saveexec_b64 s[40:41], vcc
	s_xor_b64 s[44:45], exec, s[40:41]
	s_cbranch_execz .LBB4_8242
; %bb.8233:                             ;   in Loop: Header=BB4_7875 Depth=3
	v_mov_b32_e32 v35, 0
	v_cmp_ne_u32_e32 vcc, 0, v8
	s_and_saveexec_b64 s[46:47], vcc
	s_cbranch_execz .LBB4_8241
; %bb.8234:                             ;   in Loop: Header=BB4_7875 Depth=3
	v_bfe_u32 v23, v8, 23, 8
	v_cmp_gt_u32_e64 s[40:41], s83, v23
	v_sub_u32_e32 v2, 0x79, v23
	v_and_b32_e32 v0, 0x7fffff, v8
	v_cmp_eq_u32_e32 vcc, 0, v23
	v_cndmask_b32_e64 v2, 0, v2, s[40:41]
	v_mov_b32_e32 v9, 0x78
	v_or_b32_e32 v8, 0x800000, v0
	v_cndmask_b32_e32 v35, v2, v9, vcc
	v_cndmask_b32_e32 v2, v8, v0, vcc
	v_add_u32_e32 v0, 20, v35
	v_lshlrev_b64 v[8:9], v0, -1
	v_add_u32_e32 v0, 19, v35
	v_lshlrev_b64 v[12:13], v0, 1
	v_bfi_b32 v9, v9, 0, 0
	v_bfi_b32 v8, v8, 0, v2
	v_cmp_eq_u64_e64 s[40:41], v[8:9], v[12:13]
	v_lshrrev_b64 v[8:9], v35, v[2:3]
	v_mov_b32_e32 v13, v9
	v_mov_b32_e32 v12, v8
	s_and_saveexec_b64 s[54:55], s[40:41]
; %bb.8235:                             ;   in Loop: Header=BB4_7875 Depth=3
	v_bfe_u32 v0, v8, 20, 1
	v_add_co_u32_e64 v0, s[40:41], v8, v0
	v_add_co_u32_e64 v12, s[40:41], -1, v0
; %bb.8236:                             ;   in Loop: Header=BB4_7875 Depth=3
	s_or_b64 exec, exec, s[54:55]
	v_add_u32_e32 v0, 0xffffff81, v23
	v_mov_b32_e32 v2, 0xffffff82
	v_cndmask_b32_e32 v0, v0, v2, vcc
	v_lshrrev_b32_e32 v2, 23, v8
	v_add3_u32 v13, v35, v0, v2
	v_add_u32_e32 v0, 6, v13
	v_and_b32_e32 v2, 0xfffff, v12
	v_add_u32_e32 v2, v2, v8
	v_cmp_ne_u32_e32 vcc, 0, v0
                                        ; implicit-def: $vgpr8_vgpr9
                                        ; implicit-def: $vgpr12
	s_and_saveexec_b64 s[40:41], vcc
	s_xor_b64 s[40:41], exec, s[40:41]
; %bb.8237:                             ;   in Loop: Header=BB4_7875 Depth=3
	v_cmp_lt_u64_e32 vcc, s[88:89], v[2:3]
	v_add_u32_e32 v8, 7, v13
	v_cndmask_b32_e32 v12, v0, v8, vcc
	v_cndmask_b32_e64 v0, 0, 1, vcc
	v_lshrrev_b64 v[8:9], v0, v[2:3]
; %bb.8238:                             ;   in Loop: Header=BB4_7875 Depth=3
	s_andn2_saveexec_b64 s[40:41], s[40:41]
; %bb.8239:                             ;   in Loop: Header=BB4_7875 Depth=3
	v_mov_b32_e32 v9, v3
	v_bfe_u32 v12, v2, 23, 1
	v_mov_b32_e32 v8, v2
; %bb.8240:                             ;   in Loop: Header=BB4_7875 Depth=3
	s_or_b64 exec, exec, s[40:41]
	v_lshrrev_b64 v[8:9], 20, v[8:9]
	v_cmp_gt_i32_e32 vcc, 16, v12
	v_cndmask_b32_e32 v9, 0, v9, vcc
	v_cndmask_b32_e32 v8, 7, v8, vcc
	v_min_i32_e32 v0, 15, v12
	v_cmp_eq_u64_e64 s[40:41], 0, v[8:9]
	v_lshlrev_b32_e32 v0, 3, v0
	v_cmp_eq_u32_e32 vcc, 0, v12
	v_and_b32_e32 v0, 0xf8, v0
	v_and_or_b32 v0, v8, 7, v0
	s_and_b64 s[40:41], vcc, s[40:41]
	v_cndmask_b32_e64 v0, v0, 0, s[40:41]
	v_or_b32_e32 v35, v0, v22
.LBB4_8241:                             ;   in Loop: Header=BB4_7875 Depth=3
	s_or_b64 exec, exec, s[46:47]
                                        ; implicit-def: $vgpr22
.LBB4_8242:                             ;   in Loop: Header=BB4_7875 Depth=3
	s_andn2_saveexec_b64 s[40:41], s[44:45]
; %bb.8243:                             ;   in Loop: Header=BB4_7875 Depth=3
	v_or_b32_e32 v35, 0x7e, v22
; %bb.8244:                             ;   in Loop: Header=BB4_7875 Depth=3
	s_or_b64 exec, exec, s[40:41]
                                        ; implicit-def: $vgpr8
.LBB4_8245:                             ;   in Loop: Header=BB4_7875 Depth=3
	s_andn2_saveexec_b64 s[40:41], s[42:43]
; %bb.8246:                             ;   in Loop: Header=BB4_7875 Depth=3
	v_or_b32_sdwa v35, v8, s81 dst_sel:DWORD dst_unused:UNUSED_PAD src0_sel:BYTE_3 src1_sel:DWORD
; %bb.8247:                             ;   in Loop: Header=BB4_7875 Depth=3
	s_or_b64 exec, exec, s[40:41]
	v_lshrrev_b16_e32 v2, 8, v14
	v_and_b32_e32 v0, 7, v2
	v_and_b32_e32 v9, 0x7f, v2
	v_cmp_eq_u32_e64 s[40:41], s81, v9
	v_cmp_gt_u32_e32 vcc, 8, v9
	v_ffbh_u32_e32 v9, v0
	v_min_u32_e32 v9, 32, v9
	v_subrev_u32_e32 v12, 28, v9
	v_lshlrev_b64 v[12:13], v12, v[2:3]
	v_bfe_u32 v22, v2, 3, 4
	v_sub_u32_e32 v9, 29, v9
	v_and_b32_e32 v12, 7, v12
	v_cndmask_b32_e32 v9, v22, v9, vcc
	v_cndmask_b32_e32 v0, v0, v12, vcc
	v_lshlrev_b32_e32 v12, 24, v2
	v_lshrrev_b16_e32 v8, 8, v10
	v_lshlrev_b32_e32 v0, 20, v0
	v_and_b32_e32 v12, 0x80000000, v12
	v_lshl_add_u32 v9, v9, 23, v54
	v_or3_b32 v9, v12, v9, v0
	v_cmp_ne_u16_e64 s[42:43], 0, v8
	s_mov_b64 s[44:45], -1
	s_and_b64 vcc, exec, s[52:53]
                                        ; implicit-def: $vgpr12
	s_cbranch_vccz .LBB4_8261
; %bb.8248:                             ;   in Loop: Header=BB4_7875 Depth=3
	v_mov_b32_e32 v12, 0
	s_and_saveexec_b64 s[44:45], s[42:43]
	s_cbranch_execz .LBB4_8254
; %bb.8249:                             ;   in Loop: Header=BB4_7875 Depth=3
	v_cmp_ne_u16_e32 vcc, s80, v8
	v_bfrev_b32_e32 v12, 1
	s_and_saveexec_b64 s[46:47], vcc
	s_cbranch_execz .LBB4_8253
; %bb.8250:                             ;   in Loop: Header=BB4_7875 Depth=3
	v_and_b32_e32 v0, 0x7f, v8
	v_cmp_ne_u32_e32 vcc, s81, v0
	v_mov_b32_e32 v12, 0x7f800001
	s_and_saveexec_b64 s[54:55], vcc
	s_cbranch_execz .LBB4_8252
; %bb.8251:                             ;   in Loop: Header=BB4_7875 Depth=3
	v_and_b32_e32 v22, 7, v8
	v_lshrrev_b32_e32 v23, 3, v0
	v_cmp_gt_u32_e32 vcc, 8, v0
	v_ffbh_u32_e32 v0, v22
	v_min_u32_e32 v0, 32, v0
	v_subrev_u32_e32 v12, 28, v0
	v_lshlrev_b64 v[12:13], v12, v[8:9]
	v_sub_u32_e32 v0, 29, v0
	v_and_b32_e32 v12, 7, v12
	v_cndmask_b32_e32 v0, v23, v0, vcc
	v_cndmask_b32_e32 v12, v22, v12, vcc
	v_lshlrev_b32_e32 v13, 16, v10
	v_lshlrev_b32_e32 v12, 20, v12
	v_and_b32_e32 v13, 0x80000000, v13
	v_lshl_add_u32 v0, v0, 23, v54
	v_or3_b32 v12, v13, v0, v12
.LBB4_8252:                             ;   in Loop: Header=BB4_7875 Depth=3
	s_or_b64 exec, exec, s[54:55]
.LBB4_8253:                             ;   in Loop: Header=BB4_7875 Depth=3
	s_or_b64 exec, exec, s[46:47]
.LBB4_8254:                             ;   in Loop: Header=BB4_7875 Depth=3
	s_or_b64 exec, exec, s[44:45]
	v_cmp_lt_i16_e32 vcc, s81, v2
	s_mov_b64 s[44:45], 0
	s_and_saveexec_b64 s[46:47], vcc
	s_xor_b64 s[46:47], exec, s[46:47]
	s_cbranch_execz .LBB4_8559
; %bb.8255:                             ;   in Loop: Header=BB4_7875 Depth=3
	v_cmp_eq_u16_e32 vcc, s80, v2
	s_mov_b64 s[44:45], -1
	s_and_saveexec_b64 s[54:55], vcc
; %bb.8256:                             ;   in Loop: Header=BB4_7875 Depth=3
	s_xor_b64 s[44:45], exec, -1
; %bb.8257:                             ;   in Loop: Header=BB4_7875 Depth=3
	s_or_b64 exec, exec, s[54:55]
	s_and_b64 s[44:45], s[44:45], exec
	s_or_saveexec_b64 s[46:47], s[46:47]
	v_bfrev_b32_e32 v0, 1
	s_xor_b64 exec, exec, s[46:47]
	s_cbranch_execnz .LBB4_8560
.LBB4_8258:                             ;   in Loop: Header=BB4_7875 Depth=3
	s_or_b64 exec, exec, s[46:47]
	s_and_saveexec_b64 s[46:47], s[44:45]
.LBB4_8259:                             ;   in Loop: Header=BB4_7875 Depth=3
	v_mov_b32_e32 v0, 0x7f800001
	v_cndmask_b32_e64 v0, v9, v0, s[40:41]
.LBB4_8260:                             ;   in Loop: Header=BB4_7875 Depth=3
	s_or_b64 exec, exec, s[46:47]
	v_max_f32_e32 v0, v0, v0
	v_max_f32_e32 v12, v12, v12
	;; [unrolled: 1-line block ×3, first 2 shown]
	s_mov_b64 s[44:45], 0
.LBB4_8261:                             ;   in Loop: Header=BB4_7875 Depth=3
	s_and_b64 vcc, exec, s[44:45]
	s_cbranch_vccz .LBB4_8275
; %bb.8262:                             ;   in Loop: Header=BB4_7875 Depth=3
	v_mov_b32_e32 v12, 0
	s_and_saveexec_b64 s[44:45], s[42:43]
	s_cbranch_execz .LBB4_8268
; %bb.8263:                             ;   in Loop: Header=BB4_7875 Depth=3
	v_cmp_ne_u16_e32 vcc, s80, v8
	v_bfrev_b32_e32 v12, 1
	s_and_saveexec_b64 s[42:43], vcc
	s_cbranch_execz .LBB4_8267
; %bb.8264:                             ;   in Loop: Header=BB4_7875 Depth=3
	v_and_b32_e32 v0, 0x7f, v8
	v_cmp_ne_u32_e32 vcc, s81, v0
	v_mov_b32_e32 v12, 0x7f800001
	s_and_saveexec_b64 s[46:47], vcc
	s_cbranch_execz .LBB4_8266
; %bb.8265:                             ;   in Loop: Header=BB4_7875 Depth=3
	v_and_b32_e32 v22, 7, v8
	v_lshrrev_b32_e32 v23, 3, v0
	v_cmp_gt_u32_e32 vcc, 8, v0
	v_ffbh_u32_e32 v0, v22
	v_min_u32_e32 v0, 32, v0
	v_subrev_u32_e32 v12, 28, v0
	v_lshlrev_b64 v[12:13], v12, v[8:9]
	v_sub_u32_e32 v0, 29, v0
	v_and_b32_e32 v8, 7, v12
	v_cndmask_b32_e32 v0, v23, v0, vcc
	v_cndmask_b32_e32 v8, v22, v8, vcc
	v_lshlrev_b32_e32 v12, 16, v10
	v_lshlrev_b32_e32 v8, 20, v8
	v_and_b32_e32 v12, 0x80000000, v12
	v_lshl_add_u32 v0, v0, 23, v54
	v_or3_b32 v12, v12, v0, v8
.LBB4_8266:                             ;   in Loop: Header=BB4_7875 Depth=3
	s_or_b64 exec, exec, s[46:47]
.LBB4_8267:                             ;   in Loop: Header=BB4_7875 Depth=3
	s_or_b64 exec, exec, s[42:43]
.LBB4_8268:                             ;   in Loop: Header=BB4_7875 Depth=3
	s_or_b64 exec, exec, s[44:45]
	v_cmp_lt_i16_e32 vcc, s81, v2
	s_mov_b64 s[42:43], 0
	s_and_saveexec_b64 s[44:45], vcc
	s_xor_b64 s[44:45], exec, s[44:45]
	s_cbranch_execz .LBB4_8561
; %bb.8269:                             ;   in Loop: Header=BB4_7875 Depth=3
	v_cmp_eq_u16_e32 vcc, s80, v2
	s_mov_b64 s[42:43], -1
	s_and_saveexec_b64 s[46:47], vcc
; %bb.8270:                             ;   in Loop: Header=BB4_7875 Depth=3
	s_xor_b64 s[42:43], exec, -1
; %bb.8271:                             ;   in Loop: Header=BB4_7875 Depth=3
	s_or_b64 exec, exec, s[46:47]
	s_and_b64 s[42:43], s[42:43], exec
	s_or_saveexec_b64 s[44:45], s[44:45]
	v_bfrev_b32_e32 v0, 1
	s_xor_b64 exec, exec, s[44:45]
	s_cbranch_execnz .LBB4_8562
.LBB4_8272:                             ;   in Loop: Header=BB4_7875 Depth=3
	s_or_b64 exec, exec, s[44:45]
	s_and_saveexec_b64 s[44:45], s[42:43]
.LBB4_8273:                             ;   in Loop: Header=BB4_7875 Depth=3
	v_mov_b32_e32 v0, 0x7f800001
	v_cndmask_b32_e64 v0, v9, v0, s[40:41]
.LBB4_8274:                             ;   in Loop: Header=BB4_7875 Depth=3
	s_or_b64 exec, exec, s[44:45]
	v_max_f32_e32 v0, v0, v0
	v_max_f32_e32 v2, v12, v12
	v_min_f32_e32 v12, v2, v0
.LBB4_8275:                             ;   in Loop: Header=BB4_7875 Depth=3
	v_and_b32_e32 v2, 0x7f800000, v12
	v_cmp_ne_u64_e32 vcc, s[76:77], v[2:3]
                                        ; implicit-def: $vgpr36
	s_and_saveexec_b64 s[40:41], vcc
	s_xor_b64 s[42:43], exec, s[40:41]
	s_cbranch_execz .LBB4_8289
; %bb.8276:                             ;   in Loop: Header=BB4_7875 Depth=3
	v_and_b32_e32 v2, 0x7fffffff, v12
	v_cmp_gt_u64_e32 vcc, s[78:79], v[2:3]
	v_and_b32_sdwa v22, v12, s80 dst_sel:DWORD dst_unused:UNUSED_PAD src0_sel:BYTE_3 src1_sel:DWORD
                                        ; implicit-def: $vgpr36
	s_and_saveexec_b64 s[40:41], vcc
	s_xor_b64 s[44:45], exec, s[40:41]
	s_cbranch_execz .LBB4_8286
; %bb.8277:                             ;   in Loop: Header=BB4_7875 Depth=3
	v_mov_b32_e32 v36, 0
	v_cmp_ne_u32_e32 vcc, 0, v12
	s_and_saveexec_b64 s[46:47], vcc
	s_cbranch_execz .LBB4_8285
; %bb.8278:                             ;   in Loop: Header=BB4_7875 Depth=3
	v_bfe_u32 v23, v12, 23, 8
	v_cmp_gt_u32_e64 s[40:41], s83, v23
	v_sub_u32_e32 v2, 0x79, v23
	v_and_b32_e32 v0, 0x7fffff, v12
	v_cmp_eq_u32_e32 vcc, 0, v23
	v_cndmask_b32_e64 v2, 0, v2, s[40:41]
	v_mov_b32_e32 v9, 0x78
	v_or_b32_e32 v8, 0x800000, v0
	v_cndmask_b32_e32 v36, v2, v9, vcc
	v_cndmask_b32_e32 v2, v8, v0, vcc
	v_add_u32_e32 v0, 20, v36
	v_lshlrev_b64 v[8:9], v0, -1
	v_add_u32_e32 v0, 19, v36
	v_lshlrev_b64 v[12:13], v0, 1
	v_bfi_b32 v9, v9, 0, 0
	v_bfi_b32 v8, v8, 0, v2
	v_cmp_eq_u64_e64 s[40:41], v[8:9], v[12:13]
	v_lshrrev_b64 v[8:9], v36, v[2:3]
	v_mov_b32_e32 v13, v9
	v_mov_b32_e32 v12, v8
	s_and_saveexec_b64 s[54:55], s[40:41]
; %bb.8279:                             ;   in Loop: Header=BB4_7875 Depth=3
	v_bfe_u32 v0, v8, 20, 1
	v_add_co_u32_e64 v0, s[40:41], v8, v0
	v_add_co_u32_e64 v12, s[40:41], -1, v0
; %bb.8280:                             ;   in Loop: Header=BB4_7875 Depth=3
	s_or_b64 exec, exec, s[54:55]
	v_add_u32_e32 v0, 0xffffff81, v23
	v_mov_b32_e32 v2, 0xffffff82
	v_cndmask_b32_e32 v0, v0, v2, vcc
	v_lshrrev_b32_e32 v2, 23, v8
	v_add3_u32 v13, v36, v0, v2
	v_add_u32_e32 v0, 6, v13
	v_and_b32_e32 v2, 0xfffff, v12
	v_add_u32_e32 v2, v2, v8
	v_cmp_ne_u32_e32 vcc, 0, v0
                                        ; implicit-def: $vgpr8_vgpr9
                                        ; implicit-def: $vgpr12
	s_and_saveexec_b64 s[40:41], vcc
	s_xor_b64 s[40:41], exec, s[40:41]
; %bb.8281:                             ;   in Loop: Header=BB4_7875 Depth=3
	v_cmp_lt_u64_e32 vcc, s[88:89], v[2:3]
	v_add_u32_e32 v8, 7, v13
	v_cndmask_b32_e32 v12, v0, v8, vcc
	v_cndmask_b32_e64 v0, 0, 1, vcc
	v_lshrrev_b64 v[8:9], v0, v[2:3]
; %bb.8282:                             ;   in Loop: Header=BB4_7875 Depth=3
	s_andn2_saveexec_b64 s[40:41], s[40:41]
; %bb.8283:                             ;   in Loop: Header=BB4_7875 Depth=3
	v_mov_b32_e32 v9, v3
	v_bfe_u32 v12, v2, 23, 1
	v_mov_b32_e32 v8, v2
; %bb.8284:                             ;   in Loop: Header=BB4_7875 Depth=3
	s_or_b64 exec, exec, s[40:41]
	v_lshrrev_b64 v[8:9], 20, v[8:9]
	v_cmp_gt_i32_e32 vcc, 16, v12
	v_cndmask_b32_e32 v9, 0, v9, vcc
	v_cndmask_b32_e32 v8, 7, v8, vcc
	v_min_i32_e32 v0, 15, v12
	v_cmp_eq_u64_e64 s[40:41], 0, v[8:9]
	v_lshlrev_b32_e32 v0, 3, v0
	v_cmp_eq_u32_e32 vcc, 0, v12
	v_and_b32_e32 v0, 0xf8, v0
	v_and_or_b32 v0, v8, 7, v0
	s_and_b64 s[40:41], vcc, s[40:41]
	v_cndmask_b32_e64 v0, v0, 0, s[40:41]
	v_or_b32_e32 v36, v0, v22
.LBB4_8285:                             ;   in Loop: Header=BB4_7875 Depth=3
	s_or_b64 exec, exec, s[46:47]
                                        ; implicit-def: $vgpr22
.LBB4_8286:                             ;   in Loop: Header=BB4_7875 Depth=3
	s_andn2_saveexec_b64 s[40:41], s[44:45]
; %bb.8287:                             ;   in Loop: Header=BB4_7875 Depth=3
	v_or_b32_e32 v36, 0x7e, v22
; %bb.8288:                             ;   in Loop: Header=BB4_7875 Depth=3
	s_or_b64 exec, exec, s[40:41]
                                        ; implicit-def: $vgpr12
.LBB4_8289:                             ;   in Loop: Header=BB4_7875 Depth=3
	s_andn2_saveexec_b64 s[40:41], s[42:43]
; %bb.8290:                             ;   in Loop: Header=BB4_7875 Depth=3
	v_or_b32_sdwa v36, v12, s81 dst_sel:DWORD dst_unused:UNUSED_PAD src0_sel:BYTE_3 src1_sel:DWORD
; %bb.8291:                             ;   in Loop: Header=BB4_7875 Depth=3
	s_or_b64 exec, exec, s[40:41]
	v_bfe_u32 v0, v14, 16, 3
	v_bfe_u32 v8, v14, 16, 7
	v_cmp_eq_u32_e64 s[40:41], s81, v8
	v_cmp_gt_u32_e32 vcc, 8, v8
	v_ffbh_u32_e32 v8, v0
	v_min_u32_e32 v13, 32, v8
	v_lshrrev_b32_e32 v2, 16, v14
	v_subrev_u32_e32 v8, 28, v13
	v_lshlrev_b64 v[8:9], v8, v[2:3]
	v_bfe_u32 v12, v2, 3, 4
	v_sub_u32_e32 v9, 29, v13
	v_and_b32_e32 v8, 7, v8
	v_cndmask_b32_e32 v9, v12, v9, vcc
	v_cndmask_b32_e32 v0, v0, v8, vcc
	v_lshlrev_b32_e32 v8, 8, v14
	v_lshlrev_b32_e32 v0, 20, v0
	v_and_b32_e32 v8, 0x80000000, v8
	v_lshl_add_u32 v9, v9, 23, v54
	v_or3_b32 v9, v8, v9, v0
	v_lshrrev_b32_e32 v8, 16, v10
	v_cmp_ne_u16_sdwa s[42:43], v8, v3 src0_sel:BYTE_0 src1_sel:DWORD
	s_mov_b64 s[44:45], -1
	s_and_b64 vcc, exec, s[52:53]
                                        ; implicit-def: $vgpr12
	s_cbranch_vccz .LBB4_8305
; %bb.8292:                             ;   in Loop: Header=BB4_7875 Depth=3
	v_mov_b32_e32 v12, 0
	s_and_saveexec_b64 s[44:45], s[42:43]
	s_cbranch_execz .LBB4_8298
; %bb.8293:                             ;   in Loop: Header=BB4_7875 Depth=3
	v_cmp_ne_u16_sdwa vcc, v8, s80 src0_sel:BYTE_0 src1_sel:DWORD
	v_bfrev_b32_e32 v12, 1
	s_and_saveexec_b64 s[46:47], vcc
	s_cbranch_execz .LBB4_8297
; %bb.8294:                             ;   in Loop: Header=BB4_7875 Depth=3
	v_bfe_u32 v0, v10, 16, 7
	v_cmp_ne_u32_e32 vcc, s81, v0
	v_mov_b32_e32 v12, 0x7f800001
	s_and_saveexec_b64 s[54:55], vcc
	s_cbranch_execz .LBB4_8296
; %bb.8295:                             ;   in Loop: Header=BB4_7875 Depth=3
	v_and_b32_e32 v22, 7, v8
	v_lshrrev_b32_e32 v23, 3, v0
	v_cmp_gt_u32_e32 vcc, 8, v0
	v_ffbh_u32_e32 v0, v22
	v_min_u32_e32 v0, 32, v0
	v_subrev_u32_e32 v12, 28, v0
	v_lshlrev_b64 v[12:13], v12, v[8:9]
	v_sub_u32_e32 v0, 29, v0
	v_and_b32_e32 v12, 7, v12
	v_cndmask_b32_e32 v0, v23, v0, vcc
	v_cndmask_b32_e32 v12, v22, v12, vcc
	v_lshlrev_b32_e32 v13, 24, v8
	v_lshlrev_b32_e32 v12, 20, v12
	v_and_b32_e32 v13, 0x80000000, v13
	v_lshl_add_u32 v0, v0, 23, v54
	v_or3_b32 v12, v13, v0, v12
.LBB4_8296:                             ;   in Loop: Header=BB4_7875 Depth=3
	s_or_b64 exec, exec, s[54:55]
.LBB4_8297:                             ;   in Loop: Header=BB4_7875 Depth=3
	s_or_b64 exec, exec, s[46:47]
.LBB4_8298:                             ;   in Loop: Header=BB4_7875 Depth=3
	s_or_b64 exec, exec, s[44:45]
	v_cmp_gt_i16_sdwa s[46:47], v2, s81 src0_sel:BYTE_0 src1_sel:DWORD
	s_mov_b64 s[44:45], 0
	s_and_saveexec_b64 vcc, s[46:47]
	s_xor_b64 s[46:47], exec, vcc
	s_cbranch_execz .LBB4_8563
; %bb.8299:                             ;   in Loop: Header=BB4_7875 Depth=3
	v_cmp_eq_u16_sdwa s[54:55], v2, s80 src0_sel:BYTE_0 src1_sel:DWORD
	s_mov_b64 s[44:45], -1
	s_and_saveexec_b64 vcc, s[54:55]
; %bb.8300:                             ;   in Loop: Header=BB4_7875 Depth=3
	s_xor_b64 s[44:45], exec, -1
; %bb.8301:                             ;   in Loop: Header=BB4_7875 Depth=3
	s_or_b64 exec, exec, vcc
	s_and_b64 s[44:45], s[44:45], exec
	s_or_saveexec_b64 s[46:47], s[46:47]
	v_bfrev_b32_e32 v0, 1
	s_xor_b64 exec, exec, s[46:47]
	s_cbranch_execnz .LBB4_8564
.LBB4_8302:                             ;   in Loop: Header=BB4_7875 Depth=3
	s_or_b64 exec, exec, s[46:47]
	s_and_saveexec_b64 s[46:47], s[44:45]
.LBB4_8303:                             ;   in Loop: Header=BB4_7875 Depth=3
	v_mov_b32_e32 v0, 0x7f800001
	v_cndmask_b32_e64 v0, v9, v0, s[40:41]
.LBB4_8304:                             ;   in Loop: Header=BB4_7875 Depth=3
	s_or_b64 exec, exec, s[46:47]
	v_max_f32_e32 v0, v0, v0
	v_max_f32_e32 v12, v12, v12
	;; [unrolled: 1-line block ×3, first 2 shown]
	s_mov_b64 s[44:45], 0
.LBB4_8305:                             ;   in Loop: Header=BB4_7875 Depth=3
	s_and_b64 vcc, exec, s[44:45]
	s_cbranch_vccz .LBB4_8319
; %bb.8306:                             ;   in Loop: Header=BB4_7875 Depth=3
	v_mov_b32_e32 v12, 0
	s_and_saveexec_b64 s[44:45], s[42:43]
	s_cbranch_execz .LBB4_8312
; %bb.8307:                             ;   in Loop: Header=BB4_7875 Depth=3
	v_cmp_ne_u16_sdwa s[46:47], v8, s80 src0_sel:BYTE_0 src1_sel:DWORD
	v_bfrev_b32_e32 v12, 1
	s_and_saveexec_b64 s[42:43], s[46:47]
	s_cbranch_execz .LBB4_8311
; %bb.8308:                             ;   in Loop: Header=BB4_7875 Depth=3
	v_bfe_u32 v0, v10, 16, 7
	v_cmp_ne_u32_e32 vcc, s81, v0
	v_mov_b32_e32 v12, 0x7f800001
	s_and_saveexec_b64 s[46:47], vcc
	s_cbranch_execz .LBB4_8310
; %bb.8309:                             ;   in Loop: Header=BB4_7875 Depth=3
	v_and_b32_e32 v22, 7, v8
	v_lshrrev_b32_e32 v23, 3, v0
	v_cmp_gt_u32_e32 vcc, 8, v0
	v_ffbh_u32_e32 v0, v22
	v_min_u32_e32 v0, 32, v0
	v_subrev_u32_e32 v12, 28, v0
	v_lshlrev_b64 v[12:13], v12, v[8:9]
	v_sub_u32_e32 v0, 29, v0
	v_and_b32_e32 v12, 7, v12
	v_cndmask_b32_e32 v0, v23, v0, vcc
	v_cndmask_b32_e32 v12, v22, v12, vcc
	v_lshlrev_b32_e32 v8, 24, v8
	v_lshlrev_b32_e32 v12, 20, v12
	v_and_b32_e32 v8, 0x80000000, v8
	v_lshl_add_u32 v0, v0, 23, v54
	v_or3_b32 v12, v8, v0, v12
.LBB4_8310:                             ;   in Loop: Header=BB4_7875 Depth=3
	s_or_b64 exec, exec, s[46:47]
.LBB4_8311:                             ;   in Loop: Header=BB4_7875 Depth=3
	s_or_b64 exec, exec, s[42:43]
.LBB4_8312:                             ;   in Loop: Header=BB4_7875 Depth=3
	s_or_b64 exec, exec, s[44:45]
	v_cmp_gt_i16_sdwa s[44:45], v2, s81 src0_sel:BYTE_0 src1_sel:DWORD
	s_mov_b64 s[42:43], 0
	s_and_saveexec_b64 s[46:47], s[44:45]
	s_xor_b64 s[44:45], exec, s[46:47]
	s_cbranch_execz .LBB4_8565
; %bb.8313:                             ;   in Loop: Header=BB4_7875 Depth=3
	v_cmp_eq_u16_sdwa vcc, v2, s80 src0_sel:BYTE_0 src1_sel:DWORD
	s_mov_b64 s[42:43], -1
	s_and_saveexec_b64 s[46:47], vcc
; %bb.8314:                             ;   in Loop: Header=BB4_7875 Depth=3
	s_xor_b64 s[42:43], exec, -1
; %bb.8315:                             ;   in Loop: Header=BB4_7875 Depth=3
	s_or_b64 exec, exec, s[46:47]
	s_and_b64 s[42:43], s[42:43], exec
                                        ; implicit-def: $vgpr2
	s_or_saveexec_b64 s[44:45], s[44:45]
	v_bfrev_b32_e32 v0, 1
	s_xor_b64 exec, exec, s[44:45]
	s_cbranch_execnz .LBB4_8566
.LBB4_8316:                             ;   in Loop: Header=BB4_7875 Depth=3
	s_or_b64 exec, exec, s[44:45]
	s_and_saveexec_b64 s[44:45], s[42:43]
.LBB4_8317:                             ;   in Loop: Header=BB4_7875 Depth=3
	v_mov_b32_e32 v0, 0x7f800001
	v_cndmask_b32_e64 v0, v9, v0, s[40:41]
.LBB4_8318:                             ;   in Loop: Header=BB4_7875 Depth=3
	s_or_b64 exec, exec, s[44:45]
	v_max_f32_e32 v0, v0, v0
	v_max_f32_e32 v2, v12, v12
	v_min_f32_e32 v12, v2, v0
.LBB4_8319:                             ;   in Loop: Header=BB4_7875 Depth=3
	v_and_b32_e32 v2, 0x7f800000, v12
	v_cmp_ne_u64_e32 vcc, s[76:77], v[2:3]
                                        ; implicit-def: $vgpr37
	s_and_saveexec_b64 s[40:41], vcc
	s_xor_b64 s[42:43], exec, s[40:41]
	s_cbranch_execz .LBB4_8333
; %bb.8320:                             ;   in Loop: Header=BB4_7875 Depth=3
	v_and_b32_e32 v2, 0x7fffffff, v12
	v_cmp_gt_u64_e32 vcc, s[78:79], v[2:3]
	v_and_b32_sdwa v22, v12, s80 dst_sel:DWORD dst_unused:UNUSED_PAD src0_sel:BYTE_3 src1_sel:DWORD
                                        ; implicit-def: $vgpr37
	s_and_saveexec_b64 s[40:41], vcc
	s_xor_b64 s[44:45], exec, s[40:41]
	s_cbranch_execz .LBB4_8330
; %bb.8321:                             ;   in Loop: Header=BB4_7875 Depth=3
	v_mov_b32_e32 v37, 0
	v_cmp_ne_u32_e32 vcc, 0, v12
	s_and_saveexec_b64 s[46:47], vcc
	s_cbranch_execz .LBB4_8329
; %bb.8322:                             ;   in Loop: Header=BB4_7875 Depth=3
	v_bfe_u32 v23, v12, 23, 8
	v_cmp_gt_u32_e64 s[40:41], s83, v23
	v_sub_u32_e32 v2, 0x79, v23
	v_and_b32_e32 v0, 0x7fffff, v12
	v_cmp_eq_u32_e32 vcc, 0, v23
	v_cndmask_b32_e64 v2, 0, v2, s[40:41]
	v_mov_b32_e32 v9, 0x78
	v_or_b32_e32 v8, 0x800000, v0
	v_cndmask_b32_e32 v37, v2, v9, vcc
	v_cndmask_b32_e32 v2, v8, v0, vcc
	v_add_u32_e32 v0, 20, v37
	v_lshlrev_b64 v[8:9], v0, -1
	v_add_u32_e32 v0, 19, v37
	v_lshlrev_b64 v[12:13], v0, 1
	v_bfi_b32 v9, v9, 0, 0
	v_bfi_b32 v8, v8, 0, v2
	v_cmp_eq_u64_e64 s[40:41], v[8:9], v[12:13]
	v_lshrrev_b64 v[8:9], v37, v[2:3]
	v_mov_b32_e32 v13, v9
	v_mov_b32_e32 v12, v8
	s_and_saveexec_b64 s[54:55], s[40:41]
; %bb.8323:                             ;   in Loop: Header=BB4_7875 Depth=3
	v_bfe_u32 v0, v8, 20, 1
	v_add_co_u32_e64 v0, s[40:41], v8, v0
	v_add_co_u32_e64 v12, s[40:41], -1, v0
; %bb.8324:                             ;   in Loop: Header=BB4_7875 Depth=3
	s_or_b64 exec, exec, s[54:55]
	v_add_u32_e32 v0, 0xffffff81, v23
	v_mov_b32_e32 v2, 0xffffff82
	v_cndmask_b32_e32 v0, v0, v2, vcc
	v_lshrrev_b32_e32 v2, 23, v8
	v_add3_u32 v13, v37, v0, v2
	v_add_u32_e32 v0, 6, v13
	v_and_b32_e32 v2, 0xfffff, v12
	v_add_u32_e32 v2, v2, v8
	v_cmp_ne_u32_e32 vcc, 0, v0
                                        ; implicit-def: $vgpr8_vgpr9
                                        ; implicit-def: $vgpr12
	s_and_saveexec_b64 s[40:41], vcc
	s_xor_b64 s[40:41], exec, s[40:41]
; %bb.8325:                             ;   in Loop: Header=BB4_7875 Depth=3
	v_cmp_lt_u64_e32 vcc, s[88:89], v[2:3]
	v_add_u32_e32 v8, 7, v13
	v_cndmask_b32_e32 v12, v0, v8, vcc
	v_cndmask_b32_e64 v0, 0, 1, vcc
	v_lshrrev_b64 v[8:9], v0, v[2:3]
; %bb.8326:                             ;   in Loop: Header=BB4_7875 Depth=3
	s_andn2_saveexec_b64 s[40:41], s[40:41]
; %bb.8327:                             ;   in Loop: Header=BB4_7875 Depth=3
	v_mov_b32_e32 v9, v3
	v_bfe_u32 v12, v2, 23, 1
	v_mov_b32_e32 v8, v2
; %bb.8328:                             ;   in Loop: Header=BB4_7875 Depth=3
	s_or_b64 exec, exec, s[40:41]
	v_lshrrev_b64 v[8:9], 20, v[8:9]
	v_cmp_gt_i32_e32 vcc, 16, v12
	v_cndmask_b32_e32 v9, 0, v9, vcc
	v_cndmask_b32_e32 v8, 7, v8, vcc
	v_min_i32_e32 v0, 15, v12
	v_cmp_eq_u64_e64 s[40:41], 0, v[8:9]
	v_lshlrev_b32_e32 v0, 3, v0
	v_cmp_eq_u32_e32 vcc, 0, v12
	v_and_b32_e32 v0, 0xf8, v0
	v_and_or_b32 v0, v8, 7, v0
	s_and_b64 s[40:41], vcc, s[40:41]
	v_cndmask_b32_e64 v0, v0, 0, s[40:41]
	v_or_b32_e32 v37, v0, v22
.LBB4_8329:                             ;   in Loop: Header=BB4_7875 Depth=3
	s_or_b64 exec, exec, s[46:47]
                                        ; implicit-def: $vgpr22
.LBB4_8330:                             ;   in Loop: Header=BB4_7875 Depth=3
	s_andn2_saveexec_b64 s[40:41], s[44:45]
; %bb.8331:                             ;   in Loop: Header=BB4_7875 Depth=3
	v_or_b32_e32 v37, 0x7e, v22
; %bb.8332:                             ;   in Loop: Header=BB4_7875 Depth=3
	s_or_b64 exec, exec, s[40:41]
                                        ; implicit-def: $vgpr12
.LBB4_8333:                             ;   in Loop: Header=BB4_7875 Depth=3
	s_andn2_saveexec_b64 s[40:41], s[42:43]
; %bb.8334:                             ;   in Loop: Header=BB4_7875 Depth=3
	v_or_b32_sdwa v37, v12, s81 dst_sel:DWORD dst_unused:UNUSED_PAD src0_sel:BYTE_3 src1_sel:DWORD
; %bb.8335:                             ;   in Loop: Header=BB4_7875 Depth=3
	s_or_b64 exec, exec, s[40:41]
	v_bfe_u32 v12, v14, 24, 3
	v_bfe_u32 v8, v14, 24, 7
	v_cmp_eq_u32_e64 s[44:45], s81, v8
	v_cmp_gt_u32_e32 vcc, 8, v8
	v_ffbh_u32_e32 v8, v12
	v_min_u32_e32 v22, 32, v8
	v_lshrrev_b32_e32 v0, 24, v14
	v_subrev_u32_e32 v8, 28, v22
	v_lshlrev_b64 v[8:9], v8, v[0:1]
	v_bfe_u32 v13, v0, 3, 4
	v_cmp_eq_u32_e64 s[42:43], s80, v0
	v_sub_u32_e32 v0, 29, v22
	v_and_b32_e32 v8, 7, v8
	v_cndmask_b32_e32 v0, v13, v0, vcc
	v_cndmask_b32_e32 v8, v12, v8, vcc
	v_lshlrev_b32_e32 v8, 20, v8
	v_and_b32_e32 v9, 0x80000000, v14
	v_lshl_add_u32 v0, v0, 23, v54
	v_lshrrev_b32_e32 v2, 24, v10
	v_cmp_gt_u32_e64 s[40:41], s61, v14
	v_or3_b32 v8, v9, v0, v8
	v_cmp_lt_u32_e64 s[46:47], s63, v10
	s_mov_b64 s[54:55], -1
	s_and_b64 vcc, exec, s[52:53]
                                        ; implicit-def: $vgpr9
	s_cbranch_vccz .LBB4_8343
; %bb.8336:                             ;   in Loop: Header=BB4_7875 Depth=3
	v_mov_b32_e32 v0, 0
	s_and_saveexec_b64 s[54:55], s[46:47]
	s_cbranch_execz .LBB4_8342
; %bb.8337:                             ;   in Loop: Header=BB4_7875 Depth=3
	v_cmp_ne_u32_e32 vcc, s80, v2
	v_bfrev_b32_e32 v0, 1
	s_and_saveexec_b64 s[64:65], vcc
	s_cbranch_execz .LBB4_8341
; %bb.8338:                             ;   in Loop: Header=BB4_7875 Depth=3
	v_bfe_u32 v9, v10, 24, 7
	v_cmp_ne_u32_e32 vcc, s81, v9
	v_mov_b32_e32 v0, 0x7f800001
	s_and_saveexec_b64 s[66:67], vcc
	s_cbranch_execz .LBB4_8340
; %bb.8339:                             ;   in Loop: Header=BB4_7875 Depth=3
	v_and_b32_e32 v0, 7, v2
	v_lshrrev_b32_e32 v22, 3, v9
	v_cmp_gt_u32_e32 vcc, 8, v9
	v_ffbh_u32_e32 v9, v0
	v_min_u32_e32 v9, 32, v9
	v_subrev_u32_e32 v12, 28, v9
	v_lshlrev_b64 v[12:13], v12, v[2:3]
	v_sub_u32_e32 v9, 29, v9
	v_and_b32_e32 v12, 7, v12
	v_cndmask_b32_e32 v9, v22, v9, vcc
	v_cndmask_b32_e32 v0, v0, v12, vcc
	v_lshlrev_b32_e32 v12, 24, v2
	v_lshlrev_b32_e32 v0, 20, v0
	v_and_b32_e32 v12, 0x80000000, v12
	v_lshl_add_u32 v9, v9, 23, v54
	v_or3_b32 v0, v12, v9, v0
.LBB4_8340:                             ;   in Loop: Header=BB4_7875 Depth=3
	s_or_b64 exec, exec, s[66:67]
.LBB4_8341:                             ;   in Loop: Header=BB4_7875 Depth=3
	s_or_b64 exec, exec, s[64:65]
.LBB4_8342:                             ;   in Loop: Header=BB4_7875 Depth=3
	s_or_b64 exec, exec, s[54:55]
	v_mov_b32_e32 v9, 0x7f800001
	v_cndmask_b32_e64 v9, v8, v9, s[44:45]
	v_bfrev_b32_e32 v12, 1
	v_cndmask_b32_e64 v9, v9, v12, s[42:43]
	v_cndmask_b32_e64 v9, v9, 0, s[40:41]
	v_max_f32_e32 v9, v9, v9
	v_max_f32_e32 v0, v0, v0
	;; [unrolled: 1-line block ×3, first 2 shown]
	s_mov_b64 s[54:55], 0
.LBB4_8343:                             ;   in Loop: Header=BB4_7875 Depth=3
	s_and_b64 vcc, exec, s[54:55]
	s_cbranch_vccz .LBB4_8351
; %bb.8344:                             ;   in Loop: Header=BB4_7875 Depth=3
	v_mov_b32_e32 v0, 0
	s_and_saveexec_b64 s[54:55], s[46:47]
	s_cbranch_execz .LBB4_8350
; %bb.8345:                             ;   in Loop: Header=BB4_7875 Depth=3
	v_cmp_ne_u32_e32 vcc, s80, v2
	v_bfrev_b32_e32 v0, 1
	s_and_saveexec_b64 s[46:47], vcc
	s_cbranch_execz .LBB4_8349
; %bb.8346:                             ;   in Loop: Header=BB4_7875 Depth=3
	v_bfe_u32 v9, v10, 24, 7
	v_cmp_ne_u32_e32 vcc, s81, v9
	v_mov_b32_e32 v0, 0x7f800001
	s_and_saveexec_b64 s[64:65], vcc
	s_cbranch_execz .LBB4_8348
; %bb.8347:                             ;   in Loop: Header=BB4_7875 Depth=3
	v_and_b32_e32 v0, 7, v2
	v_lshrrev_b32_e32 v22, 3, v9
	v_cmp_gt_u32_e32 vcc, 8, v9
	v_ffbh_u32_e32 v9, v0
	v_min_u32_e32 v9, 32, v9
	v_subrev_u32_e32 v12, 28, v9
	v_lshlrev_b64 v[12:13], v12, v[2:3]
	v_sub_u32_e32 v9, 29, v9
	v_and_b32_e32 v12, 7, v12
	v_cndmask_b32_e32 v9, v22, v9, vcc
	v_cndmask_b32_e32 v0, v0, v12, vcc
	v_lshlrev_b32_e32 v2, 24, v2
	v_lshlrev_b32_e32 v0, 20, v0
	v_and_b32_e32 v2, 0x80000000, v2
	v_lshl_add_u32 v9, v9, 23, v54
	v_or3_b32 v0, v2, v9, v0
.LBB4_8348:                             ;   in Loop: Header=BB4_7875 Depth=3
	s_or_b64 exec, exec, s[64:65]
.LBB4_8349:                             ;   in Loop: Header=BB4_7875 Depth=3
	s_or_b64 exec, exec, s[46:47]
.LBB4_8350:                             ;   in Loop: Header=BB4_7875 Depth=3
	s_or_b64 exec, exec, s[54:55]
	v_mov_b32_e32 v2, 0x7f800001
	v_cndmask_b32_e64 v2, v8, v2, s[44:45]
	v_bfrev_b32_e32 v8, 1
	v_cndmask_b32_e64 v2, v2, v8, s[42:43]
	v_cndmask_b32_e64 v2, v2, 0, s[40:41]
	v_max_f32_e32 v2, v2, v2
	v_max_f32_e32 v0, v0, v0
	v_min_f32_e32 v9, v0, v2
.LBB4_8351:                             ;   in Loop: Header=BB4_7875 Depth=3
	v_and_b32_e32 v2, 0x7f800000, v9
	v_cmp_ne_u64_e32 vcc, s[76:77], v[2:3]
                                        ; implicit-def: $vgpr50
	s_and_saveexec_b64 s[40:41], vcc
	s_xor_b64 s[42:43], exec, s[40:41]
	s_cbranch_execz .LBB4_8365
; %bb.8352:                             ;   in Loop: Header=BB4_7875 Depth=3
	v_and_b32_e32 v2, 0x7fffffff, v9
	v_cmp_gt_u64_e32 vcc, s[78:79], v[2:3]
	v_and_b32_sdwa v22, v9, s80 dst_sel:DWORD dst_unused:UNUSED_PAD src0_sel:BYTE_3 src1_sel:DWORD
                                        ; implicit-def: $vgpr50
	s_and_saveexec_b64 s[40:41], vcc
	s_xor_b64 s[44:45], exec, s[40:41]
	s_cbranch_execz .LBB4_8362
; %bb.8353:                             ;   in Loop: Header=BB4_7875 Depth=3
	v_mov_b32_e32 v50, 0
	v_cmp_ne_u32_e32 vcc, 0, v9
	s_and_saveexec_b64 s[46:47], vcc
	s_cbranch_execz .LBB4_8361
; %bb.8354:                             ;   in Loop: Header=BB4_7875 Depth=3
	v_bfe_u32 v23, v9, 23, 8
	v_cmp_gt_u32_e64 s[40:41], s83, v23
	v_sub_u32_e32 v2, 0x79, v23
	v_and_b32_e32 v0, 0x7fffff, v9
	v_cmp_eq_u32_e32 vcc, 0, v23
	v_cndmask_b32_e64 v2, 0, v2, s[40:41]
	v_mov_b32_e32 v9, 0x78
	v_or_b32_e32 v8, 0x800000, v0
	v_cndmask_b32_e32 v50, v2, v9, vcc
	v_cndmask_b32_e32 v2, v8, v0, vcc
	v_add_u32_e32 v0, 20, v50
	v_lshlrev_b64 v[8:9], v0, -1
	v_add_u32_e32 v0, 19, v50
	v_lshlrev_b64 v[12:13], v0, 1
	v_bfi_b32 v9, v9, 0, 0
	v_bfi_b32 v8, v8, 0, v2
	v_cmp_eq_u64_e64 s[40:41], v[8:9], v[12:13]
	v_lshrrev_b64 v[8:9], v50, v[2:3]
	v_mov_b32_e32 v13, v9
	v_mov_b32_e32 v12, v8
	s_and_saveexec_b64 s[54:55], s[40:41]
; %bb.8355:                             ;   in Loop: Header=BB4_7875 Depth=3
	v_bfe_u32 v0, v8, 20, 1
	v_add_co_u32_e64 v0, s[40:41], v8, v0
	v_add_co_u32_e64 v12, s[40:41], -1, v0
; %bb.8356:                             ;   in Loop: Header=BB4_7875 Depth=3
	s_or_b64 exec, exec, s[54:55]
	v_add_u32_e32 v0, 0xffffff81, v23
	v_mov_b32_e32 v2, 0xffffff82
	v_cndmask_b32_e32 v0, v0, v2, vcc
	v_lshrrev_b32_e32 v2, 23, v8
	v_add3_u32 v13, v50, v0, v2
	v_add_u32_e32 v0, 6, v13
	v_and_b32_e32 v2, 0xfffff, v12
	v_add_u32_e32 v2, v2, v8
	v_cmp_ne_u32_e32 vcc, 0, v0
                                        ; implicit-def: $vgpr8_vgpr9
                                        ; implicit-def: $vgpr12
	s_and_saveexec_b64 s[40:41], vcc
	s_xor_b64 s[40:41], exec, s[40:41]
; %bb.8357:                             ;   in Loop: Header=BB4_7875 Depth=3
	v_cmp_lt_u64_e32 vcc, s[88:89], v[2:3]
	v_add_u32_e32 v8, 7, v13
	v_cndmask_b32_e32 v12, v0, v8, vcc
	v_cndmask_b32_e64 v0, 0, 1, vcc
	v_lshrrev_b64 v[8:9], v0, v[2:3]
; %bb.8358:                             ;   in Loop: Header=BB4_7875 Depth=3
	s_andn2_saveexec_b64 s[40:41], s[40:41]
; %bb.8359:                             ;   in Loop: Header=BB4_7875 Depth=3
	v_mov_b32_e32 v9, v3
	v_bfe_u32 v12, v2, 23, 1
	v_mov_b32_e32 v8, v2
; %bb.8360:                             ;   in Loop: Header=BB4_7875 Depth=3
	s_or_b64 exec, exec, s[40:41]
	v_lshrrev_b64 v[8:9], 20, v[8:9]
	v_cmp_gt_i32_e32 vcc, 16, v12
	v_cndmask_b32_e32 v9, 0, v9, vcc
	v_cndmask_b32_e32 v8, 7, v8, vcc
	v_min_i32_e32 v0, 15, v12
	v_cmp_eq_u64_e64 s[40:41], 0, v[8:9]
	v_lshlrev_b32_e32 v0, 3, v0
	v_cmp_eq_u32_e32 vcc, 0, v12
	v_and_b32_e32 v0, 0xf8, v0
	v_and_or_b32 v0, v8, 7, v0
	s_and_b64 s[40:41], vcc, s[40:41]
	v_cndmask_b32_e64 v0, v0, 0, s[40:41]
	v_or_b32_e32 v50, v0, v22
.LBB4_8361:                             ;   in Loop: Header=BB4_7875 Depth=3
	s_or_b64 exec, exec, s[46:47]
                                        ; implicit-def: $vgpr22
.LBB4_8362:                             ;   in Loop: Header=BB4_7875 Depth=3
	s_andn2_saveexec_b64 s[40:41], s[44:45]
; %bb.8363:                             ;   in Loop: Header=BB4_7875 Depth=3
	v_or_b32_e32 v50, 0x7e, v22
; %bb.8364:                             ;   in Loop: Header=BB4_7875 Depth=3
	s_or_b64 exec, exec, s[40:41]
                                        ; implicit-def: $vgpr9
.LBB4_8365:                             ;   in Loop: Header=BB4_7875 Depth=3
	s_andn2_saveexec_b64 s[40:41], s[42:43]
; %bb.8366:                             ;   in Loop: Header=BB4_7875 Depth=3
	v_or_b32_sdwa v50, v9, s81 dst_sel:DWORD dst_unused:UNUSED_PAD src0_sel:BYTE_3 src1_sel:DWORD
; %bb.8367:                             ;   in Loop: Header=BB4_7875 Depth=3
	s_or_b64 exec, exec, s[40:41]
	v_and_b32_e32 v0, 7, v15
	v_ffbh_u32_e32 v0, v0
	v_and_b32_e32 v12, 0x7f, v15
	v_min_u32_e32 v0, 32, v0
	v_cmp_eq_u32_e64 s[40:41], s81, v12
	v_cmp_gt_u32_e32 vcc, 8, v12
	v_subrev_u32_e32 v12, 28, v0
	v_mov_b32_e32 v8, v15
	v_mov_b32_e32 v9, v3
	v_bfe_u32 v13, v15, 3, 4
	v_sub_u32_e32 v0, 29, v0
	v_cndmask_b32_e32 v12, 0, v12, vcc
	v_cndmask_b32_e32 v0, v13, v0, vcc
	v_lshlrev_b64 v[12:13], v12, v[8:9]
	v_lshl_add_u32 v0, v0, 23, v54
	v_lshlrev_b32_e32 v9, 20, v12
	v_lshlrev_b32_e32 v12, 24, v15
	v_and_b32_e32 v9, 0x700000, v9
	v_and_b32_e32 v12, 0x80000000, v12
	v_mov_b32_e32 v2, v11
	v_or3_b32 v9, v12, v0, v9
	v_cmp_ne_u16_sdwa s[42:43], v11, v3 src0_sel:BYTE_0 src1_sel:DWORD
	s_mov_b64 s[44:45], -1
	s_and_b64 vcc, exec, s[52:53]
                                        ; implicit-def: $vgpr12
	s_cbranch_vccz .LBB4_8381
; %bb.8368:                             ;   in Loop: Header=BB4_7875 Depth=3
	v_mov_b32_e32 v12, 0
	s_and_saveexec_b64 s[44:45], s[42:43]
	s_cbranch_execz .LBB4_8374
; %bb.8369:                             ;   in Loop: Header=BB4_7875 Depth=3
	v_cmp_ne_u16_sdwa vcc, v11, s80 src0_sel:BYTE_0 src1_sel:DWORD
	v_bfrev_b32_e32 v12, 1
	s_and_saveexec_b64 s[46:47], vcc
	s_cbranch_execz .LBB4_8373
; %bb.8370:                             ;   in Loop: Header=BB4_7875 Depth=3
	v_and_b32_e32 v0, 0x7f, v11
	v_cmp_ne_u32_e32 vcc, s81, v0
	v_mov_b32_e32 v12, 0x7f800001
	s_and_saveexec_b64 s[54:55], vcc
	s_cbranch_execz .LBB4_8372
; %bb.8371:                             ;   in Loop: Header=BB4_7875 Depth=3
	v_and_b32_e32 v12, 7, v11
	v_lshrrev_b32_e32 v13, 3, v0
	v_cmp_gt_u32_e32 vcc, 8, v0
	v_ffbh_u32_e32 v0, v12
	v_min_u32_e32 v0, 32, v0
	v_subrev_u32_e32 v12, 28, v0
	v_sub_u32_e32 v0, 29, v0
	v_cndmask_b32_e32 v12, 0, v12, vcc
	v_cndmask_b32_e32 v0, v13, v0, vcc
	v_lshlrev_b64 v[12:13], v12, v[2:3]
	v_lshlrev_b32_e32 v13, 24, v2
	v_lshlrev_b32_e32 v12, 20, v12
	v_and_b32_e32 v12, 0x700000, v12
	v_and_b32_e32 v13, 0x80000000, v13
	v_lshl_add_u32 v0, v0, 23, v54
	v_or3_b32 v12, v13, v0, v12
.LBB4_8372:                             ;   in Loop: Header=BB4_7875 Depth=3
	s_or_b64 exec, exec, s[54:55]
.LBB4_8373:                             ;   in Loop: Header=BB4_7875 Depth=3
	s_or_b64 exec, exec, s[46:47]
.LBB4_8374:                             ;   in Loop: Header=BB4_7875 Depth=3
	s_or_b64 exec, exec, s[44:45]
	v_cmp_gt_i16_sdwa s[46:47], v15, s81 src0_sel:BYTE_0 src1_sel:DWORD
	s_mov_b64 s[44:45], 0
	s_and_saveexec_b64 vcc, s[46:47]
	s_xor_b64 s[46:47], exec, vcc
	s_cbranch_execz .LBB4_8567
; %bb.8375:                             ;   in Loop: Header=BB4_7875 Depth=3
	v_cmp_eq_u16_sdwa s[54:55], v15, s80 src0_sel:BYTE_0 src1_sel:DWORD
	s_mov_b64 s[44:45], -1
	s_and_saveexec_b64 vcc, s[54:55]
; %bb.8376:                             ;   in Loop: Header=BB4_7875 Depth=3
	s_xor_b64 s[44:45], exec, -1
; %bb.8377:                             ;   in Loop: Header=BB4_7875 Depth=3
	s_or_b64 exec, exec, vcc
	s_and_b64 s[44:45], s[44:45], exec
	s_or_saveexec_b64 s[46:47], s[46:47]
	v_bfrev_b32_e32 v0, 1
	s_xor_b64 exec, exec, s[46:47]
	s_cbranch_execnz .LBB4_8568
.LBB4_8378:                             ;   in Loop: Header=BB4_7875 Depth=3
	s_or_b64 exec, exec, s[46:47]
	s_and_saveexec_b64 s[46:47], s[44:45]
.LBB4_8379:                             ;   in Loop: Header=BB4_7875 Depth=3
	v_mov_b32_e32 v0, 0x7f800001
	v_cndmask_b32_e64 v0, v9, v0, s[40:41]
.LBB4_8380:                             ;   in Loop: Header=BB4_7875 Depth=3
	s_or_b64 exec, exec, s[46:47]
	v_max_f32_e32 v0, v0, v0
	v_max_f32_e32 v12, v12, v12
	v_max_f32_e32 v12, v12, v0
	s_mov_b64 s[44:45], 0
.LBB4_8381:                             ;   in Loop: Header=BB4_7875 Depth=3
	s_and_b64 vcc, exec, s[44:45]
	s_cbranch_vccz .LBB4_8395
; %bb.8382:                             ;   in Loop: Header=BB4_7875 Depth=3
	v_mov_b32_e32 v12, 0
	s_and_saveexec_b64 s[44:45], s[42:43]
	s_cbranch_execz .LBB4_8388
; %bb.8383:                             ;   in Loop: Header=BB4_7875 Depth=3
	v_cmp_ne_u16_sdwa s[46:47], v11, s80 src0_sel:BYTE_0 src1_sel:DWORD
	v_bfrev_b32_e32 v12, 1
	s_and_saveexec_b64 s[42:43], s[46:47]
	s_cbranch_execz .LBB4_8387
; %bb.8384:                             ;   in Loop: Header=BB4_7875 Depth=3
	v_and_b32_e32 v0, 0x7f, v11
	v_cmp_ne_u32_e32 vcc, s81, v0
	v_mov_b32_e32 v12, 0x7f800001
	s_and_saveexec_b64 s[46:47], vcc
	s_cbranch_execz .LBB4_8386
; %bb.8385:                             ;   in Loop: Header=BB4_7875 Depth=3
	v_and_b32_e32 v12, 7, v11
	v_lshrrev_b32_e32 v13, 3, v0
	v_cmp_gt_u32_e32 vcc, 8, v0
	v_ffbh_u32_e32 v0, v12
	v_min_u32_e32 v0, 32, v0
	v_subrev_u32_e32 v12, 28, v0
	v_sub_u32_e32 v0, 29, v0
	v_cndmask_b32_e32 v12, 0, v12, vcc
	v_cndmask_b32_e32 v0, v13, v0, vcc
	v_lshlrev_b64 v[12:13], v12, v[2:3]
	v_lshlrev_b32_e32 v13, 24, v2
	v_lshlrev_b32_e32 v12, 20, v12
	v_and_b32_e32 v12, 0x700000, v12
	v_and_b32_e32 v13, 0x80000000, v13
	v_lshl_add_u32 v0, v0, 23, v54
	v_or3_b32 v12, v13, v0, v12
.LBB4_8386:                             ;   in Loop: Header=BB4_7875 Depth=3
	s_or_b64 exec, exec, s[46:47]
.LBB4_8387:                             ;   in Loop: Header=BB4_7875 Depth=3
	s_or_b64 exec, exec, s[42:43]
.LBB4_8388:                             ;   in Loop: Header=BB4_7875 Depth=3
	s_or_b64 exec, exec, s[44:45]
	v_cmp_gt_i16_sdwa s[44:45], v15, s81 src0_sel:BYTE_0 src1_sel:DWORD
	s_mov_b64 s[42:43], 0
	s_and_saveexec_b64 s[46:47], s[44:45]
	s_xor_b64 s[44:45], exec, s[46:47]
	s_cbranch_execz .LBB4_8569
; %bb.8389:                             ;   in Loop: Header=BB4_7875 Depth=3
	v_cmp_eq_u16_sdwa vcc, v15, s80 src0_sel:BYTE_0 src1_sel:DWORD
	s_mov_b64 s[42:43], -1
	s_and_saveexec_b64 s[46:47], vcc
; %bb.8390:                             ;   in Loop: Header=BB4_7875 Depth=3
	s_xor_b64 s[42:43], exec, -1
; %bb.8391:                             ;   in Loop: Header=BB4_7875 Depth=3
	s_or_b64 exec, exec, s[46:47]
	s_and_b64 s[42:43], s[42:43], exec
	s_or_saveexec_b64 s[44:45], s[44:45]
	v_bfrev_b32_e32 v0, 1
	s_xor_b64 exec, exec, s[44:45]
	s_cbranch_execnz .LBB4_8570
.LBB4_8392:                             ;   in Loop: Header=BB4_7875 Depth=3
	s_or_b64 exec, exec, s[44:45]
	s_and_saveexec_b64 s[44:45], s[42:43]
.LBB4_8393:                             ;   in Loop: Header=BB4_7875 Depth=3
	v_mov_b32_e32 v0, 0x7f800001
	v_cndmask_b32_e64 v0, v9, v0, s[40:41]
.LBB4_8394:                             ;   in Loop: Header=BB4_7875 Depth=3
	s_or_b64 exec, exec, s[44:45]
	v_max_f32_e32 v0, v0, v0
	v_max_f32_e32 v9, v12, v12
	v_min_f32_e32 v12, v9, v0
.LBB4_8395:                             ;   in Loop: Header=BB4_7875 Depth=3
	v_and_b32_e32 v22, 0x7f800000, v12
	v_mov_b32_e32 v23, v3
	v_cmp_ne_u64_e32 vcc, s[76:77], v[22:23]
                                        ; implicit-def: $vgpr22
	s_and_saveexec_b64 s[40:41], vcc
	s_xor_b64 s[42:43], exec, s[40:41]
	s_cbranch_execz .LBB4_8409
; %bb.8396:                             ;   in Loop: Header=BB4_7875 Depth=3
	v_and_b32_e32 v22, 0x7fffffff, v12
	v_mov_b32_e32 v23, v3
	v_cmp_gt_u64_e32 vcc, s[78:79], v[22:23]
	v_and_b32_sdwa v9, v12, s80 dst_sel:DWORD dst_unused:UNUSED_PAD src0_sel:BYTE_3 src1_sel:DWORD
                                        ; implicit-def: $vgpr22
	s_and_saveexec_b64 s[40:41], vcc
	s_xor_b64 s[44:45], exec, s[40:41]
	s_cbranch_execz .LBB4_8406
; %bb.8397:                             ;   in Loop: Header=BB4_7875 Depth=3
	v_mov_b32_e32 v22, 0
	v_cmp_ne_u32_e32 vcc, 0, v12
	s_and_saveexec_b64 s[46:47], vcc
	s_cbranch_execz .LBB4_8405
; %bb.8398:                             ;   in Loop: Header=BB4_7875 Depth=3
	v_bfe_u32 v51, v12, 23, 8
	v_and_b32_e32 v0, 0x7fffff, v12
	v_cmp_gt_u32_e64 s[40:41], s83, v51
	v_sub_u32_e32 v12, 0x79, v51
	v_cmp_eq_u32_e32 vcc, 0, v51
	v_cndmask_b32_e64 v12, 0, v12, s[40:41]
	v_mov_b32_e32 v22, 0x78
	v_or_b32_e32 v13, 0x800000, v0
	v_cndmask_b32_e32 v53, v12, v22, vcc
	v_cndmask_b32_e32 v12, v13, v0, vcc
	v_add_u32_e32 v0, 20, v53
	v_lshlrev_b64 v[22:23], v0, -1
	v_mov_b32_e32 v13, v3
	v_add_u32_e32 v0, 19, v53
	v_bfi_b32 v22, v22, 0, v12
	v_lshlrev_b64 v[42:43], v0, 1
	v_lshrrev_b64 v[12:13], v53, v[12:13]
	v_bfi_b32 v23, v23, 0, 0
	v_cmp_eq_u64_e64 s[40:41], v[22:23], v[42:43]
	v_mov_b32_e32 v23, v13
	v_mov_b32_e32 v22, v12
	s_and_saveexec_b64 s[54:55], s[40:41]
; %bb.8399:                             ;   in Loop: Header=BB4_7875 Depth=3
	v_bfe_u32 v0, v12, 20, 1
	v_add_co_u32_e64 v0, s[40:41], v12, v0
	v_add_co_u32_e64 v22, s[40:41], -1, v0
; %bb.8400:                             ;   in Loop: Header=BB4_7875 Depth=3
	s_or_b64 exec, exec, s[54:55]
	v_add_u32_e32 v0, 0xffffff81, v51
	v_mov_b32_e32 v13, 0xffffff82
	v_cndmask_b32_e32 v0, v0, v13, vcc
	v_lshrrev_b32_e32 v13, 23, v12
	v_add3_u32 v23, v53, v0, v13
	v_add_u32_e32 v0, 6, v23
	v_and_b32_e32 v13, 0xfffff, v22
	v_add_u32_e32 v12, v13, v12
	v_mov_b32_e32 v13, v3
	v_cmp_ne_u32_e32 vcc, 0, v0
                                        ; implicit-def: $vgpr22
	s_and_saveexec_b64 s[40:41], vcc
	s_xor_b64 s[40:41], exec, s[40:41]
; %bb.8401:                             ;   in Loop: Header=BB4_7875 Depth=3
	v_cmp_lt_u64_e32 vcc, s[88:89], v[12:13]
	v_add_u32_e32 v22, 7, v23
	v_cndmask_b32_e32 v22, v0, v22, vcc
	v_cndmask_b32_e64 v0, 0, 1, vcc
	v_lshrrev_b64 v[12:13], v0, v[12:13]
; %bb.8402:                             ;   in Loop: Header=BB4_7875 Depth=3
	s_andn2_saveexec_b64 s[40:41], s[40:41]
; %bb.8403:                             ;   in Loop: Header=BB4_7875 Depth=3
	v_bfe_u32 v22, v12, 23, 1
; %bb.8404:                             ;   in Loop: Header=BB4_7875 Depth=3
	s_or_b64 exec, exec, s[40:41]
	v_lshrrev_b64 v[12:13], 20, v[12:13]
	v_cmp_gt_i32_e32 vcc, 16, v22
	v_cndmask_b32_e32 v13, 0, v13, vcc
	v_cndmask_b32_e32 v12, 7, v12, vcc
	v_min_i32_e32 v0, 15, v22
	v_cmp_eq_u64_e64 s[40:41], 0, v[12:13]
	v_lshlrev_b32_e32 v0, 3, v0
	v_cmp_eq_u32_e32 vcc, 0, v22
	v_and_b32_e32 v0, 0xf8, v0
	v_and_or_b32 v0, v12, 7, v0
	s_and_b64 s[40:41], vcc, s[40:41]
	v_cndmask_b32_e64 v0, v0, 0, s[40:41]
	v_or_b32_e32 v22, v0, v9
.LBB4_8405:                             ;   in Loop: Header=BB4_7875 Depth=3
	s_or_b64 exec, exec, s[46:47]
                                        ; implicit-def: $vgpr9
.LBB4_8406:                             ;   in Loop: Header=BB4_7875 Depth=3
	s_andn2_saveexec_b64 s[40:41], s[44:45]
; %bb.8407:                             ;   in Loop: Header=BB4_7875 Depth=3
	v_or_b32_e32 v22, 0x7e, v9
; %bb.8408:                             ;   in Loop: Header=BB4_7875 Depth=3
	s_or_b64 exec, exec, s[40:41]
                                        ; implicit-def: $vgpr12
.LBB4_8409:                             ;   in Loop: Header=BB4_7875 Depth=3
	s_andn2_saveexec_b64 s[40:41], s[42:43]
; %bb.8410:                             ;   in Loop: Header=BB4_7875 Depth=3
	v_or_b32_sdwa v22, v12, s81 dst_sel:DWORD dst_unused:UNUSED_PAD src0_sel:BYTE_3 src1_sel:DWORD
; %bb.8411:                             ;   in Loop: Header=BB4_7875 Depth=3
	s_or_b64 exec, exec, s[40:41]
	v_lshrrev_b16_e32 v8, 8, v8
	v_and_b32_e32 v0, 7, v8
	v_and_b32_e32 v13, 0x7f, v8
	v_cmp_eq_u32_e64 s[40:41], s81, v13
	v_cmp_gt_u32_e32 vcc, 8, v13
	v_ffbh_u32_e32 v13, v0
	v_min_u32_e32 v13, 32, v13
	v_mov_b32_e32 v9, v3
	v_subrev_u32_e32 v51, 28, v13
	v_lshlrev_b64 v[42:43], v51, v[8:9]
	v_bfe_u32 v23, v8, 3, 4
	v_sub_u32_e32 v9, 29, v13
	v_and_b32_e32 v13, 7, v42
	v_cndmask_b32_e32 v9, v23, v9, vcc
	v_cndmask_b32_e32 v0, v0, v13, vcc
	v_lshlrev_b32_e32 v13, 24, v8
	v_lshrrev_b16_e32 v12, 8, v2
	v_lshlrev_b32_e32 v0, 20, v0
	v_and_b32_e32 v13, 0x80000000, v13
	v_lshl_add_u32 v9, v9, 23, v54
	v_or3_b32 v9, v13, v9, v0
	v_cmp_ne_u16_e64 s[42:43], 0, v12
	s_mov_b64 s[44:45], -1
	s_and_b64 vcc, exec, s[52:53]
                                        ; implicit-def: $vgpr13
	s_cbranch_vccz .LBB4_8425
; %bb.8412:                             ;   in Loop: Header=BB4_7875 Depth=3
	v_mov_b32_e32 v13, 0
	s_and_saveexec_b64 s[44:45], s[42:43]
	s_cbranch_execz .LBB4_8418
; %bb.8413:                             ;   in Loop: Header=BB4_7875 Depth=3
	v_cmp_ne_u16_e32 vcc, s80, v12
	v_bfrev_b32_e32 v13, 1
	s_and_saveexec_b64 s[46:47], vcc
	s_cbranch_execz .LBB4_8417
; %bb.8414:                             ;   in Loop: Header=BB4_7875 Depth=3
	v_and_b32_e32 v0, 0x7f, v12
	v_cmp_ne_u32_e32 vcc, s81, v0
	v_mov_b32_e32 v13, 0x7f800001
	s_and_saveexec_b64 s[54:55], vcc
	s_cbranch_execz .LBB4_8416
; %bb.8415:                             ;   in Loop: Header=BB4_7875 Depth=3
	v_and_b32_e32 v13, 7, v12
	v_lshrrev_b32_e32 v23, 3, v0
	v_cmp_gt_u32_e32 vcc, 8, v0
	v_ffbh_u32_e32 v0, v13
	v_min_u32_e32 v0, 32, v0
	v_subrev_u32_e32 v51, 28, v0
	v_lshlrev_b64 v[42:43], v51, v[12:13]
	v_sub_u32_e32 v0, 29, v0
	v_and_b32_e32 v51, 7, v42
	v_cndmask_b32_e32 v0, v23, v0, vcc
	v_cndmask_b32_e32 v13, v13, v51, vcc
	v_lshlrev_b32_e32 v23, 16, v2
	v_lshlrev_b32_e32 v13, 20, v13
	v_and_b32_e32 v23, 0x80000000, v23
	v_lshl_add_u32 v0, v0, 23, v54
	v_or3_b32 v13, v23, v0, v13
.LBB4_8416:                             ;   in Loop: Header=BB4_7875 Depth=3
	s_or_b64 exec, exec, s[54:55]
.LBB4_8417:                             ;   in Loop: Header=BB4_7875 Depth=3
	s_or_b64 exec, exec, s[46:47]
.LBB4_8418:                             ;   in Loop: Header=BB4_7875 Depth=3
	s_or_b64 exec, exec, s[44:45]
	v_cmp_lt_i16_e32 vcc, s81, v8
	s_mov_b64 s[44:45], 0
	s_and_saveexec_b64 s[46:47], vcc
	s_xor_b64 s[46:47], exec, s[46:47]
	s_cbranch_execz .LBB4_8571
; %bb.8419:                             ;   in Loop: Header=BB4_7875 Depth=3
	v_cmp_eq_u16_e32 vcc, s80, v8
	s_mov_b64 s[44:45], -1
	s_and_saveexec_b64 s[54:55], vcc
; %bb.8420:                             ;   in Loop: Header=BB4_7875 Depth=3
	s_xor_b64 s[44:45], exec, -1
; %bb.8421:                             ;   in Loop: Header=BB4_7875 Depth=3
	s_or_b64 exec, exec, s[54:55]
	s_and_b64 s[44:45], s[44:45], exec
	s_or_saveexec_b64 s[46:47], s[46:47]
	v_bfrev_b32_e32 v0, 1
	s_xor_b64 exec, exec, s[46:47]
	s_cbranch_execnz .LBB4_8572
.LBB4_8422:                             ;   in Loop: Header=BB4_7875 Depth=3
	s_or_b64 exec, exec, s[46:47]
	s_and_saveexec_b64 s[46:47], s[44:45]
.LBB4_8423:                             ;   in Loop: Header=BB4_7875 Depth=3
	v_mov_b32_e32 v0, 0x7f800001
	v_cndmask_b32_e64 v0, v9, v0, s[40:41]
.LBB4_8424:                             ;   in Loop: Header=BB4_7875 Depth=3
	s_or_b64 exec, exec, s[46:47]
	v_max_f32_e32 v0, v0, v0
	v_max_f32_e32 v13, v13, v13
	;; [unrolled: 1-line block ×3, first 2 shown]
	s_mov_b64 s[44:45], 0
.LBB4_8425:                             ;   in Loop: Header=BB4_7875 Depth=3
	s_and_b64 vcc, exec, s[44:45]
	s_cbranch_vccz .LBB4_8439
; %bb.8426:                             ;   in Loop: Header=BB4_7875 Depth=3
	v_mov_b32_e32 v13, 0
	s_and_saveexec_b64 s[44:45], s[42:43]
	s_cbranch_execz .LBB4_8432
; %bb.8427:                             ;   in Loop: Header=BB4_7875 Depth=3
	v_cmp_ne_u16_e32 vcc, s80, v12
	v_bfrev_b32_e32 v13, 1
	s_and_saveexec_b64 s[42:43], vcc
	s_cbranch_execz .LBB4_8431
; %bb.8428:                             ;   in Loop: Header=BB4_7875 Depth=3
	v_and_b32_e32 v0, 0x7f, v12
	v_cmp_ne_u32_e32 vcc, s81, v0
	v_mov_b32_e32 v13, 0x7f800001
	s_and_saveexec_b64 s[46:47], vcc
	s_cbranch_execz .LBB4_8430
; %bb.8429:                             ;   in Loop: Header=BB4_7875 Depth=3
	v_and_b32_e32 v23, 7, v12
	v_lshrrev_b32_e32 v51, 3, v0
	v_cmp_gt_u32_e32 vcc, 8, v0
	v_ffbh_u32_e32 v0, v23
	v_min_u32_e32 v0, 32, v0
	v_subrev_u32_e32 v13, 28, v0
	v_lshlrev_b64 v[12:13], v13, v[12:13]
	v_sub_u32_e32 v0, 29, v0
	v_and_b32_e32 v12, 7, v12
	v_cndmask_b32_e32 v0, v51, v0, vcc
	v_cndmask_b32_e32 v12, v23, v12, vcc
	v_lshlrev_b32_e32 v2, 16, v2
	v_lshlrev_b32_e32 v12, 20, v12
	v_and_b32_e32 v2, 0x80000000, v2
	v_lshl_add_u32 v0, v0, 23, v54
	v_or3_b32 v13, v2, v0, v12
.LBB4_8430:                             ;   in Loop: Header=BB4_7875 Depth=3
	s_or_b64 exec, exec, s[46:47]
.LBB4_8431:                             ;   in Loop: Header=BB4_7875 Depth=3
	s_or_b64 exec, exec, s[42:43]
.LBB4_8432:                             ;   in Loop: Header=BB4_7875 Depth=3
	s_or_b64 exec, exec, s[44:45]
	v_cmp_lt_i16_e32 vcc, s81, v8
	s_mov_b64 s[42:43], 0
	s_and_saveexec_b64 s[44:45], vcc
	s_xor_b64 s[44:45], exec, s[44:45]
	s_cbranch_execz .LBB4_8573
; %bb.8433:                             ;   in Loop: Header=BB4_7875 Depth=3
	v_cmp_eq_u16_e32 vcc, s80, v8
	s_mov_b64 s[42:43], -1
	s_and_saveexec_b64 s[46:47], vcc
; %bb.8434:                             ;   in Loop: Header=BB4_7875 Depth=3
	s_xor_b64 s[42:43], exec, -1
; %bb.8435:                             ;   in Loop: Header=BB4_7875 Depth=3
	s_or_b64 exec, exec, s[46:47]
	s_and_b64 s[42:43], s[42:43], exec
                                        ; implicit-def: $vgpr8
	s_or_saveexec_b64 s[44:45], s[44:45]
	v_bfrev_b32_e32 v0, 1
	s_xor_b64 exec, exec, s[44:45]
	s_cbranch_execnz .LBB4_8574
.LBB4_8436:                             ;   in Loop: Header=BB4_7875 Depth=3
	s_or_b64 exec, exec, s[44:45]
	s_and_saveexec_b64 s[44:45], s[42:43]
.LBB4_8437:                             ;   in Loop: Header=BB4_7875 Depth=3
	v_mov_b32_e32 v0, 0x7f800001
	v_cndmask_b32_e64 v0, v9, v0, s[40:41]
.LBB4_8438:                             ;   in Loop: Header=BB4_7875 Depth=3
	s_or_b64 exec, exec, s[44:45]
	v_max_f32_e32 v0, v0, v0
	v_max_f32_e32 v2, v13, v13
	v_min_f32_e32 v13, v2, v0
.LBB4_8439:                             ;   in Loop: Header=BB4_7875 Depth=3
	v_and_b32_e32 v2, 0x7f800000, v13
	v_cmp_ne_u64_e32 vcc, s[76:77], v[2:3]
                                        ; implicit-def: $vgpr23
	s_and_saveexec_b64 s[40:41], vcc
	s_xor_b64 s[42:43], exec, s[40:41]
	s_cbranch_execz .LBB4_8453
; %bb.8440:                             ;   in Loop: Header=BB4_7875 Depth=3
	v_and_b32_e32 v2, 0x7fffffff, v13
	v_cmp_gt_u64_e32 vcc, s[78:79], v[2:3]
	v_and_b32_sdwa v51, v13, s80 dst_sel:DWORD dst_unused:UNUSED_PAD src0_sel:BYTE_3 src1_sel:DWORD
                                        ; implicit-def: $vgpr23
	s_and_saveexec_b64 s[40:41], vcc
	s_xor_b64 s[44:45], exec, s[40:41]
	s_cbranch_execz .LBB4_8450
; %bb.8441:                             ;   in Loop: Header=BB4_7875 Depth=3
	v_mov_b32_e32 v23, 0
	v_cmp_ne_u32_e32 vcc, 0, v13
	s_and_saveexec_b64 s[46:47], vcc
	s_cbranch_execz .LBB4_8449
; %bb.8442:                             ;   in Loop: Header=BB4_7875 Depth=3
	v_bfe_u32 v23, v13, 23, 8
	v_cmp_gt_u32_e64 s[40:41], s83, v23
	v_sub_u32_e32 v2, 0x79, v23
	v_and_b32_e32 v0, 0x7fffff, v13
	v_cmp_eq_u32_e32 vcc, 0, v23
	v_cndmask_b32_e64 v2, 0, v2, s[40:41]
	v_mov_b32_e32 v9, 0x78
	v_or_b32_e32 v8, 0x800000, v0
	v_cndmask_b32_e32 v53, v2, v9, vcc
	v_cndmask_b32_e32 v2, v8, v0, vcc
	v_add_u32_e32 v0, 20, v53
	v_lshlrev_b64 v[8:9], v0, -1
	v_add_u32_e32 v0, 19, v53
	v_lshlrev_b64 v[12:13], v0, 1
	v_bfi_b32 v9, v9, 0, 0
	v_bfi_b32 v8, v8, 0, v2
	v_cmp_eq_u64_e64 s[40:41], v[8:9], v[12:13]
	v_lshrrev_b64 v[8:9], v53, v[2:3]
	v_mov_b32_e32 v13, v9
	v_mov_b32_e32 v12, v8
	s_and_saveexec_b64 s[54:55], s[40:41]
; %bb.8443:                             ;   in Loop: Header=BB4_7875 Depth=3
	v_bfe_u32 v0, v8, 20, 1
	v_add_co_u32_e64 v0, s[40:41], v8, v0
	v_add_co_u32_e64 v12, s[40:41], -1, v0
; %bb.8444:                             ;   in Loop: Header=BB4_7875 Depth=3
	s_or_b64 exec, exec, s[54:55]
	v_add_u32_e32 v0, 0xffffff81, v23
	v_mov_b32_e32 v2, 0xffffff82
	v_cndmask_b32_e32 v0, v0, v2, vcc
	v_lshrrev_b32_e32 v2, 23, v8
	v_add3_u32 v13, v53, v0, v2
	v_add_u32_e32 v0, 6, v13
	v_and_b32_e32 v2, 0xfffff, v12
	v_add_u32_e32 v2, v2, v8
	v_cmp_ne_u32_e32 vcc, 0, v0
                                        ; implicit-def: $vgpr8_vgpr9
                                        ; implicit-def: $vgpr12
	s_and_saveexec_b64 s[40:41], vcc
	s_xor_b64 s[40:41], exec, s[40:41]
; %bb.8445:                             ;   in Loop: Header=BB4_7875 Depth=3
	v_cmp_lt_u64_e32 vcc, s[88:89], v[2:3]
	v_add_u32_e32 v8, 7, v13
	v_cndmask_b32_e32 v12, v0, v8, vcc
	v_cndmask_b32_e64 v0, 0, 1, vcc
	v_lshrrev_b64 v[8:9], v0, v[2:3]
; %bb.8446:                             ;   in Loop: Header=BB4_7875 Depth=3
	s_andn2_saveexec_b64 s[40:41], s[40:41]
; %bb.8447:                             ;   in Loop: Header=BB4_7875 Depth=3
	v_mov_b32_e32 v9, v3
	v_bfe_u32 v12, v2, 23, 1
	v_mov_b32_e32 v8, v2
; %bb.8448:                             ;   in Loop: Header=BB4_7875 Depth=3
	s_or_b64 exec, exec, s[40:41]
	v_lshrrev_b64 v[8:9], 20, v[8:9]
	v_cmp_gt_i32_e32 vcc, 16, v12
	v_cndmask_b32_e32 v9, 0, v9, vcc
	v_cndmask_b32_e32 v8, 7, v8, vcc
	v_min_i32_e32 v0, 15, v12
	v_cmp_eq_u64_e64 s[40:41], 0, v[8:9]
	v_lshlrev_b32_e32 v0, 3, v0
	v_cmp_eq_u32_e32 vcc, 0, v12
	v_and_b32_e32 v0, 0xf8, v0
	v_and_or_b32 v0, v8, 7, v0
	s_and_b64 s[40:41], vcc, s[40:41]
	v_cndmask_b32_e64 v0, v0, 0, s[40:41]
	v_or_b32_e32 v23, v0, v51
.LBB4_8449:                             ;   in Loop: Header=BB4_7875 Depth=3
	s_or_b64 exec, exec, s[46:47]
                                        ; implicit-def: $vgpr51
.LBB4_8450:                             ;   in Loop: Header=BB4_7875 Depth=3
	s_andn2_saveexec_b64 s[40:41], s[44:45]
; %bb.8451:                             ;   in Loop: Header=BB4_7875 Depth=3
	v_or_b32_e32 v23, 0x7e, v51
; %bb.8452:                             ;   in Loop: Header=BB4_7875 Depth=3
	s_or_b64 exec, exec, s[40:41]
                                        ; implicit-def: $vgpr13
.LBB4_8453:                             ;   in Loop: Header=BB4_7875 Depth=3
	s_andn2_saveexec_b64 s[40:41], s[42:43]
; %bb.8454:                             ;   in Loop: Header=BB4_7875 Depth=3
	v_or_b32_sdwa v23, v13, s81 dst_sel:DWORD dst_unused:UNUSED_PAD src0_sel:BYTE_3 src1_sel:DWORD
; %bb.8455:                             ;   in Loop: Header=BB4_7875 Depth=3
	s_or_b64 exec, exec, s[40:41]
	v_bfe_u32 v0, v15, 16, 3
	v_bfe_u32 v8, v15, 16, 7
	v_cmp_eq_u32_e64 s[40:41], s81, v8
	v_cmp_gt_u32_e32 vcc, 8, v8
	v_ffbh_u32_e32 v8, v0
	v_min_u32_e32 v13, 32, v8
	v_lshrrev_b32_e32 v2, 16, v15
	v_subrev_u32_e32 v8, 28, v13
	v_lshlrev_b64 v[8:9], v8, v[2:3]
	v_bfe_u32 v12, v2, 3, 4
	v_sub_u32_e32 v9, 29, v13
	v_and_b32_e32 v8, 7, v8
	v_cndmask_b32_e32 v9, v12, v9, vcc
	v_cndmask_b32_e32 v0, v0, v8, vcc
	v_lshlrev_b32_e32 v8, 8, v15
	v_lshlrev_b32_e32 v0, 20, v0
	v_and_b32_e32 v8, 0x80000000, v8
	v_lshl_add_u32 v9, v9, 23, v54
	v_or3_b32 v9, v8, v9, v0
	v_lshrrev_b32_e32 v8, 16, v11
	v_cmp_ne_u16_sdwa s[42:43], v8, v3 src0_sel:BYTE_0 src1_sel:DWORD
	s_mov_b64 s[44:45], -1
	s_and_b64 vcc, exec, s[52:53]
                                        ; implicit-def: $vgpr13
	s_cbranch_vccz .LBB4_8469
; %bb.8456:                             ;   in Loop: Header=BB4_7875 Depth=3
	v_mov_b32_e32 v12, 0
	s_and_saveexec_b64 s[44:45], s[42:43]
	s_cbranch_execz .LBB4_8462
; %bb.8457:                             ;   in Loop: Header=BB4_7875 Depth=3
	v_cmp_ne_u16_sdwa vcc, v8, s80 src0_sel:BYTE_0 src1_sel:DWORD
	v_bfrev_b32_e32 v12, 1
	s_and_saveexec_b64 s[46:47], vcc
	s_cbranch_execz .LBB4_8461
; %bb.8458:                             ;   in Loop: Header=BB4_7875 Depth=3
	v_bfe_u32 v0, v11, 16, 7
	v_cmp_ne_u32_e32 vcc, s81, v0
	v_mov_b32_e32 v12, 0x7f800001
	s_and_saveexec_b64 s[54:55], vcc
	s_cbranch_execz .LBB4_8460
; %bb.8459:                             ;   in Loop: Header=BB4_7875 Depth=3
	v_and_b32_e32 v51, 7, v8
	v_lshrrev_b32_e32 v53, 3, v0
	v_cmp_gt_u32_e32 vcc, 8, v0
	v_ffbh_u32_e32 v0, v51
	v_min_u32_e32 v0, 32, v0
	v_subrev_u32_e32 v12, 28, v0
	v_lshlrev_b64 v[12:13], v12, v[8:9]
	v_sub_u32_e32 v0, 29, v0
	v_and_b32_e32 v12, 7, v12
	v_cndmask_b32_e32 v0, v53, v0, vcc
	v_cndmask_b32_e32 v12, v51, v12, vcc
	v_lshlrev_b32_e32 v13, 24, v8
	v_lshlrev_b32_e32 v12, 20, v12
	v_and_b32_e32 v13, 0x80000000, v13
	v_lshl_add_u32 v0, v0, 23, v54
	v_or3_b32 v12, v13, v0, v12
.LBB4_8460:                             ;   in Loop: Header=BB4_7875 Depth=3
	s_or_b64 exec, exec, s[54:55]
.LBB4_8461:                             ;   in Loop: Header=BB4_7875 Depth=3
	s_or_b64 exec, exec, s[46:47]
.LBB4_8462:                             ;   in Loop: Header=BB4_7875 Depth=3
	s_or_b64 exec, exec, s[44:45]
	v_cmp_gt_i16_sdwa s[46:47], v2, s81 src0_sel:BYTE_0 src1_sel:DWORD
	s_mov_b64 s[44:45], 0
	s_and_saveexec_b64 vcc, s[46:47]
	s_xor_b64 s[46:47], exec, vcc
	s_cbranch_execz .LBB4_8575
; %bb.8463:                             ;   in Loop: Header=BB4_7875 Depth=3
	v_cmp_eq_u16_sdwa s[54:55], v2, s80 src0_sel:BYTE_0 src1_sel:DWORD
	s_mov_b64 s[44:45], -1
	s_and_saveexec_b64 vcc, s[54:55]
; %bb.8464:                             ;   in Loop: Header=BB4_7875 Depth=3
	s_xor_b64 s[44:45], exec, -1
; %bb.8465:                             ;   in Loop: Header=BB4_7875 Depth=3
	s_or_b64 exec, exec, vcc
	s_and_b64 s[44:45], s[44:45], exec
	s_or_saveexec_b64 s[46:47], s[46:47]
	v_bfrev_b32_e32 v0, 1
	s_xor_b64 exec, exec, s[46:47]
	s_cbranch_execnz .LBB4_8576
.LBB4_8466:                             ;   in Loop: Header=BB4_7875 Depth=3
	s_or_b64 exec, exec, s[46:47]
	s_and_saveexec_b64 s[46:47], s[44:45]
.LBB4_8467:                             ;   in Loop: Header=BB4_7875 Depth=3
	v_mov_b32_e32 v0, 0x7f800001
	v_cndmask_b32_e64 v0, v9, v0, s[40:41]
.LBB4_8468:                             ;   in Loop: Header=BB4_7875 Depth=3
	s_or_b64 exec, exec, s[46:47]
	v_max_f32_e32 v0, v0, v0
	v_max_f32_e32 v12, v12, v12
	;; [unrolled: 1-line block ×3, first 2 shown]
	s_mov_b64 s[44:45], 0
.LBB4_8469:                             ;   in Loop: Header=BB4_7875 Depth=3
	s_and_b64 vcc, exec, s[44:45]
	s_cbranch_vccz .LBB4_8483
; %bb.8470:                             ;   in Loop: Header=BB4_7875 Depth=3
	v_mov_b32_e32 v12, 0
	s_and_saveexec_b64 s[44:45], s[42:43]
	s_cbranch_execz .LBB4_8476
; %bb.8471:                             ;   in Loop: Header=BB4_7875 Depth=3
	v_cmp_ne_u16_sdwa s[46:47], v8, s80 src0_sel:BYTE_0 src1_sel:DWORD
	v_bfrev_b32_e32 v12, 1
	s_and_saveexec_b64 s[42:43], s[46:47]
	s_cbranch_execz .LBB4_8475
; %bb.8472:                             ;   in Loop: Header=BB4_7875 Depth=3
	v_bfe_u32 v0, v11, 16, 7
	v_cmp_ne_u32_e32 vcc, s81, v0
	v_mov_b32_e32 v12, 0x7f800001
	s_and_saveexec_b64 s[46:47], vcc
	s_cbranch_execz .LBB4_8474
; %bb.8473:                             ;   in Loop: Header=BB4_7875 Depth=3
	v_and_b32_e32 v51, 7, v8
	v_lshrrev_b32_e32 v53, 3, v0
	v_cmp_gt_u32_e32 vcc, 8, v0
	v_ffbh_u32_e32 v0, v51
	v_min_u32_e32 v0, 32, v0
	v_subrev_u32_e32 v12, 28, v0
	v_lshlrev_b64 v[12:13], v12, v[8:9]
	v_sub_u32_e32 v0, 29, v0
	v_and_b32_e32 v12, 7, v12
	v_cndmask_b32_e32 v0, v53, v0, vcc
	v_cndmask_b32_e32 v12, v51, v12, vcc
	v_lshlrev_b32_e32 v8, 24, v8
	v_lshlrev_b32_e32 v12, 20, v12
	v_and_b32_e32 v8, 0x80000000, v8
	v_lshl_add_u32 v0, v0, 23, v54
	v_or3_b32 v12, v8, v0, v12
.LBB4_8474:                             ;   in Loop: Header=BB4_7875 Depth=3
	s_or_b64 exec, exec, s[46:47]
.LBB4_8475:                             ;   in Loop: Header=BB4_7875 Depth=3
	s_or_b64 exec, exec, s[42:43]
.LBB4_8476:                             ;   in Loop: Header=BB4_7875 Depth=3
	s_or_b64 exec, exec, s[44:45]
	v_cmp_gt_i16_sdwa s[44:45], v2, s81 src0_sel:BYTE_0 src1_sel:DWORD
	s_mov_b64 s[42:43], 0
	s_and_saveexec_b64 s[46:47], s[44:45]
	s_xor_b64 s[44:45], exec, s[46:47]
	s_cbranch_execz .LBB4_8577
; %bb.8477:                             ;   in Loop: Header=BB4_7875 Depth=3
	v_cmp_eq_u16_sdwa vcc, v2, s80 src0_sel:BYTE_0 src1_sel:DWORD
	s_mov_b64 s[42:43], -1
	s_and_saveexec_b64 s[46:47], vcc
; %bb.8478:                             ;   in Loop: Header=BB4_7875 Depth=3
	s_xor_b64 s[42:43], exec, -1
; %bb.8479:                             ;   in Loop: Header=BB4_7875 Depth=3
	s_or_b64 exec, exec, s[46:47]
	s_and_b64 s[42:43], s[42:43], exec
                                        ; implicit-def: $vgpr2
	s_or_saveexec_b64 s[44:45], s[44:45]
	v_bfrev_b32_e32 v0, 1
	s_xor_b64 exec, exec, s[44:45]
	s_cbranch_execnz .LBB4_8578
.LBB4_8480:                             ;   in Loop: Header=BB4_7875 Depth=3
	s_or_b64 exec, exec, s[44:45]
	s_and_saveexec_b64 s[44:45], s[42:43]
.LBB4_8481:                             ;   in Loop: Header=BB4_7875 Depth=3
	v_mov_b32_e32 v0, 0x7f800001
	v_cndmask_b32_e64 v0, v9, v0, s[40:41]
.LBB4_8482:                             ;   in Loop: Header=BB4_7875 Depth=3
	s_or_b64 exec, exec, s[44:45]
	v_max_f32_e32 v0, v0, v0
	v_max_f32_e32 v2, v12, v12
	v_min_f32_e32 v13, v2, v0
.LBB4_8483:                             ;   in Loop: Header=BB4_7875 Depth=3
	v_and_b32_e32 v2, 0x7f800000, v13
	v_cmp_ne_u64_e32 vcc, s[76:77], v[2:3]
                                        ; implicit-def: $vgpr12
	s_and_saveexec_b64 s[40:41], vcc
	s_xor_b64 s[42:43], exec, s[40:41]
	s_cbranch_execz .LBB4_8497
; %bb.8484:                             ;   in Loop: Header=BB4_7875 Depth=3
	v_and_b32_e32 v2, 0x7fffffff, v13
	v_cmp_gt_u64_e32 vcc, s[78:79], v[2:3]
	v_and_b32_sdwa v51, v13, s80 dst_sel:DWORD dst_unused:UNUSED_PAD src0_sel:BYTE_3 src1_sel:DWORD
                                        ; implicit-def: $vgpr12
	s_and_saveexec_b64 s[40:41], vcc
	s_xor_b64 s[44:45], exec, s[40:41]
	s_cbranch_execz .LBB4_8494
; %bb.8485:                             ;   in Loop: Header=BB4_7875 Depth=3
	v_mov_b32_e32 v12, 0
	v_cmp_ne_u32_e32 vcc, 0, v13
	s_and_saveexec_b64 s[46:47], vcc
	s_cbranch_execz .LBB4_8493
; %bb.8486:                             ;   in Loop: Header=BB4_7875 Depth=3
	v_bfe_u32 v53, v13, 23, 8
	v_cmp_gt_u32_e64 s[40:41], s83, v53
	v_sub_u32_e32 v2, 0x79, v53
	v_and_b32_e32 v0, 0x7fffff, v13
	v_cmp_eq_u32_e32 vcc, 0, v53
	v_cndmask_b32_e64 v2, 0, v2, s[40:41]
	v_mov_b32_e32 v9, 0x78
	v_or_b32_e32 v8, 0x800000, v0
	v_cndmask_b32_e32 v55, v2, v9, vcc
	v_cndmask_b32_e32 v2, v8, v0, vcc
	v_add_u32_e32 v0, 20, v55
	v_lshlrev_b64 v[8:9], v0, -1
	v_add_u32_e32 v0, 19, v55
	v_lshlrev_b64 v[12:13], v0, 1
	v_bfi_b32 v9, v9, 0, 0
	v_bfi_b32 v8, v8, 0, v2
	v_cmp_eq_u64_e64 s[40:41], v[8:9], v[12:13]
	v_lshrrev_b64 v[8:9], v55, v[2:3]
	v_mov_b32_e32 v13, v9
	v_mov_b32_e32 v12, v8
	s_and_saveexec_b64 s[54:55], s[40:41]
; %bb.8487:                             ;   in Loop: Header=BB4_7875 Depth=3
	v_bfe_u32 v0, v8, 20, 1
	v_add_co_u32_e64 v0, s[40:41], v8, v0
	v_add_co_u32_e64 v12, s[40:41], -1, v0
; %bb.8488:                             ;   in Loop: Header=BB4_7875 Depth=3
	s_or_b64 exec, exec, s[54:55]
	v_add_u32_e32 v0, 0xffffff81, v53
	v_mov_b32_e32 v2, 0xffffff82
	v_cndmask_b32_e32 v0, v0, v2, vcc
	v_lshrrev_b32_e32 v2, 23, v8
	v_add3_u32 v13, v55, v0, v2
	v_add_u32_e32 v0, 6, v13
	v_and_b32_e32 v2, 0xfffff, v12
	v_add_u32_e32 v2, v2, v8
	v_cmp_ne_u32_e32 vcc, 0, v0
                                        ; implicit-def: $vgpr8_vgpr9
                                        ; implicit-def: $vgpr12
	s_and_saveexec_b64 s[40:41], vcc
	s_xor_b64 s[40:41], exec, s[40:41]
; %bb.8489:                             ;   in Loop: Header=BB4_7875 Depth=3
	v_cmp_lt_u64_e32 vcc, s[88:89], v[2:3]
	v_add_u32_e32 v8, 7, v13
	v_cndmask_b32_e32 v12, v0, v8, vcc
	v_cndmask_b32_e64 v0, 0, 1, vcc
	v_lshrrev_b64 v[8:9], v0, v[2:3]
; %bb.8490:                             ;   in Loop: Header=BB4_7875 Depth=3
	s_andn2_saveexec_b64 s[40:41], s[40:41]
; %bb.8491:                             ;   in Loop: Header=BB4_7875 Depth=3
	v_mov_b32_e32 v9, v3
	v_bfe_u32 v12, v2, 23, 1
	v_mov_b32_e32 v8, v2
; %bb.8492:                             ;   in Loop: Header=BB4_7875 Depth=3
	s_or_b64 exec, exec, s[40:41]
	v_lshrrev_b64 v[8:9], 20, v[8:9]
	v_cmp_gt_i32_e32 vcc, 16, v12
	v_cndmask_b32_e32 v9, 0, v9, vcc
	v_cndmask_b32_e32 v8, 7, v8, vcc
	v_min_i32_e32 v0, 15, v12
	v_cmp_eq_u64_e64 s[40:41], 0, v[8:9]
	v_lshlrev_b32_e32 v0, 3, v0
	v_cmp_eq_u32_e32 vcc, 0, v12
	v_and_b32_e32 v0, 0xf8, v0
	v_and_or_b32 v0, v8, 7, v0
	s_and_b64 s[40:41], vcc, s[40:41]
	v_cndmask_b32_e64 v0, v0, 0, s[40:41]
	v_or_b32_e32 v12, v0, v51
.LBB4_8493:                             ;   in Loop: Header=BB4_7875 Depth=3
	s_or_b64 exec, exec, s[46:47]
                                        ; implicit-def: $vgpr51
.LBB4_8494:                             ;   in Loop: Header=BB4_7875 Depth=3
	s_andn2_saveexec_b64 s[40:41], s[44:45]
; %bb.8495:                             ;   in Loop: Header=BB4_7875 Depth=3
	v_or_b32_e32 v12, 0x7e, v51
; %bb.8496:                             ;   in Loop: Header=BB4_7875 Depth=3
	s_or_b64 exec, exec, s[40:41]
                                        ; implicit-def: $vgpr13
.LBB4_8497:                             ;   in Loop: Header=BB4_7875 Depth=3
	s_andn2_saveexec_b64 s[40:41], s[42:43]
; %bb.8498:                             ;   in Loop: Header=BB4_7875 Depth=3
	v_or_b32_sdwa v12, v13, s81 dst_sel:DWORD dst_unused:UNUSED_PAD src0_sel:BYTE_3 src1_sel:DWORD
; %bb.8499:                             ;   in Loop: Header=BB4_7875 Depth=3
	s_or_b64 exec, exec, s[40:41]
	v_bfe_u32 v13, v15, 24, 3
	v_bfe_u32 v8, v15, 24, 7
	v_cmp_eq_u32_e64 s[44:45], s81, v8
	v_cmp_gt_u32_e32 vcc, 8, v8
	v_ffbh_u32_e32 v8, v13
	v_min_u32_e32 v51, 32, v8
	v_lshrrev_b32_e32 v0, 24, v15
	v_subrev_u32_e32 v8, 28, v51
	v_lshlrev_b64 v[8:9], v8, v[0:1]
	v_cmp_gt_u64_e64 s[40:41], s[60:61], v[14:15]
	v_bfe_u32 v14, v0, 3, 4
	v_cmp_eq_u32_e64 s[42:43], s80, v0
	v_sub_u32_e32 v0, 29, v51
	v_and_b32_e32 v8, 7, v8
	v_cndmask_b32_e32 v0, v14, v0, vcc
	v_cndmask_b32_e32 v8, v13, v8, vcc
	v_lshlrev_b32_e32 v8, 20, v8
	v_and_b32_e32 v9, 0x80000000, v15
	v_lshl_add_u32 v0, v0, 23, v54
	v_cmp_lt_u64_e64 s[46:47], s[62:63], v[10:11]
	v_lshrrev_b32_e32 v2, 24, v11
	v_or3_b32 v8, v9, v0, v8
	s_mov_b64 s[54:55], -1
	s_and_b64 vcc, exec, s[52:53]
                                        ; implicit-def: $vgpr9
	s_cbranch_vccz .LBB4_8507
; %bb.8500:                             ;   in Loop: Header=BB4_7875 Depth=3
	v_mov_b32_e32 v0, 0
	s_and_saveexec_b64 s[54:55], s[46:47]
	s_cbranch_execz .LBB4_8506
; %bb.8501:                             ;   in Loop: Header=BB4_7875 Depth=3
	v_cmp_ne_u32_e32 vcc, s80, v2
	v_bfrev_b32_e32 v0, 1
	s_and_saveexec_b64 s[64:65], vcc
	s_cbranch_execz .LBB4_8505
; %bb.8502:                             ;   in Loop: Header=BB4_7875 Depth=3
	v_bfe_u32 v9, v11, 24, 7
	v_cmp_ne_u32_e32 vcc, s81, v9
	v_mov_b32_e32 v0, 0x7f800001
	s_and_saveexec_b64 s[66:67], vcc
	s_cbranch_execz .LBB4_8504
; %bb.8503:                             ;   in Loop: Header=BB4_7875 Depth=3
	v_and_b32_e32 v0, 7, v2
	v_lshrrev_b32_e32 v13, 3, v9
	v_cmp_gt_u32_e32 vcc, 8, v9
	v_ffbh_u32_e32 v9, v0
	v_min_u32_e32 v14, 32, v9
	v_subrev_u32_e32 v9, 28, v14
	v_lshlrev_b64 v[9:10], v9, v[2:3]
	v_sub_u32_e32 v10, 29, v14
	v_and_b32_e32 v9, 7, v9
	v_cndmask_b32_e32 v10, v13, v10, vcc
	v_cndmask_b32_e32 v0, v0, v9, vcc
	v_lshlrev_b32_e32 v9, 24, v2
	v_lshlrev_b32_e32 v0, 20, v0
	v_and_b32_e32 v9, 0x80000000, v9
	v_lshl_add_u32 v10, v10, 23, v54
	v_or3_b32 v0, v9, v10, v0
.LBB4_8504:                             ;   in Loop: Header=BB4_7875 Depth=3
	s_or_b64 exec, exec, s[66:67]
.LBB4_8505:                             ;   in Loop: Header=BB4_7875 Depth=3
	s_or_b64 exec, exec, s[64:65]
.LBB4_8506:                             ;   in Loop: Header=BB4_7875 Depth=3
	s_or_b64 exec, exec, s[54:55]
	v_mov_b32_e32 v9, 0x7f800001
	v_cndmask_b32_e64 v9, v8, v9, s[44:45]
	v_bfrev_b32_e32 v10, 1
	v_cndmask_b32_e64 v9, v9, v10, s[42:43]
	v_cndmask_b32_e64 v9, v9, 0, s[40:41]
	v_max_f32_e32 v9, v9, v9
	v_max_f32_e32 v0, v0, v0
	;; [unrolled: 1-line block ×3, first 2 shown]
	s_mov_b64 s[54:55], 0
.LBB4_8507:                             ;   in Loop: Header=BB4_7875 Depth=3
	s_and_b64 vcc, exec, s[54:55]
	s_cbranch_vccz .LBB4_8515
; %bb.8508:                             ;   in Loop: Header=BB4_7875 Depth=3
	v_mov_b32_e32 v0, 0
	s_and_saveexec_b64 s[54:55], s[46:47]
	s_cbranch_execz .LBB4_8514
; %bb.8509:                             ;   in Loop: Header=BB4_7875 Depth=3
	v_cmp_ne_u32_e32 vcc, s80, v2
	v_bfrev_b32_e32 v0, 1
	s_and_saveexec_b64 s[46:47], vcc
	s_cbranch_execz .LBB4_8513
; %bb.8510:                             ;   in Loop: Header=BB4_7875 Depth=3
	v_bfe_u32 v9, v11, 24, 7
	v_cmp_ne_u32_e32 vcc, s81, v9
	v_mov_b32_e32 v0, 0x7f800001
	s_and_saveexec_b64 s[64:65], vcc
	s_cbranch_execz .LBB4_8512
; %bb.8511:                             ;   in Loop: Header=BB4_7875 Depth=3
	v_and_b32_e32 v0, 7, v2
	v_lshrrev_b32_e32 v11, 3, v9
	v_cmp_gt_u32_e32 vcc, 8, v9
	v_ffbh_u32_e32 v9, v0
	v_min_u32_e32 v13, 32, v9
	v_subrev_u32_e32 v9, 28, v13
	v_lshlrev_b64 v[9:10], v9, v[2:3]
	v_sub_u32_e32 v10, 29, v13
	v_and_b32_e32 v9, 7, v9
	v_cndmask_b32_e32 v10, v11, v10, vcc
	v_cndmask_b32_e32 v0, v0, v9, vcc
	v_lshlrev_b32_e32 v2, 24, v2
	v_lshlrev_b32_e32 v0, 20, v0
	v_and_b32_e32 v2, 0x80000000, v2
	v_lshl_add_u32 v9, v10, 23, v54
	v_or3_b32 v0, v2, v9, v0
.LBB4_8512:                             ;   in Loop: Header=BB4_7875 Depth=3
	s_or_b64 exec, exec, s[64:65]
.LBB4_8513:                             ;   in Loop: Header=BB4_7875 Depth=3
	s_or_b64 exec, exec, s[46:47]
.LBB4_8514:                             ;   in Loop: Header=BB4_7875 Depth=3
	s_or_b64 exec, exec, s[54:55]
	v_mov_b32_e32 v2, 0x7f800001
	v_cndmask_b32_e64 v2, v8, v2, s[44:45]
	v_bfrev_b32_e32 v8, 1
	v_cndmask_b32_e64 v2, v2, v8, s[42:43]
	v_cndmask_b32_e64 v2, v2, 0, s[40:41]
	v_max_f32_e32 v2, v2, v2
	v_max_f32_e32 v0, v0, v0
	v_min_f32_e32 v9, v0, v2
.LBB4_8515:                             ;   in Loop: Header=BB4_7875 Depth=3
	v_and_b32_e32 v2, 0x7f800000, v9
	v_cmp_ne_u64_e32 vcc, s[76:77], v[2:3]
                                        ; implicit-def: $vgpr2
	s_and_saveexec_b64 s[40:41], vcc
	s_xor_b64 s[42:43], exec, s[40:41]
	s_cbranch_execz .LBB4_8529
; %bb.8516:                             ;   in Loop: Header=BB4_7875 Depth=3
	v_and_b32_e32 v2, 0x7fffffff, v9
	v_cmp_gt_u64_e32 vcc, s[78:79], v[2:3]
	v_and_b32_sdwa v11, v9, s80 dst_sel:DWORD dst_unused:UNUSED_PAD src0_sel:BYTE_3 src1_sel:DWORD
                                        ; implicit-def: $vgpr2
	s_and_saveexec_b64 s[40:41], vcc
	s_xor_b64 s[44:45], exec, s[40:41]
	s_cbranch_execz .LBB4_8526
; %bb.8517:                             ;   in Loop: Header=BB4_7875 Depth=3
	v_mov_b32_e32 v2, 0
	v_cmp_ne_u32_e32 vcc, 0, v9
	s_and_saveexec_b64 s[46:47], vcc
	s_cbranch_execz .LBB4_8525
; %bb.8518:                             ;   in Loop: Header=BB4_7875 Depth=3
	v_bfe_u32 v13, v9, 23, 8
	v_cmp_gt_u32_e64 s[40:41], s83, v13
	v_sub_u32_e32 v2, 0x79, v13
	v_and_b32_e32 v0, 0x7fffff, v9
	v_cmp_eq_u32_e32 vcc, 0, v13
	v_cndmask_b32_e64 v2, 0, v2, s[40:41]
	v_mov_b32_e32 v9, 0x78
	v_or_b32_e32 v8, 0x800000, v0
	v_cndmask_b32_e32 v14, v2, v9, vcc
	v_cndmask_b32_e32 v2, v8, v0, vcc
	v_add_u32_e32 v0, 20, v14
	v_lshlrev_b64 v[8:9], v0, -1
	v_add_u32_e32 v0, 19, v14
	v_lshlrev_b64 v[42:43], v0, 1
	v_bfi_b32 v9, v9, 0, 0
	v_bfi_b32 v8, v8, 0, v2
	v_cmp_eq_u64_e64 s[40:41], v[8:9], v[42:43]
	v_lshrrev_b64 v[8:9], v14, v[2:3]
	v_mov_b32_e32 v10, v9
	v_mov_b32_e32 v9, v8
	s_and_saveexec_b64 s[54:55], s[40:41]
; %bb.8519:                             ;   in Loop: Header=BB4_7875 Depth=3
	v_bfe_u32 v0, v8, 20, 1
	v_add_co_u32_e64 v0, s[40:41], v8, v0
	v_add_co_u32_e64 v9, s[40:41], -1, v0
; %bb.8520:                             ;   in Loop: Header=BB4_7875 Depth=3
	s_or_b64 exec, exec, s[54:55]
	v_add_u32_e32 v0, 0xffffff81, v13
	v_mov_b32_e32 v2, 0xffffff82
	v_cndmask_b32_e32 v0, v0, v2, vcc
	v_lshrrev_b32_e32 v2, 23, v8
	v_add3_u32 v13, v14, v0, v2
	v_add_u32_e32 v0, 6, v13
	v_and_b32_e32 v2, 0xfffff, v9
	v_add_u32_e32 v2, v2, v8
	v_cmp_ne_u32_e32 vcc, 0, v0
                                        ; implicit-def: $vgpr8_vgpr9
                                        ; implicit-def: $vgpr10
	s_and_saveexec_b64 s[40:41], vcc
	s_xor_b64 s[40:41], exec, s[40:41]
; %bb.8521:                             ;   in Loop: Header=BB4_7875 Depth=3
	v_cmp_lt_u64_e32 vcc, s[88:89], v[2:3]
	v_add_u32_e32 v8, 7, v13
	v_cndmask_b32_e32 v10, v0, v8, vcc
	v_cndmask_b32_e64 v0, 0, 1, vcc
	v_lshrrev_b64 v[8:9], v0, v[2:3]
; %bb.8522:                             ;   in Loop: Header=BB4_7875 Depth=3
	s_andn2_saveexec_b64 s[40:41], s[40:41]
; %bb.8523:                             ;   in Loop: Header=BB4_7875 Depth=3
	v_mov_b32_e32 v9, v3
	v_bfe_u32 v10, v2, 23, 1
	v_mov_b32_e32 v8, v2
; %bb.8524:                             ;   in Loop: Header=BB4_7875 Depth=3
	s_or_b64 exec, exec, s[40:41]
	v_lshrrev_b64 v[8:9], 20, v[8:9]
	v_cmp_gt_i32_e32 vcc, 16, v10
	v_cndmask_b32_e32 v9, 0, v9, vcc
	v_cndmask_b32_e32 v8, 7, v8, vcc
	v_min_i32_e32 v0, 15, v10
	v_cmp_eq_u64_e64 s[40:41], 0, v[8:9]
	v_lshlrev_b32_e32 v0, 3, v0
	v_cmp_eq_u32_e32 vcc, 0, v10
	v_and_b32_e32 v0, 0xf8, v0
	v_and_or_b32 v0, v8, 7, v0
	s_and_b64 s[40:41], vcc, s[40:41]
	v_cndmask_b32_e64 v0, v0, 0, s[40:41]
	v_or_b32_e32 v2, v0, v11
.LBB4_8525:                             ;   in Loop: Header=BB4_7875 Depth=3
	s_or_b64 exec, exec, s[46:47]
                                        ; implicit-def: $vgpr11
.LBB4_8526:                             ;   in Loop: Header=BB4_7875 Depth=3
	s_andn2_saveexec_b64 s[40:41], s[44:45]
; %bb.8527:                             ;   in Loop: Header=BB4_7875 Depth=3
	v_or_b32_e32 v2, 0x7e, v11
; %bb.8528:                             ;   in Loop: Header=BB4_7875 Depth=3
	s_or_b64 exec, exec, s[40:41]
                                        ; implicit-def: $vgpr9
.LBB4_8529:                             ;   in Loop: Header=BB4_7875 Depth=3
	s_andn2_saveexec_b64 s[40:41], s[42:43]
	s_cbranch_execz .LBB4_7874
; %bb.8530:                             ;   in Loop: Header=BB4_7875 Depth=3
	v_or_b32_sdwa v2, v9, s81 dst_sel:DWORD dst_unused:UNUSED_PAD src0_sel:BYTE_3 src1_sel:DWORD
	s_branch .LBB4_7874
.LBB4_8531:                             ;   in Loop: Header=BB4_7875 Depth=3
	s_or_saveexec_b64 s[46:47], s[46:47]
	v_bfrev_b32_e32 v0, 1
	s_xor_b64 exec, exec, s[46:47]
	s_cbranch_execz .LBB4_7886
.LBB4_8532:                             ;   in Loop: Header=BB4_7875 Depth=3
	v_cmp_ne_u16_sdwa vcc, v12, v3 src0_sel:BYTE_0 src1_sel:DWORD
	s_andn2_b64 s[44:45], s[44:45], exec
	s_and_b64 vcc, vcc, exec
	v_mov_b32_e32 v0, 0
	s_or_b64 s[44:45], s[44:45], vcc
	s_or_b64 exec, exec, s[46:47]
	s_and_saveexec_b64 s[46:47], s[44:45]
	s_cbranch_execnz .LBB4_7887
	s_branch .LBB4_7888
.LBB4_8533:                             ;   in Loop: Header=BB4_7875 Depth=3
	s_or_saveexec_b64 s[44:45], s[44:45]
	v_bfrev_b32_e32 v0, 1
	s_xor_b64 exec, exec, s[44:45]
	s_cbranch_execz .LBB4_7900
.LBB4_8534:                             ;   in Loop: Header=BB4_7875 Depth=3
	v_cmp_ne_u16_sdwa s[46:47], v12, v3 src0_sel:BYTE_0 src1_sel:DWORD
	s_andn2_b64 s[42:43], s[42:43], exec
	s_and_b64 s[46:47], s[46:47], exec
	v_mov_b32_e32 v0, 0
	s_or_b64 s[42:43], s[42:43], s[46:47]
	s_or_b64 exec, exec, s[44:45]
	s_and_saveexec_b64 s[44:45], s[42:43]
	s_cbranch_execnz .LBB4_7901
	s_branch .LBB4_7902
.LBB4_8535:                             ;   in Loop: Header=BB4_7875 Depth=3
	s_or_saveexec_b64 s[46:47], s[46:47]
	v_bfrev_b32_e32 v0, 1
	s_xor_b64 exec, exec, s[46:47]
	s_cbranch_execz .LBB4_7930
.LBB4_8536:                             ;   in Loop: Header=BB4_7875 Depth=3
	v_cmp_ne_u16_e32 vcc, 0, v2
	s_andn2_b64 s[44:45], s[44:45], exec
	s_and_b64 vcc, vcc, exec
	v_mov_b32_e32 v0, 0
	s_or_b64 s[44:45], s[44:45], vcc
	s_or_b64 exec, exec, s[46:47]
	s_and_saveexec_b64 s[46:47], s[44:45]
	s_cbranch_execnz .LBB4_7931
	s_branch .LBB4_7932
.LBB4_8537:                             ;   in Loop: Header=BB4_7875 Depth=3
	s_or_saveexec_b64 s[44:45], s[44:45]
	v_bfrev_b32_e32 v0, 1
	s_xor_b64 exec, exec, s[44:45]
	s_cbranch_execz .LBB4_7944
.LBB4_8538:                             ;   in Loop: Header=BB4_7875 Depth=3
	v_cmp_ne_u16_e32 vcc, 0, v2
	s_andn2_b64 s[42:43], s[42:43], exec
	s_and_b64 s[46:47], vcc, exec
	v_mov_b32_e32 v0, 0
	s_or_b64 s[42:43], s[42:43], s[46:47]
	s_or_b64 exec, exec, s[44:45]
	s_and_saveexec_b64 s[44:45], s[42:43]
	s_cbranch_execnz .LBB4_7945
	s_branch .LBB4_7946
.LBB4_8539:                             ;   in Loop: Header=BB4_7875 Depth=3
	s_or_saveexec_b64 s[46:47], s[46:47]
	v_bfrev_b32_e32 v0, 1
	s_xor_b64 exec, exec, s[46:47]
	s_cbranch_execz .LBB4_7974
.LBB4_8540:                             ;   in Loop: Header=BB4_7875 Depth=3
	v_cmp_ne_u16_sdwa vcc, v2, v3 src0_sel:BYTE_0 src1_sel:DWORD
	s_andn2_b64 s[44:45], s[44:45], exec
	s_and_b64 vcc, vcc, exec
	v_mov_b32_e32 v0, 0
	s_or_b64 s[44:45], s[44:45], vcc
	s_or_b64 exec, exec, s[46:47]
	s_and_saveexec_b64 s[46:47], s[44:45]
	s_cbranch_execnz .LBB4_7975
	s_branch .LBB4_7976
.LBB4_8541:                             ;   in Loop: Header=BB4_7875 Depth=3
	s_or_saveexec_b64 s[44:45], s[44:45]
	v_bfrev_b32_e32 v0, 1
	s_xor_b64 exec, exec, s[44:45]
	s_cbranch_execz .LBB4_7988
.LBB4_8542:                             ;   in Loop: Header=BB4_7875 Depth=3
	v_cmp_ne_u16_sdwa s[46:47], v2, v3 src0_sel:BYTE_0 src1_sel:DWORD
	s_andn2_b64 s[42:43], s[42:43], exec
	s_and_b64 s[46:47], s[46:47], exec
	v_mov_b32_e32 v0, 0
	s_or_b64 s[42:43], s[42:43], s[46:47]
	s_or_b64 exec, exec, s[44:45]
	s_and_saveexec_b64 s[44:45], s[42:43]
	s_cbranch_execnz .LBB4_7989
	s_branch .LBB4_7990
.LBB4_8543:                             ;   in Loop: Header=BB4_7875 Depth=3
	s_or_saveexec_b64 s[46:47], s[46:47]
	v_bfrev_b32_e32 v0, 1
	s_xor_b64 exec, exec, s[46:47]
	s_cbranch_execz .LBB4_8050
.LBB4_8544:                             ;   in Loop: Header=BB4_7875 Depth=3
	v_cmp_ne_u16_sdwa vcc, v13, v3 src0_sel:BYTE_0 src1_sel:DWORD
	s_andn2_b64 s[44:45], s[44:45], exec
	s_and_b64 vcc, vcc, exec
	v_mov_b32_e32 v0, 0
	s_or_b64 s[44:45], s[44:45], vcc
	s_or_b64 exec, exec, s[46:47]
	s_and_saveexec_b64 s[46:47], s[44:45]
	s_cbranch_execnz .LBB4_8051
	s_branch .LBB4_8052
.LBB4_8545:                             ;   in Loop: Header=BB4_7875 Depth=3
	s_or_saveexec_b64 s[44:45], s[44:45]
	v_bfrev_b32_e32 v0, 1
	s_xor_b64 exec, exec, s[44:45]
	s_cbranch_execz .LBB4_8064
.LBB4_8546:                             ;   in Loop: Header=BB4_7875 Depth=3
	v_cmp_ne_u16_sdwa s[46:47], v13, v3 src0_sel:BYTE_0 src1_sel:DWORD
	s_andn2_b64 s[42:43], s[42:43], exec
	s_and_b64 s[46:47], s[46:47], exec
	v_mov_b32_e32 v0, 0
	s_or_b64 s[42:43], s[42:43], s[46:47]
	s_or_b64 exec, exec, s[44:45]
	s_and_saveexec_b64 s[44:45], s[42:43]
	s_cbranch_execnz .LBB4_8065
	s_branch .LBB4_8066
.LBB4_8547:                             ;   in Loop: Header=BB4_7875 Depth=3
	s_or_saveexec_b64 s[46:47], s[46:47]
	v_bfrev_b32_e32 v0, 1
	s_xor_b64 exec, exec, s[46:47]
	s_cbranch_execz .LBB4_8094
.LBB4_8548:                             ;   in Loop: Header=BB4_7875 Depth=3
	v_cmp_ne_u16_e32 vcc, 0, v2
	s_andn2_b64 s[44:45], s[44:45], exec
	s_and_b64 vcc, vcc, exec
	v_mov_b32_e32 v0, 0
	s_or_b64 s[44:45], s[44:45], vcc
	s_or_b64 exec, exec, s[46:47]
	s_and_saveexec_b64 s[46:47], s[44:45]
	s_cbranch_execnz .LBB4_8095
	s_branch .LBB4_8096
.LBB4_8549:                             ;   in Loop: Header=BB4_7875 Depth=3
	s_or_saveexec_b64 s[44:45], s[44:45]
	v_bfrev_b32_e32 v0, 1
	s_xor_b64 exec, exec, s[44:45]
	s_cbranch_execz .LBB4_8108
.LBB4_8550:                             ;   in Loop: Header=BB4_7875 Depth=3
	v_cmp_ne_u16_e32 vcc, 0, v2
	s_andn2_b64 s[42:43], s[42:43], exec
	s_and_b64 s[46:47], vcc, exec
	v_mov_b32_e32 v0, 0
	s_or_b64 s[42:43], s[42:43], s[46:47]
	s_or_b64 exec, exec, s[44:45]
	s_and_saveexec_b64 s[44:45], s[42:43]
	s_cbranch_execnz .LBB4_8109
	s_branch .LBB4_8110
.LBB4_8551:                             ;   in Loop: Header=BB4_7875 Depth=3
	s_or_saveexec_b64 s[46:47], s[46:47]
	v_bfrev_b32_e32 v0, 1
	s_xor_b64 exec, exec, s[46:47]
	s_cbranch_execz .LBB4_8138
.LBB4_8552:                             ;   in Loop: Header=BB4_7875 Depth=3
	v_cmp_ne_u16_sdwa vcc, v2, v3 src0_sel:BYTE_0 src1_sel:DWORD
	s_andn2_b64 s[44:45], s[44:45], exec
	s_and_b64 vcc, vcc, exec
	v_mov_b32_e32 v0, 0
	s_or_b64 s[44:45], s[44:45], vcc
	s_or_b64 exec, exec, s[46:47]
	s_and_saveexec_b64 s[46:47], s[44:45]
	s_cbranch_execnz .LBB4_8139
	s_branch .LBB4_8140
.LBB4_8553:                             ;   in Loop: Header=BB4_7875 Depth=3
	s_or_saveexec_b64 s[44:45], s[44:45]
	v_bfrev_b32_e32 v0, 1
	s_xor_b64 exec, exec, s[44:45]
	s_cbranch_execz .LBB4_8152
.LBB4_8554:                             ;   in Loop: Header=BB4_7875 Depth=3
	v_cmp_ne_u16_sdwa s[46:47], v2, v3 src0_sel:BYTE_0 src1_sel:DWORD
	s_andn2_b64 s[42:43], s[42:43], exec
	s_and_b64 s[46:47], s[46:47], exec
	v_mov_b32_e32 v0, 0
	s_or_b64 s[42:43], s[42:43], s[46:47]
	s_or_b64 exec, exec, s[44:45]
	s_and_saveexec_b64 s[44:45], s[42:43]
	s_cbranch_execnz .LBB4_8153
	s_branch .LBB4_8154
.LBB4_8555:                             ;   in Loop: Header=BB4_7875 Depth=3
	s_or_saveexec_b64 s[46:47], s[46:47]
	v_bfrev_b32_e32 v0, 1
	s_xor_b64 exec, exec, s[46:47]
	s_cbranch_execz .LBB4_8214
.LBB4_8556:                             ;   in Loop: Header=BB4_7875 Depth=3
	v_cmp_ne_u16_sdwa vcc, v14, v3 src0_sel:BYTE_0 src1_sel:DWORD
	s_andn2_b64 s[44:45], s[44:45], exec
	s_and_b64 vcc, vcc, exec
	v_mov_b32_e32 v0, 0
	s_or_b64 s[44:45], s[44:45], vcc
	s_or_b64 exec, exec, s[46:47]
	s_and_saveexec_b64 s[46:47], s[44:45]
	s_cbranch_execnz .LBB4_8215
	s_branch .LBB4_8216
.LBB4_8557:                             ;   in Loop: Header=BB4_7875 Depth=3
	s_or_saveexec_b64 s[44:45], s[44:45]
	v_bfrev_b32_e32 v0, 1
	s_xor_b64 exec, exec, s[44:45]
	s_cbranch_execz .LBB4_8228
.LBB4_8558:                             ;   in Loop: Header=BB4_7875 Depth=3
	v_cmp_ne_u16_sdwa s[46:47], v14, v3 src0_sel:BYTE_0 src1_sel:DWORD
	s_andn2_b64 s[42:43], s[42:43], exec
	s_and_b64 s[46:47], s[46:47], exec
	v_mov_b32_e32 v0, 0
	s_or_b64 s[42:43], s[42:43], s[46:47]
	s_or_b64 exec, exec, s[44:45]
	s_and_saveexec_b64 s[44:45], s[42:43]
	s_cbranch_execnz .LBB4_8229
	s_branch .LBB4_8230
.LBB4_8559:                             ;   in Loop: Header=BB4_7875 Depth=3
	s_or_saveexec_b64 s[46:47], s[46:47]
	v_bfrev_b32_e32 v0, 1
	s_xor_b64 exec, exec, s[46:47]
	s_cbranch_execz .LBB4_8258
.LBB4_8560:                             ;   in Loop: Header=BB4_7875 Depth=3
	v_cmp_ne_u16_e32 vcc, 0, v2
	s_andn2_b64 s[44:45], s[44:45], exec
	s_and_b64 vcc, vcc, exec
	v_mov_b32_e32 v0, 0
	s_or_b64 s[44:45], s[44:45], vcc
	s_or_b64 exec, exec, s[46:47]
	s_and_saveexec_b64 s[46:47], s[44:45]
	s_cbranch_execnz .LBB4_8259
	s_branch .LBB4_8260
.LBB4_8561:                             ;   in Loop: Header=BB4_7875 Depth=3
	s_or_saveexec_b64 s[44:45], s[44:45]
	v_bfrev_b32_e32 v0, 1
	s_xor_b64 exec, exec, s[44:45]
	s_cbranch_execz .LBB4_8272
.LBB4_8562:                             ;   in Loop: Header=BB4_7875 Depth=3
	v_cmp_ne_u16_e32 vcc, 0, v2
	s_andn2_b64 s[42:43], s[42:43], exec
	s_and_b64 s[46:47], vcc, exec
	v_mov_b32_e32 v0, 0
	s_or_b64 s[42:43], s[42:43], s[46:47]
	s_or_b64 exec, exec, s[44:45]
	s_and_saveexec_b64 s[44:45], s[42:43]
	s_cbranch_execnz .LBB4_8273
	s_branch .LBB4_8274
.LBB4_8563:                             ;   in Loop: Header=BB4_7875 Depth=3
	s_or_saveexec_b64 s[46:47], s[46:47]
	v_bfrev_b32_e32 v0, 1
	s_xor_b64 exec, exec, s[46:47]
	s_cbranch_execz .LBB4_8302
.LBB4_8564:                             ;   in Loop: Header=BB4_7875 Depth=3
	v_cmp_ne_u16_sdwa vcc, v2, v3 src0_sel:BYTE_0 src1_sel:DWORD
	s_andn2_b64 s[44:45], s[44:45], exec
	s_and_b64 vcc, vcc, exec
	v_mov_b32_e32 v0, 0
	s_or_b64 s[44:45], s[44:45], vcc
	s_or_b64 exec, exec, s[46:47]
	s_and_saveexec_b64 s[46:47], s[44:45]
	s_cbranch_execnz .LBB4_8303
	s_branch .LBB4_8304
.LBB4_8565:                             ;   in Loop: Header=BB4_7875 Depth=3
	s_or_saveexec_b64 s[44:45], s[44:45]
	v_bfrev_b32_e32 v0, 1
	s_xor_b64 exec, exec, s[44:45]
	s_cbranch_execz .LBB4_8316
.LBB4_8566:                             ;   in Loop: Header=BB4_7875 Depth=3
	v_cmp_ne_u16_sdwa s[46:47], v2, v3 src0_sel:BYTE_0 src1_sel:DWORD
	s_andn2_b64 s[42:43], s[42:43], exec
	s_and_b64 s[46:47], s[46:47], exec
	v_mov_b32_e32 v0, 0
	s_or_b64 s[42:43], s[42:43], s[46:47]
	s_or_b64 exec, exec, s[44:45]
	s_and_saveexec_b64 s[44:45], s[42:43]
	s_cbranch_execnz .LBB4_8317
	s_branch .LBB4_8318
.LBB4_8567:                             ;   in Loop: Header=BB4_7875 Depth=3
	s_or_saveexec_b64 s[46:47], s[46:47]
	v_bfrev_b32_e32 v0, 1
	s_xor_b64 exec, exec, s[46:47]
	s_cbranch_execz .LBB4_8378
.LBB4_8568:                             ;   in Loop: Header=BB4_7875 Depth=3
	v_cmp_ne_u16_sdwa vcc, v15, v3 src0_sel:BYTE_0 src1_sel:DWORD
	s_andn2_b64 s[44:45], s[44:45], exec
	s_and_b64 vcc, vcc, exec
	v_mov_b32_e32 v0, 0
	s_or_b64 s[44:45], s[44:45], vcc
	s_or_b64 exec, exec, s[46:47]
	s_and_saveexec_b64 s[46:47], s[44:45]
	s_cbranch_execnz .LBB4_8379
	s_branch .LBB4_8380
.LBB4_8569:                             ;   in Loop: Header=BB4_7875 Depth=3
	s_or_saveexec_b64 s[44:45], s[44:45]
	v_bfrev_b32_e32 v0, 1
	s_xor_b64 exec, exec, s[44:45]
	s_cbranch_execz .LBB4_8392
.LBB4_8570:                             ;   in Loop: Header=BB4_7875 Depth=3
	v_cmp_ne_u16_sdwa s[46:47], v15, v3 src0_sel:BYTE_0 src1_sel:DWORD
	s_andn2_b64 s[42:43], s[42:43], exec
	s_and_b64 s[46:47], s[46:47], exec
	v_mov_b32_e32 v0, 0
	s_or_b64 s[42:43], s[42:43], s[46:47]
	s_or_b64 exec, exec, s[44:45]
	s_and_saveexec_b64 s[44:45], s[42:43]
	s_cbranch_execnz .LBB4_8393
	s_branch .LBB4_8394
.LBB4_8571:                             ;   in Loop: Header=BB4_7875 Depth=3
	s_or_saveexec_b64 s[46:47], s[46:47]
	v_bfrev_b32_e32 v0, 1
	s_xor_b64 exec, exec, s[46:47]
	s_cbranch_execz .LBB4_8422
.LBB4_8572:                             ;   in Loop: Header=BB4_7875 Depth=3
	v_cmp_ne_u16_e32 vcc, 0, v8
	s_andn2_b64 s[44:45], s[44:45], exec
	s_and_b64 vcc, vcc, exec
	v_mov_b32_e32 v0, 0
	s_or_b64 s[44:45], s[44:45], vcc
	s_or_b64 exec, exec, s[46:47]
	s_and_saveexec_b64 s[46:47], s[44:45]
	s_cbranch_execnz .LBB4_8423
	s_branch .LBB4_8424
.LBB4_8573:                             ;   in Loop: Header=BB4_7875 Depth=3
	s_or_saveexec_b64 s[44:45], s[44:45]
	v_bfrev_b32_e32 v0, 1
	s_xor_b64 exec, exec, s[44:45]
	s_cbranch_execz .LBB4_8436
.LBB4_8574:                             ;   in Loop: Header=BB4_7875 Depth=3
	v_cmp_ne_u16_e32 vcc, 0, v8
	s_andn2_b64 s[42:43], s[42:43], exec
	s_and_b64 s[46:47], vcc, exec
	v_mov_b32_e32 v0, 0
	s_or_b64 s[42:43], s[42:43], s[46:47]
	s_or_b64 exec, exec, s[44:45]
	s_and_saveexec_b64 s[44:45], s[42:43]
	s_cbranch_execnz .LBB4_8437
	s_branch .LBB4_8438
.LBB4_8575:                             ;   in Loop: Header=BB4_7875 Depth=3
	s_or_saveexec_b64 s[46:47], s[46:47]
	v_bfrev_b32_e32 v0, 1
	s_xor_b64 exec, exec, s[46:47]
	s_cbranch_execz .LBB4_8466
.LBB4_8576:                             ;   in Loop: Header=BB4_7875 Depth=3
	v_cmp_ne_u16_sdwa vcc, v2, v3 src0_sel:BYTE_0 src1_sel:DWORD
	s_andn2_b64 s[44:45], s[44:45], exec
	s_and_b64 vcc, vcc, exec
	v_mov_b32_e32 v0, 0
	s_or_b64 s[44:45], s[44:45], vcc
	s_or_b64 exec, exec, s[46:47]
	s_and_saveexec_b64 s[46:47], s[44:45]
	s_cbranch_execnz .LBB4_8467
	s_branch .LBB4_8468
.LBB4_8577:                             ;   in Loop: Header=BB4_7875 Depth=3
	s_or_saveexec_b64 s[44:45], s[44:45]
	v_bfrev_b32_e32 v0, 1
	s_xor_b64 exec, exec, s[44:45]
	s_cbranch_execz .LBB4_8480
.LBB4_8578:                             ;   in Loop: Header=BB4_7875 Depth=3
	v_cmp_ne_u16_sdwa s[46:47], v2, v3 src0_sel:BYTE_0 src1_sel:DWORD
	s_andn2_b64 s[42:43], s[42:43], exec
	s_and_b64 s[46:47], s[46:47], exec
	v_mov_b32_e32 v0, 0
	s_or_b64 s[42:43], s[42:43], s[46:47]
	s_or_b64 exec, exec, s[44:45]
	s_and_saveexec_b64 s[44:45], s[42:43]
	s_cbranch_execnz .LBB4_8481
	s_branch .LBB4_8482
.LBB4_8579:                             ;   in Loop: Header=BB4_3419 Depth=2
	s_or_b64 exec, exec, s[50:51]
.LBB4_8580:                             ;   in Loop: Header=BB4_3419 Depth=2
	s_or_b64 exec, exec, s[48:49]
	buffer_load_dword v0, off, s[0:3], s33 offset:244 ; 4-byte Folded Reload
	v_cmp_lt_i32_e32 vcc, 0, v7
	s_waitcnt vmcnt(0)
	v_and_b32_e32 v0, 15, v0
	v_sub_u32_e32 v2, v5, v0
	v_cndmask_b32_e64 v5, v5, v0, s[28:29]
	v_cndmask_b32_e32 v0, 0, v57, vcc
	v_cndmask_b32_e64 v2, 0, v2, s[28:29]
	v_sub_u32_e32 v0, v0, v7
	v_cmp_ne_u32_e32 vcc, 0, v5
	v_add3_u32 v18, v1, v26, v2
	v_lshl_add_u32 v7, v0, 6, v4
	s_and_b64 s[28:29], vcc, exec
.LBB4_8581:                             ;   in Loop: Header=BB4_3419 Depth=2
	s_or_b64 exec, exec, s[38:39]
	buffer_load_dword v21, off, s[0:3], s33 offset:244 ; 4-byte Folded Reload
	buffer_load_dword v41, off, s[0:3], s33 offset:200 ; 4-byte Folded Reload
	s_and_saveexec_b64 s[44:45], s[28:29]
	s_cbranch_execz .LBB4_9406
.LBB4_8582:                             ;   in Loop: Header=BB4_3419 Depth=2
	v_ashrrev_i32_e32 v0, 31, v7
	v_ashrrev_i32_e32 v1, 31, v5
	v_lshrrev_b32_e32 v0, 26, v0
	v_lshrrev_b32_e32 v1, 22, v1
	v_add_u32_e32 v0, v7, v0
	v_add_u32_e32 v1, v5, v1
	v_ashrrev_i32_e32 v2, 6, v0
	v_ashrrev_i32_e32 v4, 10, v1
	v_sub_u32_e32 v17, v4, v2
	v_cmp_lt_i32_e32 vcc, 0, v17
	s_and_saveexec_b64 s[42:43], vcc
	s_cbranch_execz .LBB4_9354
; %bb.8583:                             ;   in Loop: Header=BB4_3419 Depth=2
	v_and_b32_e32 v0, 0xffffffc0, v0
	v_sub_u32_e32 v0, v7, v0
	v_lshlrev_b32_e32 v1, 10, v2
	v_add3_u32 v0, v18, v0, v1
	s_waitcnt vmcnt(0)
	buffer_store_dword v21, off, s[0:3], s33 offset:244 ; 4-byte Folded Spill
	buffer_store_dword v2, off, s[0:3], s33 offset:172 ; 4-byte Folded Spill
	s_trap 2
	ds_read_b64 v[10:11], v0
	buffer_load_dword v8, off, s[0:3], s33 offset:188 ; 4-byte Folded Reload
	buffer_load_dword v9, off, s[0:3], s33 offset:192 ; 4-byte Folded Reload
	;; [unrolled: 1-line block ×4, first 2 shown]
	v_ashrrev_i32_e32 v1, 31, v0
	s_bitcmp1_b32 s84, 0
	s_cselect_b64 s[46:47], -1, 0
	s_mov_b64 s[38:39], 0
	s_waitcnt vmcnt(0)
	v_add_co_u32_e32 v8, vcc, v0, v8
	v_addc_co_u32_e32 v9, vcc, v1, v9, vcc
	s_waitcnt lgkmcnt(0)
	v_add_co_u32_e32 v10, vcc, v10, v0
	v_addc_co_u32_e32 v11, vcc, v11, v1, vcc
	v_add_co_u32_e32 v2, vcc, 0x3c0, v12
	v_addc_co_u32_e32 v6, vcc, 0, v13, vcc
	;; [unrolled: 2-line block ×3, first 2 shown]
	s_branch .LBB4_8585
.LBB4_8584:                             ;   in Loop: Header=BB4_8585 Depth=3
	s_or_b64 exec, exec, s[28:29]
	v_add_co_u32_e32 v0, vcc, 0xfffffc40, v12
	v_addc_co_u32_e32 v1, vcc, -1, v13, vcc
	flat_store_byte v[0:1], v21 glc slc
	v_add_co_u32_e32 v0, vcc, 0xfffffc80, v12
	v_addc_co_u32_e32 v1, vcc, -1, v13, vcc
	flat_store_byte v[0:1], v24 glc slc
	;; [unrolled: 3-line block ×15, first 2 shown]
	flat_store_byte v[12:13], v2 glc slc
	buffer_load_dword v30, off, s[0:3], s33 offset:64 ; 4-byte Folded Reload
	s_waitcnt vmcnt(0)
	v_sub_u32_e32 v17, v17, v57
	v_add_co_u32_e32 v8, vcc, v8, v30
	v_addc_co_u32_e32 v9, vcc, 0, v9, vcc
	v_add_co_u32_e32 v10, vcc, v10, v30
	v_addc_co_u32_e32 v11, vcc, 0, v11, vcc
	v_cmp_gt_i32_e32 vcc, 1, v17
	s_or_b64 s[38:39], vcc, s[38:39]
	v_add_co_u32_e32 v12, vcc, v12, v30
	v_addc_co_u32_e32 v13, vcc, 0, v13, vcc
	s_andn2_b64 exec, exec, s[38:39]
	s_cbranch_execz .LBB4_9353
.LBB4_8585:                             ;   Parent Loop BB4_47 Depth=1
                                        ;     Parent Loop BB4_3419 Depth=2
                                        ; =>    This Inner Loop Header: Depth=3
	flat_load_ubyte v15, v[8:9] glc slc
	flat_load_ubyte v60, v[8:9] offset:64 glc slc
	flat_load_ubyte v59, v[8:9] offset:128 glc slc
	;; [unrolled: 1-line block ×15, first 2 shown]
	flat_load_ubyte v14, v[10:11] glc slc
	flat_load_ubyte v24, v[10:11] offset:64 glc slc
	flat_load_ubyte v27, v[10:11] offset:128 glc slc
	flat_load_ubyte v29, v[10:11] offset:192 glc slc
	flat_load_ubyte v34, v[10:11] offset:256 glc slc
	flat_load_ubyte v37, v[10:11] offset:320 glc slc
	flat_load_ubyte v53, v[10:11] offset:384 glc slc
	flat_load_ubyte v47, v[10:11] offset:448 glc slc
	flat_load_ubyte v45, v[10:11] offset:512 glc slc
	flat_load_ubyte v50, v[10:11] offset:576 glc slc
	flat_load_ubyte v35, v[10:11] offset:640 glc slc
	flat_load_ubyte v30, v[10:11] offset:704 glc slc
	flat_load_ubyte v6, v[10:11] offset:768 glc slc
	flat_load_ubyte v25, v[10:11] offset:832 glc slc
	flat_load_ubyte v22, v[10:11] offset:896 glc slc
	flat_load_ubyte v19, v[10:11] offset:960 glc slc
	s_mov_b64 s[40:41], -1
	s_and_b64 vcc, exec, s[46:47]
                                        ; implicit-def: $vgpr16
	s_waitcnt vmcnt(0) lgkmcnt(0)
	v_cmp_ne_u16_e64 s[28:29], 0, v15
	s_cbranch_vccz .LBB4_8599
; %bb.8586:                             ;   in Loop: Header=BB4_8585 Depth=3
	v_mov_b32_e32 v16, 0
	v_mov_b32_e32 v21, 0
	s_and_saveexec_b64 s[40:41], s[28:29]
	s_cbranch_execz .LBB4_8592
; %bb.8587:                             ;   in Loop: Header=BB4_8585 Depth=3
	v_cmp_ne_u16_e32 vcc, s80, v15
	v_bfrev_b32_e32 v21, 1
	s_and_saveexec_b64 s[48:49], vcc
	s_cbranch_execz .LBB4_8591
; %bb.8588:                             ;   in Loop: Header=BB4_8585 Depth=3
	v_and_b32_e32 v2, 0xffff, v15
	v_and_b32_e32 v0, 0x7f, v2
	v_cmp_ne_u32_e32 vcc, s81, v0
	v_mov_b32_e32 v21, 0x7f800001
	s_and_saveexec_b64 s[50:51], vcc
	s_cbranch_execz .LBB4_8590
; %bb.8589:                             ;   in Loop: Header=BB4_8585 Depth=3
	v_and_b32_e32 v21, 7, v2
	v_lshrrev_b32_e32 v40, 3, v0
	v_cmp_gt_u32_e32 vcc, 8, v0
	v_ffbh_u32_e32 v0, v21
	v_min_u32_e32 v41, 32, v0
	v_subrev_u32_e32 v0, 28, v41
	v_lshlrev_b64 v[0:1], v0, v[2:3]
	v_sub_u32_e32 v1, 29, v41
	buffer_load_dword v41, off, s[0:3], s33 offset:200 ; 4-byte Folded Reload
	v_and_b32_e32 v0, 7, v0
	v_cndmask_b32_e32 v1, v40, v1, vcc
	v_cndmask_b32_e32 v0, v21, v0, vcc
	v_lshlrev_b32_e32 v2, 24, v15
	v_lshlrev_b32_e32 v0, 20, v0
	v_and_b32_e32 v2, 0x80000000, v2
	v_lshl_add_u32 v1, v1, 23, v54
	v_or3_b32 v21, v2, v1, v0
.LBB4_8590:                             ;   in Loop: Header=BB4_8585 Depth=3
	s_or_b64 exec, exec, s[50:51]
.LBB4_8591:                             ;   in Loop: Header=BB4_8585 Depth=3
	s_or_b64 exec, exec, s[48:49]
.LBB4_8592:                             ;   in Loop: Header=BB4_8585 Depth=3
	s_or_b64 exec, exec, s[40:41]
	v_and_b32_e32 v2, 0xff, v14
	v_cmp_ne_u16_e32 vcc, 0, v2
	s_and_saveexec_b64 s[40:41], vcc
	s_cbranch_execz .LBB4_8598
; %bb.8593:                             ;   in Loop: Header=BB4_8585 Depth=3
	v_cmp_ne_u16_e32 vcc, s80, v2
	v_bfrev_b32_e32 v16, 1
	s_and_saveexec_b64 s[48:49], vcc
	s_cbranch_execz .LBB4_8597
; %bb.8594:                             ;   in Loop: Header=BB4_8585 Depth=3
	v_and_b32_e32 v0, 0x7f, v14
	v_cmp_ne_u32_e32 vcc, s81, v0
	v_mov_b32_e32 v16, 0x7f800001
	s_and_saveexec_b64 s[50:51], vcc
	s_cbranch_execz .LBB4_8596
; %bb.8595:                             ;   in Loop: Header=BB4_8585 Depth=3
	v_and_b32_e32 v16, 7, v2
	v_lshrrev_b32_e32 v40, 3, v0
	v_cmp_gt_u32_e32 vcc, 8, v0
	v_ffbh_u32_e32 v0, v16
	s_waitcnt vmcnt(0)
	v_min_u32_e32 v41, 32, v0
	v_subrev_u32_e32 v0, 28, v41
	v_lshlrev_b64 v[0:1], v0, v[2:3]
	v_sub_u32_e32 v1, 29, v41
	buffer_load_dword v41, off, s[0:3], s33 offset:200 ; 4-byte Folded Reload
	v_and_b32_e32 v0, 7, v0
	v_cndmask_b32_e32 v1, v40, v1, vcc
	v_cndmask_b32_e32 v0, v16, v0, vcc
	v_lshlrev_b32_e32 v2, 24, v14
	v_lshlrev_b32_e32 v0, 20, v0
	v_and_b32_e32 v2, 0x80000000, v2
	v_lshl_add_u32 v1, v1, 23, v54
	v_or3_b32 v16, v2, v1, v0
.LBB4_8596:                             ;   in Loop: Header=BB4_8585 Depth=3
	s_or_b64 exec, exec, s[50:51]
.LBB4_8597:                             ;   in Loop: Header=BB4_8585 Depth=3
	s_or_b64 exec, exec, s[48:49]
.LBB4_8598:                             ;   in Loop: Header=BB4_8585 Depth=3
	s_or_b64 exec, exec, s[40:41]
	v_max_f32_e32 v0, v16, v16
	v_max_f32_e32 v1, v21, v21
	;; [unrolled: 1-line block ×3, first 2 shown]
	s_mov_b64 s[40:41], 0
.LBB4_8599:                             ;   in Loop: Header=BB4_8585 Depth=3
	s_and_b64 vcc, exec, s[40:41]
	s_cbranch_vccz .LBB4_8613
; %bb.8600:                             ;   in Loop: Header=BB4_8585 Depth=3
	v_mov_b32_e32 v16, 0
	v_mov_b32_e32 v21, 0
	s_and_saveexec_b64 s[40:41], s[28:29]
	s_cbranch_execz .LBB4_8606
; %bb.8601:                             ;   in Loop: Header=BB4_8585 Depth=3
	v_cmp_ne_u16_e32 vcc, s80, v15
	v_bfrev_b32_e32 v21, 1
	s_and_saveexec_b64 s[28:29], vcc
	s_cbranch_execz .LBB4_8605
; %bb.8602:                             ;   in Loop: Header=BB4_8585 Depth=3
	v_and_b32_e32 v2, 0xffff, v15
	v_and_b32_e32 v0, 0x7f, v2
	v_cmp_ne_u32_e32 vcc, s81, v0
	v_mov_b32_e32 v21, 0x7f800001
	s_and_saveexec_b64 s[48:49], vcc
	s_cbranch_execz .LBB4_8604
; %bb.8603:                             ;   in Loop: Header=BB4_8585 Depth=3
	v_and_b32_e32 v21, 7, v2
	v_lshrrev_b32_e32 v40, 3, v0
	v_cmp_gt_u32_e32 vcc, 8, v0
	v_ffbh_u32_e32 v0, v21
	s_waitcnt vmcnt(0)
	v_min_u32_e32 v41, 32, v0
	v_subrev_u32_e32 v0, 28, v41
	v_lshlrev_b64 v[0:1], v0, v[2:3]
	v_sub_u32_e32 v1, 29, v41
	buffer_load_dword v41, off, s[0:3], s33 offset:200 ; 4-byte Folded Reload
	v_and_b32_e32 v0, 7, v0
	v_cndmask_b32_e32 v1, v40, v1, vcc
	v_cndmask_b32_e32 v0, v21, v0, vcc
	v_lshlrev_b32_e32 v2, 24, v15
	v_lshlrev_b32_e32 v0, 20, v0
	v_and_b32_e32 v2, 0x80000000, v2
	v_lshl_add_u32 v1, v1, 23, v54
	v_or3_b32 v21, v2, v1, v0
.LBB4_8604:                             ;   in Loop: Header=BB4_8585 Depth=3
	s_or_b64 exec, exec, s[48:49]
.LBB4_8605:                             ;   in Loop: Header=BB4_8585 Depth=3
	s_or_b64 exec, exec, s[28:29]
.LBB4_8606:                             ;   in Loop: Header=BB4_8585 Depth=3
	s_or_b64 exec, exec, s[40:41]
	v_and_b32_e32 v2, 0xff, v14
	v_cmp_ne_u16_e32 vcc, 0, v2
	s_and_saveexec_b64 s[28:29], vcc
	s_cbranch_execz .LBB4_8612
; %bb.8607:                             ;   in Loop: Header=BB4_8585 Depth=3
	v_cmp_ne_u16_e32 vcc, s80, v2
	v_bfrev_b32_e32 v16, 1
	s_and_saveexec_b64 s[40:41], vcc
	s_cbranch_execz .LBB4_8611
; %bb.8608:                             ;   in Loop: Header=BB4_8585 Depth=3
	v_and_b32_e32 v0, 0x7f, v14
	v_cmp_ne_u32_e32 vcc, s81, v0
	v_mov_b32_e32 v16, 0x7f800001
	s_and_saveexec_b64 s[48:49], vcc
	s_cbranch_execz .LBB4_8610
; %bb.8609:                             ;   in Loop: Header=BB4_8585 Depth=3
	v_and_b32_e32 v15, 7, v2
	v_lshrrev_b32_e32 v16, 3, v0
	v_cmp_gt_u32_e32 vcc, 8, v0
	v_ffbh_u32_e32 v0, v15
	v_min_u32_e32 v40, 32, v0
	v_subrev_u32_e32 v0, 28, v40
	v_lshlrev_b64 v[0:1], v0, v[2:3]
	v_sub_u32_e32 v1, 29, v40
	v_and_b32_e32 v0, 7, v0
	v_cndmask_b32_e32 v1, v16, v1, vcc
	v_cndmask_b32_e32 v0, v15, v0, vcc
	v_lshlrev_b32_e32 v2, 24, v14
	v_lshlrev_b32_e32 v0, 20, v0
	v_and_b32_e32 v2, 0x80000000, v2
	v_lshl_add_u32 v1, v1, 23, v54
	v_or3_b32 v16, v2, v1, v0
.LBB4_8610:                             ;   in Loop: Header=BB4_8585 Depth=3
	s_or_b64 exec, exec, s[48:49]
.LBB4_8611:                             ;   in Loop: Header=BB4_8585 Depth=3
	s_or_b64 exec, exec, s[40:41]
.LBB4_8612:                             ;   in Loop: Header=BB4_8585 Depth=3
	s_or_b64 exec, exec, s[28:29]
	v_max_f32_e32 v0, v16, v16
	v_max_f32_e32 v1, v21, v21
	v_min_f32_e32 v16, v1, v0
.LBB4_8613:                             ;   in Loop: Header=BB4_8585 Depth=3
	v_and_b32_e32 v2, 0x7f800000, v16
	v_cmp_ne_u64_e32 vcc, s[76:77], v[2:3]
                                        ; implicit-def: $vgpr21
	s_and_saveexec_b64 s[28:29], vcc
	s_xor_b64 s[40:41], exec, s[28:29]
	s_cbranch_execz .LBB4_8631
; %bb.8614:                             ;   in Loop: Header=BB4_8585 Depth=3
	v_and_b32_e32 v2, 0x7fffffff, v16
	v_cmp_gt_u64_e32 vcc, s[78:79], v[2:3]
	v_and_b32_sdwa v44, v16, s80 dst_sel:DWORD dst_unused:UNUSED_PAD src0_sel:BYTE_3 src1_sel:DWORD
                                        ; implicit-def: $vgpr21
	s_and_saveexec_b64 s[28:29], vcc
	s_xor_b64 s[48:49], exec, s[28:29]
	s_cbranch_execz .LBB4_8628
; %bb.8615:                             ;   in Loop: Header=BB4_8585 Depth=3
	v_cmp_ne_u32_e32 vcc, 0, v16
	v_mov_b32_e32 v21, 0
	s_and_saveexec_b64 s[50:51], vcc
	s_cbranch_execz .LBB4_8627
; %bb.8616:                             ;   in Loop: Header=BB4_8585 Depth=3
	v_bfe_u32 v21, v16, 23, 8
	v_cmp_gt_u32_e64 s[28:29], s83, v21
	v_sub_u32_e32 v1, 0x79, v21
	v_and_b32_e32 v0, 0x7fffff, v16
	v_cmp_eq_u32_e32 vcc, 0, v21
	v_cndmask_b32_e64 v1, 0, v1, s[28:29]
	v_mov_b32_e32 v14, 0x78
	v_or_b32_e32 v2, 0x800000, v0
	v_cndmask_b32_e32 v61, v1, v14, vcc
	v_cndmask_b32_e32 v2, v2, v0, vcc
	v_add_u32_e32 v0, 20, v61
	v_lshlrev_b64 v[0:1], v0, -1
	v_add_u32_e32 v14, 19, v61
	v_lshlrev_b64 v[14:15], v14, 1
	v_bfi_b32 v1, v1, 0, 0
	v_bfi_b32 v0, v0, 0, v2
	v_cmp_eq_u64_e64 s[28:29], v[0:1], v[14:15]
	v_lshrrev_b64 v[14:15], v61, v[2:3]
	v_mov_b32_e32 v16, v15
	v_mov_b32_e32 v15, v14
	s_and_saveexec_b64 s[52:53], s[28:29]
; %bb.8617:                             ;   in Loop: Header=BB4_8585 Depth=3
	v_bfe_u32 v0, v14, 20, 1
	v_add_co_u32_e64 v0, s[28:29], v14, v0
	v_add_co_u32_e64 v15, s[28:29], -1, v0
; %bb.8618:                             ;   in Loop: Header=BB4_8585 Depth=3
	s_or_b64 exec, exec, s[52:53]
	v_add_u32_e32 v0, 0xffffff81, v21
	v_mov_b32_e32 v1, 0xffffff82
	v_cndmask_b32_e32 v0, v0, v1, vcc
	v_lshrrev_b32_e32 v1, 23, v14
	v_add3_u32 v21, v61, v0, v1
	v_add_u32_e32 v0, 6, v21
	v_and_b32_e32 v1, 0xfffff, v15
	v_add_u32_e32 v2, v1, v14
	v_cmp_ne_u32_e32 vcc, 0, v0
                                        ; implicit-def: $vgpr14_vgpr15
                                        ; implicit-def: $vgpr16
	s_and_saveexec_b64 s[28:29], vcc
	s_xor_b64 s[28:29], exec, s[28:29]
; %bb.8619:                             ;   in Loop: Header=BB4_8585 Depth=3
	v_cmp_lt_u64_e32 vcc, s[88:89], v[2:3]
	v_add_u32_e32 v1, 7, v21
	v_cndmask_b32_e32 v16, v0, v1, vcc
	v_cndmask_b32_e64 v0, 0, 1, vcc
	v_lshrrev_b64 v[14:15], v0, v[2:3]
; %bb.8620:                             ;   in Loop: Header=BB4_8585 Depth=3
	s_andn2_saveexec_b64 s[28:29], s[28:29]
; %bb.8621:                             ;   in Loop: Header=BB4_8585 Depth=3
	v_mov_b32_e32 v15, v3
	v_bfe_u32 v16, v2, 23, 1
	v_mov_b32_e32 v14, v2
; %bb.8622:                             ;   in Loop: Header=BB4_8585 Depth=3
	s_or_b64 exec, exec, s[28:29]
	v_lshrrev_b64 v[0:1], 20, v[14:15]
	v_cmp_gt_i32_e32 vcc, 16, v16
	v_cndmask_b32_e32 v15, 0, v1, vcc
	v_cndmask_b32_e32 v14, 7, v0, vcc
	v_cmp_ne_u64_e32 vcc, 0, v[14:15]
	v_cmp_ne_u32_e64 s[28:29], 0, v16
	s_or_b64 s[28:29], s[28:29], vcc
                                        ; implicit-def: $vgpr21
	s_and_saveexec_b64 vcc, s[28:29]
	s_xor_b64 s[28:29], exec, vcc
; %bb.8623:                             ;   in Loop: Header=BB4_8585 Depth=3
	v_min_i32_e32 v0, 15, v16
	v_lshl_or_b32 v0, v0, 3, v44
	v_and_or_b32 v21, v14, 7, v0
                                        ; implicit-def: $vgpr44
; %bb.8624:                             ;   in Loop: Header=BB4_8585 Depth=3
	s_andn2_saveexec_b64 s[28:29], s[28:29]
; %bb.8625:                             ;   in Loop: Header=BB4_8585 Depth=3
	v_mov_b32_e32 v21, v44
; %bb.8626:                             ;   in Loop: Header=BB4_8585 Depth=3
	s_or_b64 exec, exec, s[28:29]
.LBB4_8627:                             ;   in Loop: Header=BB4_8585 Depth=3
	s_or_b64 exec, exec, s[50:51]
                                        ; implicit-def: $vgpr44
.LBB4_8628:                             ;   in Loop: Header=BB4_8585 Depth=3
	s_andn2_saveexec_b64 s[28:29], s[48:49]
; %bb.8629:                             ;   in Loop: Header=BB4_8585 Depth=3
	v_or_b32_e32 v21, 0x7e, v44
; %bb.8630:                             ;   in Loop: Header=BB4_8585 Depth=3
	s_or_b64 exec, exec, s[28:29]
                                        ; implicit-def: $vgpr16
.LBB4_8631:                             ;   in Loop: Header=BB4_8585 Depth=3
	s_andn2_saveexec_b64 s[28:29], s[40:41]
; %bb.8632:                             ;   in Loop: Header=BB4_8585 Depth=3
	v_or_b32_sdwa v21, v16, s81 dst_sel:DWORD dst_unused:UNUSED_PAD src0_sel:BYTE_3 src1_sel:DWORD
; %bb.8633:                             ;   in Loop: Header=BB4_8585 Depth=3
	s_or_b64 exec, exec, s[28:29]
	v_and_b32_e32 v2, 0xff, v60
	v_cndmask_b32_e64 v0, 0, 1, s[46:47]
	v_cmp_ne_u16_e64 s[40:41], 0, v2
	v_cmp_ne_u32_e64 s[28:29], 1, v0
	s_andn2_b64 vcc, exec, s[46:47]
	s_mov_b64 s[48:49], -1
                                        ; implicit-def: $vgpr14
	s_cbranch_vccnz .LBB4_8647
; %bb.8634:                             ;   in Loop: Header=BB4_8585 Depth=3
	v_mov_b32_e32 v16, 0
	v_mov_b32_e32 v15, 0
	s_and_saveexec_b64 s[48:49], s[40:41]
	s_cbranch_execz .LBB4_8640
; %bb.8635:                             ;   in Loop: Header=BB4_8585 Depth=3
	v_cmp_ne_u16_e32 vcc, s80, v2
	v_bfrev_b32_e32 v15, 1
	s_and_saveexec_b64 s[50:51], vcc
	s_cbranch_execz .LBB4_8639
; %bb.8636:                             ;   in Loop: Header=BB4_8585 Depth=3
	v_and_b32_e32 v0, 0x7f, v60
	v_cmp_ne_u32_e32 vcc, s81, v0
	v_mov_b32_e32 v15, 0x7f800001
	s_and_saveexec_b64 s[52:53], vcc
	s_cbranch_execz .LBB4_8638
; %bb.8637:                             ;   in Loop: Header=BB4_8585 Depth=3
	v_and_b32_e32 v14, 7, v2
	v_lshrrev_b32_e32 v15, 3, v0
	v_cmp_gt_u32_e32 vcc, 8, v0
	v_ffbh_u32_e32 v0, v14
	v_min_u32_e32 v40, 32, v0
	v_subrev_u32_e32 v0, 28, v40
	v_lshlrev_b64 v[0:1], v0, v[2:3]
	v_sub_u32_e32 v1, 29, v40
	v_and_b32_e32 v0, 7, v0
	v_cndmask_b32_e32 v1, v15, v1, vcc
	v_cndmask_b32_e32 v0, v14, v0, vcc
	v_lshlrev_b32_e32 v14, 24, v60
	v_lshlrev_b32_e32 v0, 20, v0
	v_and_b32_e32 v14, 0x80000000, v14
	v_lshl_add_u32 v1, v1, 23, v54
	v_or3_b32 v15, v14, v1, v0
.LBB4_8638:                             ;   in Loop: Header=BB4_8585 Depth=3
	s_or_b64 exec, exec, s[52:53]
.LBB4_8639:                             ;   in Loop: Header=BB4_8585 Depth=3
	s_or_b64 exec, exec, s[50:51]
.LBB4_8640:                             ;   in Loop: Header=BB4_8585 Depth=3
	s_or_b64 exec, exec, s[48:49]
	v_and_b32_e32 v14, 0xff, v24
	v_cmp_ne_u16_e32 vcc, 0, v14
	s_and_saveexec_b64 s[48:49], vcc
	s_cbranch_execz .LBB4_8646
; %bb.8641:                             ;   in Loop: Header=BB4_8585 Depth=3
	v_cmp_ne_u16_e32 vcc, s80, v14
	v_bfrev_b32_e32 v16, 1
	s_and_saveexec_b64 s[50:51], vcc
	s_cbranch_execz .LBB4_8645
; %bb.8642:                             ;   in Loop: Header=BB4_8585 Depth=3
	v_and_b32_e32 v0, 0x7f, v24
	v_cmp_ne_u32_e32 vcc, s81, v0
	v_mov_b32_e32 v16, 0x7f800001
	s_and_saveexec_b64 s[52:53], vcc
	s_cbranch_execz .LBB4_8644
; %bb.8643:                             ;   in Loop: Header=BB4_8585 Depth=3
	v_and_b32_e32 v16, 7, v14
	v_lshrrev_b32_e32 v40, 3, v0
	v_cmp_gt_u32_e32 vcc, 8, v0
	v_ffbh_u32_e32 v0, v16
	s_waitcnt vmcnt(0)
	v_min_u32_e32 v41, 32, v0
	v_subrev_u32_e32 v0, 28, v41
	v_lshlrev_b64 v[0:1], v0, v[14:15]
	v_sub_u32_e32 v1, 29, v41
	buffer_load_dword v41, off, s[0:3], s33 offset:200 ; 4-byte Folded Reload
	v_and_b32_e32 v0, 7, v0
	v_cndmask_b32_e32 v1, v40, v1, vcc
	v_cndmask_b32_e32 v0, v16, v0, vcc
	v_lshlrev_b32_e32 v14, 24, v24
	v_lshlrev_b32_e32 v0, 20, v0
	v_and_b32_e32 v14, 0x80000000, v14
	v_lshl_add_u32 v1, v1, 23, v54
	v_or3_b32 v16, v14, v1, v0
.LBB4_8644:                             ;   in Loop: Header=BB4_8585 Depth=3
	s_or_b64 exec, exec, s[52:53]
.LBB4_8645:                             ;   in Loop: Header=BB4_8585 Depth=3
	s_or_b64 exec, exec, s[50:51]
.LBB4_8646:                             ;   in Loop: Header=BB4_8585 Depth=3
	s_or_b64 exec, exec, s[48:49]
	v_max_f32_e32 v0, v16, v16
	v_max_f32_e32 v1, v15, v15
	;; [unrolled: 1-line block ×3, first 2 shown]
	s_mov_b64 s[48:49], 0
.LBB4_8647:                             ;   in Loop: Header=BB4_8585 Depth=3
	s_and_b64 vcc, exec, s[48:49]
	s_cbranch_vccz .LBB4_8661
; %bb.8648:                             ;   in Loop: Header=BB4_8585 Depth=3
	v_mov_b32_e32 v15, 0
	v_mov_b32_e32 v14, 0
	s_and_saveexec_b64 s[48:49], s[40:41]
	s_cbranch_execz .LBB4_8654
; %bb.8649:                             ;   in Loop: Header=BB4_8585 Depth=3
	v_cmp_ne_u16_e32 vcc, s80, v2
	v_bfrev_b32_e32 v14, 1
	s_and_saveexec_b64 s[40:41], vcc
	s_cbranch_execz .LBB4_8653
; %bb.8650:                             ;   in Loop: Header=BB4_8585 Depth=3
	v_and_b32_e32 v0, 0x7f, v60
	v_cmp_ne_u32_e32 vcc, s81, v0
	v_mov_b32_e32 v14, 0x7f800001
	s_and_saveexec_b64 s[50:51], vcc
	s_cbranch_execz .LBB4_8652
; %bb.8651:                             ;   in Loop: Header=BB4_8585 Depth=3
	v_and_b32_e32 v14, 7, v2
	v_lshrrev_b32_e32 v16, 3, v0
	v_cmp_gt_u32_e32 vcc, 8, v0
	v_ffbh_u32_e32 v0, v14
	v_min_u32_e32 v40, 32, v0
	v_subrev_u32_e32 v0, 28, v40
	v_lshlrev_b64 v[0:1], v0, v[2:3]
	v_sub_u32_e32 v1, 29, v40
	v_and_b32_e32 v0, 7, v0
	v_cndmask_b32_e32 v1, v16, v1, vcc
	v_cndmask_b32_e32 v0, v14, v0, vcc
	v_lshlrev_b32_e32 v2, 24, v60
	v_lshlrev_b32_e32 v0, 20, v0
	v_and_b32_e32 v2, 0x80000000, v2
	v_lshl_add_u32 v1, v1, 23, v54
	v_or3_b32 v14, v2, v1, v0
.LBB4_8652:                             ;   in Loop: Header=BB4_8585 Depth=3
	s_or_b64 exec, exec, s[50:51]
.LBB4_8653:                             ;   in Loop: Header=BB4_8585 Depth=3
	s_or_b64 exec, exec, s[40:41]
.LBB4_8654:                             ;   in Loop: Header=BB4_8585 Depth=3
	s_or_b64 exec, exec, s[48:49]
	v_and_b32_e32 v2, 0xff, v24
	v_cmp_ne_u16_e32 vcc, 0, v2
	s_and_saveexec_b64 s[40:41], vcc
	s_cbranch_execz .LBB4_8660
; %bb.8655:                             ;   in Loop: Header=BB4_8585 Depth=3
	v_cmp_ne_u16_e32 vcc, s80, v2
	v_bfrev_b32_e32 v15, 1
	s_and_saveexec_b64 s[48:49], vcc
	s_cbranch_execz .LBB4_8659
; %bb.8656:                             ;   in Loop: Header=BB4_8585 Depth=3
	v_and_b32_e32 v0, 0x7f, v24
	v_cmp_ne_u32_e32 vcc, s81, v0
	v_mov_b32_e32 v15, 0x7f800001
	s_and_saveexec_b64 s[50:51], vcc
	s_cbranch_execz .LBB4_8658
; %bb.8657:                             ;   in Loop: Header=BB4_8585 Depth=3
	v_and_b32_e32 v15, 7, v2
	v_lshrrev_b32_e32 v16, 3, v0
	v_cmp_gt_u32_e32 vcc, 8, v0
	v_ffbh_u32_e32 v0, v15
	v_min_u32_e32 v40, 32, v0
	v_subrev_u32_e32 v0, 28, v40
	v_lshlrev_b64 v[0:1], v0, v[2:3]
	v_sub_u32_e32 v1, 29, v40
	v_and_b32_e32 v0, 7, v0
	v_cndmask_b32_e32 v1, v16, v1, vcc
	v_cndmask_b32_e32 v0, v15, v0, vcc
	v_lshlrev_b32_e32 v2, 24, v24
	v_lshlrev_b32_e32 v0, 20, v0
	v_and_b32_e32 v2, 0x80000000, v2
	v_lshl_add_u32 v1, v1, 23, v54
	v_or3_b32 v15, v2, v1, v0
.LBB4_8658:                             ;   in Loop: Header=BB4_8585 Depth=3
	s_or_b64 exec, exec, s[50:51]
.LBB4_8659:                             ;   in Loop: Header=BB4_8585 Depth=3
	s_or_b64 exec, exec, s[48:49]
.LBB4_8660:                             ;   in Loop: Header=BB4_8585 Depth=3
	s_or_b64 exec, exec, s[40:41]
	v_max_f32_e32 v0, v15, v15
	v_max_f32_e32 v1, v14, v14
	v_min_f32_e32 v14, v1, v0
.LBB4_8661:                             ;   in Loop: Header=BB4_8585 Depth=3
	v_and_b32_e32 v2, 0x7f800000, v14
	v_cmp_ne_u64_e32 vcc, s[76:77], v[2:3]
                                        ; implicit-def: $vgpr24
	s_and_saveexec_b64 s[40:41], vcc
	s_xor_b64 s[48:49], exec, s[40:41]
	s_cbranch_execz .LBB4_8679
; %bb.8662:                             ;   in Loop: Header=BB4_8585 Depth=3
	v_and_b32_e32 v2, 0x7fffffff, v14
	v_cmp_gt_u64_e32 vcc, s[78:79], v[2:3]
	v_and_b32_sdwa v44, v14, s80 dst_sel:DWORD dst_unused:UNUSED_PAD src0_sel:BYTE_3 src1_sel:DWORD
                                        ; implicit-def: $vgpr24
	s_and_saveexec_b64 s[40:41], vcc
	s_xor_b64 s[50:51], exec, s[40:41]
	s_cbranch_execz .LBB4_8676
; %bb.8663:                             ;   in Loop: Header=BB4_8585 Depth=3
	v_cmp_ne_u32_e32 vcc, 0, v14
	v_mov_b32_e32 v24, 0
	s_and_saveexec_b64 s[52:53], vcc
	s_cbranch_execz .LBB4_8675
; %bb.8664:                             ;   in Loop: Header=BB4_8585 Depth=3
	v_bfe_u32 v24, v14, 23, 8
	v_cmp_gt_u32_e64 s[40:41], s83, v24
	v_sub_u32_e32 v1, 0x79, v24
	v_and_b32_e32 v0, 0x7fffff, v14
	v_cmp_eq_u32_e32 vcc, 0, v24
	v_cndmask_b32_e64 v1, 0, v1, s[40:41]
	v_mov_b32_e32 v14, 0x78
	v_or_b32_e32 v2, 0x800000, v0
	v_cndmask_b32_e32 v60, v1, v14, vcc
	v_cndmask_b32_e32 v2, v2, v0, vcc
	v_add_u32_e32 v0, 20, v60
	v_lshlrev_b64 v[0:1], v0, -1
	v_add_u32_e32 v14, 19, v60
	v_lshlrev_b64 v[14:15], v14, 1
	v_bfi_b32 v1, v1, 0, 0
	v_bfi_b32 v0, v0, 0, v2
	v_cmp_eq_u64_e64 s[40:41], v[0:1], v[14:15]
	v_lshrrev_b64 v[14:15], v60, v[2:3]
	v_mov_b32_e32 v16, v15
	v_mov_b32_e32 v15, v14
	s_and_saveexec_b64 s[54:55], s[40:41]
; %bb.8665:                             ;   in Loop: Header=BB4_8585 Depth=3
	v_bfe_u32 v0, v14, 20, 1
	v_add_co_u32_e64 v0, s[40:41], v14, v0
	v_add_co_u32_e64 v15, s[40:41], -1, v0
; %bb.8666:                             ;   in Loop: Header=BB4_8585 Depth=3
	s_or_b64 exec, exec, s[54:55]
	v_add_u32_e32 v0, 0xffffff81, v24
	v_mov_b32_e32 v1, 0xffffff82
	v_cndmask_b32_e32 v0, v0, v1, vcc
	v_lshrrev_b32_e32 v1, 23, v14
	v_add3_u32 v24, v60, v0, v1
	v_add_u32_e32 v0, 6, v24
	v_and_b32_e32 v1, 0xfffff, v15
	v_add_u32_e32 v2, v1, v14
	v_cmp_ne_u32_e32 vcc, 0, v0
                                        ; implicit-def: $vgpr14_vgpr15
                                        ; implicit-def: $vgpr16
	s_and_saveexec_b64 s[40:41], vcc
	s_xor_b64 s[40:41], exec, s[40:41]
; %bb.8667:                             ;   in Loop: Header=BB4_8585 Depth=3
	v_cmp_lt_u64_e32 vcc, s[88:89], v[2:3]
	v_add_u32_e32 v1, 7, v24
	v_cndmask_b32_e32 v16, v0, v1, vcc
	v_cndmask_b32_e64 v0, 0, 1, vcc
	v_lshrrev_b64 v[14:15], v0, v[2:3]
; %bb.8668:                             ;   in Loop: Header=BB4_8585 Depth=3
	s_andn2_saveexec_b64 s[40:41], s[40:41]
; %bb.8669:                             ;   in Loop: Header=BB4_8585 Depth=3
	v_mov_b32_e32 v15, v3
	v_bfe_u32 v16, v2, 23, 1
	v_mov_b32_e32 v14, v2
; %bb.8670:                             ;   in Loop: Header=BB4_8585 Depth=3
	s_or_b64 exec, exec, s[40:41]
	v_lshrrev_b64 v[0:1], 20, v[14:15]
	v_cmp_gt_i32_e32 vcc, 16, v16
	v_cndmask_b32_e32 v15, 0, v1, vcc
	v_cndmask_b32_e32 v14, 7, v0, vcc
	v_cmp_ne_u64_e32 vcc, 0, v[14:15]
	v_cmp_ne_u32_e64 s[40:41], 0, v16
	s_or_b64 s[40:41], s[40:41], vcc
                                        ; implicit-def: $vgpr24
	s_and_saveexec_b64 vcc, s[40:41]
	s_xor_b64 s[40:41], exec, vcc
; %bb.8671:                             ;   in Loop: Header=BB4_8585 Depth=3
	v_min_i32_e32 v0, 15, v16
	v_lshl_or_b32 v0, v0, 3, v44
	v_and_or_b32 v24, v14, 7, v0
                                        ; implicit-def: $vgpr44
; %bb.8672:                             ;   in Loop: Header=BB4_8585 Depth=3
	s_andn2_saveexec_b64 s[40:41], s[40:41]
; %bb.8673:                             ;   in Loop: Header=BB4_8585 Depth=3
	v_mov_b32_e32 v24, v44
; %bb.8674:                             ;   in Loop: Header=BB4_8585 Depth=3
	s_or_b64 exec, exec, s[40:41]
.LBB4_8675:                             ;   in Loop: Header=BB4_8585 Depth=3
	s_or_b64 exec, exec, s[52:53]
                                        ; implicit-def: $vgpr44
.LBB4_8676:                             ;   in Loop: Header=BB4_8585 Depth=3
	s_andn2_saveexec_b64 s[40:41], s[50:51]
; %bb.8677:                             ;   in Loop: Header=BB4_8585 Depth=3
	v_or_b32_e32 v24, 0x7e, v44
; %bb.8678:                             ;   in Loop: Header=BB4_8585 Depth=3
	s_or_b64 exec, exec, s[40:41]
                                        ; implicit-def: $vgpr14
.LBB4_8679:                             ;   in Loop: Header=BB4_8585 Depth=3
	s_andn2_saveexec_b64 s[40:41], s[48:49]
; %bb.8680:                             ;   in Loop: Header=BB4_8585 Depth=3
	v_or_b32_sdwa v24, v14, s81 dst_sel:DWORD dst_unused:UNUSED_PAD src0_sel:BYTE_3 src1_sel:DWORD
; %bb.8681:                             ;   in Loop: Header=BB4_8585 Depth=3
	s_or_b64 exec, exec, s[40:41]
	v_and_b32_e32 v2, 0xff, v59
	v_cmp_ne_u16_e64 s[40:41], 0, v2
	s_and_b64 vcc, exec, s[28:29]
	s_mov_b64 s[48:49], -1
                                        ; implicit-def: $vgpr14
	s_cbranch_vccnz .LBB4_8695
; %bb.8682:                             ;   in Loop: Header=BB4_8585 Depth=3
	v_mov_b32_e32 v16, 0
	v_mov_b32_e32 v15, 0
	s_and_saveexec_b64 s[48:49], s[40:41]
	s_cbranch_execz .LBB4_8688
; %bb.8683:                             ;   in Loop: Header=BB4_8585 Depth=3
	v_cmp_ne_u16_e32 vcc, s80, v2
	v_bfrev_b32_e32 v15, 1
	s_and_saveexec_b64 s[50:51], vcc
	s_cbranch_execz .LBB4_8687
; %bb.8684:                             ;   in Loop: Header=BB4_8585 Depth=3
	v_and_b32_e32 v0, 0x7f, v59
	v_cmp_ne_u32_e32 vcc, s81, v0
	v_mov_b32_e32 v15, 0x7f800001
	s_and_saveexec_b64 s[52:53], vcc
	s_cbranch_execz .LBB4_8686
; %bb.8685:                             ;   in Loop: Header=BB4_8585 Depth=3
	v_and_b32_e32 v14, 7, v2
	v_lshrrev_b32_e32 v15, 3, v0
	v_cmp_gt_u32_e32 vcc, 8, v0
	v_ffbh_u32_e32 v0, v14
	v_min_u32_e32 v40, 32, v0
	v_subrev_u32_e32 v0, 28, v40
	v_lshlrev_b64 v[0:1], v0, v[2:3]
	v_sub_u32_e32 v1, 29, v40
	v_and_b32_e32 v0, 7, v0
	v_cndmask_b32_e32 v1, v15, v1, vcc
	v_cndmask_b32_e32 v0, v14, v0, vcc
	v_lshlrev_b32_e32 v14, 24, v59
	v_lshlrev_b32_e32 v0, 20, v0
	v_and_b32_e32 v14, 0x80000000, v14
	v_lshl_add_u32 v1, v1, 23, v54
	v_or3_b32 v15, v14, v1, v0
.LBB4_8686:                             ;   in Loop: Header=BB4_8585 Depth=3
	s_or_b64 exec, exec, s[52:53]
.LBB4_8687:                             ;   in Loop: Header=BB4_8585 Depth=3
	s_or_b64 exec, exec, s[50:51]
.LBB4_8688:                             ;   in Loop: Header=BB4_8585 Depth=3
	s_or_b64 exec, exec, s[48:49]
	v_and_b32_e32 v14, 0xff, v27
	v_cmp_ne_u16_e32 vcc, 0, v14
	s_and_saveexec_b64 s[48:49], vcc
	s_cbranch_execz .LBB4_8694
; %bb.8689:                             ;   in Loop: Header=BB4_8585 Depth=3
	v_cmp_ne_u16_e32 vcc, s80, v14
	v_bfrev_b32_e32 v16, 1
	s_and_saveexec_b64 s[50:51], vcc
	s_cbranch_execz .LBB4_8693
; %bb.8690:                             ;   in Loop: Header=BB4_8585 Depth=3
	v_and_b32_e32 v0, 0x7f, v27
	v_cmp_ne_u32_e32 vcc, s81, v0
	v_mov_b32_e32 v16, 0x7f800001
	s_and_saveexec_b64 s[52:53], vcc
	s_cbranch_execz .LBB4_8692
; %bb.8691:                             ;   in Loop: Header=BB4_8585 Depth=3
	v_and_b32_e32 v16, 7, v14
	v_lshrrev_b32_e32 v40, 3, v0
	v_cmp_gt_u32_e32 vcc, 8, v0
	v_ffbh_u32_e32 v0, v16
	s_waitcnt vmcnt(0)
	v_min_u32_e32 v41, 32, v0
	v_subrev_u32_e32 v0, 28, v41
	v_lshlrev_b64 v[0:1], v0, v[14:15]
	v_sub_u32_e32 v1, 29, v41
	buffer_load_dword v41, off, s[0:3], s33 offset:200 ; 4-byte Folded Reload
	v_and_b32_e32 v0, 7, v0
	v_cndmask_b32_e32 v1, v40, v1, vcc
	v_cndmask_b32_e32 v0, v16, v0, vcc
	v_lshlrev_b32_e32 v14, 24, v27
	v_lshlrev_b32_e32 v0, 20, v0
	v_and_b32_e32 v14, 0x80000000, v14
	v_lshl_add_u32 v1, v1, 23, v54
	v_or3_b32 v16, v14, v1, v0
.LBB4_8692:                             ;   in Loop: Header=BB4_8585 Depth=3
	s_or_b64 exec, exec, s[52:53]
.LBB4_8693:                             ;   in Loop: Header=BB4_8585 Depth=3
	s_or_b64 exec, exec, s[50:51]
.LBB4_8694:                             ;   in Loop: Header=BB4_8585 Depth=3
	s_or_b64 exec, exec, s[48:49]
	v_max_f32_e32 v0, v16, v16
	v_max_f32_e32 v1, v15, v15
	;; [unrolled: 1-line block ×3, first 2 shown]
	s_mov_b64 s[48:49], 0
.LBB4_8695:                             ;   in Loop: Header=BB4_8585 Depth=3
	s_and_b64 vcc, exec, s[48:49]
	s_cbranch_vccz .LBB4_8709
; %bb.8696:                             ;   in Loop: Header=BB4_8585 Depth=3
	v_mov_b32_e32 v15, 0
	v_mov_b32_e32 v14, 0
	s_and_saveexec_b64 s[48:49], s[40:41]
	s_cbranch_execz .LBB4_8702
; %bb.8697:                             ;   in Loop: Header=BB4_8585 Depth=3
	v_cmp_ne_u16_e32 vcc, s80, v2
	v_bfrev_b32_e32 v14, 1
	s_and_saveexec_b64 s[40:41], vcc
	s_cbranch_execz .LBB4_8701
; %bb.8698:                             ;   in Loop: Header=BB4_8585 Depth=3
	v_and_b32_e32 v0, 0x7f, v59
	v_cmp_ne_u32_e32 vcc, s81, v0
	v_mov_b32_e32 v14, 0x7f800001
	s_and_saveexec_b64 s[50:51], vcc
	s_cbranch_execz .LBB4_8700
; %bb.8699:                             ;   in Loop: Header=BB4_8585 Depth=3
	v_and_b32_e32 v14, 7, v2
	v_lshrrev_b32_e32 v16, 3, v0
	v_cmp_gt_u32_e32 vcc, 8, v0
	v_ffbh_u32_e32 v0, v14
	v_min_u32_e32 v40, 32, v0
	v_subrev_u32_e32 v0, 28, v40
	v_lshlrev_b64 v[0:1], v0, v[2:3]
	v_sub_u32_e32 v1, 29, v40
	v_and_b32_e32 v0, 7, v0
	v_cndmask_b32_e32 v1, v16, v1, vcc
	v_cndmask_b32_e32 v0, v14, v0, vcc
	v_lshlrev_b32_e32 v2, 24, v59
	v_lshlrev_b32_e32 v0, 20, v0
	v_and_b32_e32 v2, 0x80000000, v2
	v_lshl_add_u32 v1, v1, 23, v54
	v_or3_b32 v14, v2, v1, v0
.LBB4_8700:                             ;   in Loop: Header=BB4_8585 Depth=3
	s_or_b64 exec, exec, s[50:51]
.LBB4_8701:                             ;   in Loop: Header=BB4_8585 Depth=3
	s_or_b64 exec, exec, s[40:41]
.LBB4_8702:                             ;   in Loop: Header=BB4_8585 Depth=3
	s_or_b64 exec, exec, s[48:49]
	v_and_b32_e32 v2, 0xff, v27
	v_cmp_ne_u16_e32 vcc, 0, v2
	s_and_saveexec_b64 s[40:41], vcc
	s_cbranch_execz .LBB4_8708
; %bb.8703:                             ;   in Loop: Header=BB4_8585 Depth=3
	v_cmp_ne_u16_e32 vcc, s80, v2
	v_bfrev_b32_e32 v15, 1
	s_and_saveexec_b64 s[48:49], vcc
	s_cbranch_execz .LBB4_8707
; %bb.8704:                             ;   in Loop: Header=BB4_8585 Depth=3
	v_and_b32_e32 v0, 0x7f, v27
	v_cmp_ne_u32_e32 vcc, s81, v0
	v_mov_b32_e32 v15, 0x7f800001
	s_and_saveexec_b64 s[50:51], vcc
	s_cbranch_execz .LBB4_8706
; %bb.8705:                             ;   in Loop: Header=BB4_8585 Depth=3
	v_and_b32_e32 v15, 7, v2
	v_lshrrev_b32_e32 v16, 3, v0
	v_cmp_gt_u32_e32 vcc, 8, v0
	v_ffbh_u32_e32 v0, v15
	v_min_u32_e32 v40, 32, v0
	v_subrev_u32_e32 v0, 28, v40
	v_lshlrev_b64 v[0:1], v0, v[2:3]
	v_sub_u32_e32 v1, 29, v40
	v_and_b32_e32 v0, 7, v0
	v_cndmask_b32_e32 v1, v16, v1, vcc
	v_cndmask_b32_e32 v0, v15, v0, vcc
	v_lshlrev_b32_e32 v2, 24, v27
	v_lshlrev_b32_e32 v0, 20, v0
	v_and_b32_e32 v2, 0x80000000, v2
	v_lshl_add_u32 v1, v1, 23, v54
	v_or3_b32 v15, v2, v1, v0
.LBB4_8706:                             ;   in Loop: Header=BB4_8585 Depth=3
	s_or_b64 exec, exec, s[50:51]
.LBB4_8707:                             ;   in Loop: Header=BB4_8585 Depth=3
	s_or_b64 exec, exec, s[48:49]
.LBB4_8708:                             ;   in Loop: Header=BB4_8585 Depth=3
	s_or_b64 exec, exec, s[40:41]
	v_max_f32_e32 v0, v15, v15
	v_max_f32_e32 v1, v14, v14
	v_min_f32_e32 v14, v1, v0
.LBB4_8709:                             ;   in Loop: Header=BB4_8585 Depth=3
	v_and_b32_e32 v2, 0x7f800000, v14
	v_cmp_ne_u64_e32 vcc, s[76:77], v[2:3]
                                        ; implicit-def: $vgpr27
	s_and_saveexec_b64 s[40:41], vcc
	s_xor_b64 s[48:49], exec, s[40:41]
	s_cbranch_execz .LBB4_8727
; %bb.8710:                             ;   in Loop: Header=BB4_8585 Depth=3
	v_and_b32_e32 v2, 0x7fffffff, v14
	v_cmp_gt_u64_e32 vcc, s[78:79], v[2:3]
	v_and_b32_sdwa v44, v14, s80 dst_sel:DWORD dst_unused:UNUSED_PAD src0_sel:BYTE_3 src1_sel:DWORD
                                        ; implicit-def: $vgpr27
	s_and_saveexec_b64 s[40:41], vcc
	s_xor_b64 s[50:51], exec, s[40:41]
	s_cbranch_execz .LBB4_8724
; %bb.8711:                             ;   in Loop: Header=BB4_8585 Depth=3
	v_cmp_ne_u32_e32 vcc, 0, v14
	v_mov_b32_e32 v27, 0
	s_and_saveexec_b64 s[52:53], vcc
	s_cbranch_execz .LBB4_8723
; %bb.8712:                             ;   in Loop: Header=BB4_8585 Depth=3
	v_bfe_u32 v27, v14, 23, 8
	v_cmp_gt_u32_e64 s[40:41], s83, v27
	v_sub_u32_e32 v1, 0x79, v27
	v_and_b32_e32 v0, 0x7fffff, v14
	v_cmp_eq_u32_e32 vcc, 0, v27
	v_cndmask_b32_e64 v1, 0, v1, s[40:41]
	v_mov_b32_e32 v14, 0x78
	v_or_b32_e32 v2, 0x800000, v0
	v_cndmask_b32_e32 v59, v1, v14, vcc
	v_cndmask_b32_e32 v2, v2, v0, vcc
	v_add_u32_e32 v0, 20, v59
	v_lshlrev_b64 v[0:1], v0, -1
	v_add_u32_e32 v14, 19, v59
	v_lshlrev_b64 v[14:15], v14, 1
	v_bfi_b32 v1, v1, 0, 0
	v_bfi_b32 v0, v0, 0, v2
	v_cmp_eq_u64_e64 s[40:41], v[0:1], v[14:15]
	v_lshrrev_b64 v[14:15], v59, v[2:3]
	v_mov_b32_e32 v16, v15
	v_mov_b32_e32 v15, v14
	s_and_saveexec_b64 s[54:55], s[40:41]
; %bb.8713:                             ;   in Loop: Header=BB4_8585 Depth=3
	v_bfe_u32 v0, v14, 20, 1
	v_add_co_u32_e64 v0, s[40:41], v14, v0
	v_add_co_u32_e64 v15, s[40:41], -1, v0
; %bb.8714:                             ;   in Loop: Header=BB4_8585 Depth=3
	s_or_b64 exec, exec, s[54:55]
	v_add_u32_e32 v0, 0xffffff81, v27
	v_mov_b32_e32 v1, 0xffffff82
	v_cndmask_b32_e32 v0, v0, v1, vcc
	v_lshrrev_b32_e32 v1, 23, v14
	v_add3_u32 v27, v59, v0, v1
	v_add_u32_e32 v0, 6, v27
	v_and_b32_e32 v1, 0xfffff, v15
	v_add_u32_e32 v2, v1, v14
	v_cmp_ne_u32_e32 vcc, 0, v0
                                        ; implicit-def: $vgpr14_vgpr15
                                        ; implicit-def: $vgpr16
	s_and_saveexec_b64 s[40:41], vcc
	s_xor_b64 s[40:41], exec, s[40:41]
; %bb.8715:                             ;   in Loop: Header=BB4_8585 Depth=3
	v_cmp_lt_u64_e32 vcc, s[88:89], v[2:3]
	v_add_u32_e32 v1, 7, v27
	v_cndmask_b32_e32 v16, v0, v1, vcc
	v_cndmask_b32_e64 v0, 0, 1, vcc
	v_lshrrev_b64 v[14:15], v0, v[2:3]
; %bb.8716:                             ;   in Loop: Header=BB4_8585 Depth=3
	s_andn2_saveexec_b64 s[40:41], s[40:41]
; %bb.8717:                             ;   in Loop: Header=BB4_8585 Depth=3
	v_mov_b32_e32 v15, v3
	v_bfe_u32 v16, v2, 23, 1
	v_mov_b32_e32 v14, v2
; %bb.8718:                             ;   in Loop: Header=BB4_8585 Depth=3
	s_or_b64 exec, exec, s[40:41]
	v_lshrrev_b64 v[0:1], 20, v[14:15]
	v_cmp_gt_i32_e32 vcc, 16, v16
	v_cndmask_b32_e32 v15, 0, v1, vcc
	v_cndmask_b32_e32 v14, 7, v0, vcc
	v_cmp_ne_u64_e32 vcc, 0, v[14:15]
	v_cmp_ne_u32_e64 s[40:41], 0, v16
	s_or_b64 s[40:41], s[40:41], vcc
                                        ; implicit-def: $vgpr27
	s_and_saveexec_b64 vcc, s[40:41]
	s_xor_b64 s[40:41], exec, vcc
; %bb.8719:                             ;   in Loop: Header=BB4_8585 Depth=3
	v_min_i32_e32 v0, 15, v16
	v_lshl_or_b32 v0, v0, 3, v44
	v_and_or_b32 v27, v14, 7, v0
                                        ; implicit-def: $vgpr44
; %bb.8720:                             ;   in Loop: Header=BB4_8585 Depth=3
	s_andn2_saveexec_b64 s[40:41], s[40:41]
; %bb.8721:                             ;   in Loop: Header=BB4_8585 Depth=3
	v_mov_b32_e32 v27, v44
; %bb.8722:                             ;   in Loop: Header=BB4_8585 Depth=3
	s_or_b64 exec, exec, s[40:41]
.LBB4_8723:                             ;   in Loop: Header=BB4_8585 Depth=3
	s_or_b64 exec, exec, s[52:53]
                                        ; implicit-def: $vgpr44
.LBB4_8724:                             ;   in Loop: Header=BB4_8585 Depth=3
	s_andn2_saveexec_b64 s[40:41], s[50:51]
; %bb.8725:                             ;   in Loop: Header=BB4_8585 Depth=3
	v_or_b32_e32 v27, 0x7e, v44
; %bb.8726:                             ;   in Loop: Header=BB4_8585 Depth=3
	s_or_b64 exec, exec, s[40:41]
                                        ; implicit-def: $vgpr14
.LBB4_8727:                             ;   in Loop: Header=BB4_8585 Depth=3
	s_andn2_saveexec_b64 s[40:41], s[48:49]
; %bb.8728:                             ;   in Loop: Header=BB4_8585 Depth=3
	v_or_b32_sdwa v27, v14, s81 dst_sel:DWORD dst_unused:UNUSED_PAD src0_sel:BYTE_3 src1_sel:DWORD
; %bb.8729:                             ;   in Loop: Header=BB4_8585 Depth=3
	s_or_b64 exec, exec, s[40:41]
	v_and_b32_e32 v2, 0xff, v58
	v_cmp_ne_u16_e64 s[40:41], 0, v2
	s_and_b64 vcc, exec, s[28:29]
	s_mov_b64 s[48:49], -1
                                        ; implicit-def: $vgpr14
	s_cbranch_vccnz .LBB4_8743
; %bb.8730:                             ;   in Loop: Header=BB4_8585 Depth=3
	v_mov_b32_e32 v16, 0
	v_mov_b32_e32 v15, 0
	s_and_saveexec_b64 s[48:49], s[40:41]
	s_cbranch_execz .LBB4_8736
; %bb.8731:                             ;   in Loop: Header=BB4_8585 Depth=3
	v_cmp_ne_u16_e32 vcc, s80, v2
	v_bfrev_b32_e32 v15, 1
	s_and_saveexec_b64 s[50:51], vcc
	s_cbranch_execz .LBB4_8735
; %bb.8732:                             ;   in Loop: Header=BB4_8585 Depth=3
	v_and_b32_e32 v0, 0x7f, v58
	v_cmp_ne_u32_e32 vcc, s81, v0
	v_mov_b32_e32 v15, 0x7f800001
	s_and_saveexec_b64 s[52:53], vcc
	s_cbranch_execz .LBB4_8734
; %bb.8733:                             ;   in Loop: Header=BB4_8585 Depth=3
	v_and_b32_e32 v14, 7, v2
	v_lshrrev_b32_e32 v15, 3, v0
	v_cmp_gt_u32_e32 vcc, 8, v0
	v_ffbh_u32_e32 v0, v14
	v_min_u32_e32 v40, 32, v0
	v_subrev_u32_e32 v0, 28, v40
	v_lshlrev_b64 v[0:1], v0, v[2:3]
	v_sub_u32_e32 v1, 29, v40
	v_and_b32_e32 v0, 7, v0
	v_cndmask_b32_e32 v1, v15, v1, vcc
	v_cndmask_b32_e32 v0, v14, v0, vcc
	v_lshlrev_b32_e32 v14, 24, v58
	v_lshlrev_b32_e32 v0, 20, v0
	v_and_b32_e32 v14, 0x80000000, v14
	v_lshl_add_u32 v1, v1, 23, v54
	v_or3_b32 v15, v14, v1, v0
.LBB4_8734:                             ;   in Loop: Header=BB4_8585 Depth=3
	s_or_b64 exec, exec, s[52:53]
.LBB4_8735:                             ;   in Loop: Header=BB4_8585 Depth=3
	s_or_b64 exec, exec, s[50:51]
.LBB4_8736:                             ;   in Loop: Header=BB4_8585 Depth=3
	s_or_b64 exec, exec, s[48:49]
	v_and_b32_e32 v14, 0xff, v29
	v_cmp_ne_u16_e32 vcc, 0, v14
	s_and_saveexec_b64 s[48:49], vcc
	s_cbranch_execz .LBB4_8742
; %bb.8737:                             ;   in Loop: Header=BB4_8585 Depth=3
	v_cmp_ne_u16_e32 vcc, s80, v14
	v_bfrev_b32_e32 v16, 1
	s_and_saveexec_b64 s[50:51], vcc
	s_cbranch_execz .LBB4_8741
; %bb.8738:                             ;   in Loop: Header=BB4_8585 Depth=3
	v_and_b32_e32 v0, 0x7f, v29
	v_cmp_ne_u32_e32 vcc, s81, v0
	v_mov_b32_e32 v16, 0x7f800001
	s_and_saveexec_b64 s[52:53], vcc
	s_cbranch_execz .LBB4_8740
; %bb.8739:                             ;   in Loop: Header=BB4_8585 Depth=3
	v_and_b32_e32 v16, 7, v14
	v_lshrrev_b32_e32 v40, 3, v0
	v_cmp_gt_u32_e32 vcc, 8, v0
	v_ffbh_u32_e32 v0, v16
	s_waitcnt vmcnt(0)
	v_min_u32_e32 v41, 32, v0
	v_subrev_u32_e32 v0, 28, v41
	v_lshlrev_b64 v[0:1], v0, v[14:15]
	v_sub_u32_e32 v1, 29, v41
	buffer_load_dword v41, off, s[0:3], s33 offset:200 ; 4-byte Folded Reload
	v_and_b32_e32 v0, 7, v0
	v_cndmask_b32_e32 v1, v40, v1, vcc
	v_cndmask_b32_e32 v0, v16, v0, vcc
	v_lshlrev_b32_e32 v14, 24, v29
	v_lshlrev_b32_e32 v0, 20, v0
	v_and_b32_e32 v14, 0x80000000, v14
	v_lshl_add_u32 v1, v1, 23, v54
	v_or3_b32 v16, v14, v1, v0
.LBB4_8740:                             ;   in Loop: Header=BB4_8585 Depth=3
	s_or_b64 exec, exec, s[52:53]
.LBB4_8741:                             ;   in Loop: Header=BB4_8585 Depth=3
	s_or_b64 exec, exec, s[50:51]
.LBB4_8742:                             ;   in Loop: Header=BB4_8585 Depth=3
	s_or_b64 exec, exec, s[48:49]
	v_max_f32_e32 v0, v16, v16
	v_max_f32_e32 v1, v15, v15
	;; [unrolled: 1-line block ×3, first 2 shown]
	s_mov_b64 s[48:49], 0
.LBB4_8743:                             ;   in Loop: Header=BB4_8585 Depth=3
	s_and_b64 vcc, exec, s[48:49]
	s_cbranch_vccz .LBB4_8757
; %bb.8744:                             ;   in Loop: Header=BB4_8585 Depth=3
	v_mov_b32_e32 v15, 0
	v_mov_b32_e32 v14, 0
	s_and_saveexec_b64 s[48:49], s[40:41]
	s_cbranch_execz .LBB4_8750
; %bb.8745:                             ;   in Loop: Header=BB4_8585 Depth=3
	v_cmp_ne_u16_e32 vcc, s80, v2
	v_bfrev_b32_e32 v14, 1
	s_and_saveexec_b64 s[40:41], vcc
	s_cbranch_execz .LBB4_8749
; %bb.8746:                             ;   in Loop: Header=BB4_8585 Depth=3
	v_and_b32_e32 v0, 0x7f, v58
	v_cmp_ne_u32_e32 vcc, s81, v0
	v_mov_b32_e32 v14, 0x7f800001
	s_and_saveexec_b64 s[50:51], vcc
	s_cbranch_execz .LBB4_8748
; %bb.8747:                             ;   in Loop: Header=BB4_8585 Depth=3
	v_and_b32_e32 v14, 7, v2
	v_lshrrev_b32_e32 v16, 3, v0
	v_cmp_gt_u32_e32 vcc, 8, v0
	v_ffbh_u32_e32 v0, v14
	v_min_u32_e32 v40, 32, v0
	v_subrev_u32_e32 v0, 28, v40
	v_lshlrev_b64 v[0:1], v0, v[2:3]
	v_sub_u32_e32 v1, 29, v40
	v_and_b32_e32 v0, 7, v0
	v_cndmask_b32_e32 v1, v16, v1, vcc
	v_cndmask_b32_e32 v0, v14, v0, vcc
	v_lshlrev_b32_e32 v2, 24, v58
	v_lshlrev_b32_e32 v0, 20, v0
	v_and_b32_e32 v2, 0x80000000, v2
	v_lshl_add_u32 v1, v1, 23, v54
	v_or3_b32 v14, v2, v1, v0
.LBB4_8748:                             ;   in Loop: Header=BB4_8585 Depth=3
	s_or_b64 exec, exec, s[50:51]
.LBB4_8749:                             ;   in Loop: Header=BB4_8585 Depth=3
	s_or_b64 exec, exec, s[40:41]
.LBB4_8750:                             ;   in Loop: Header=BB4_8585 Depth=3
	s_or_b64 exec, exec, s[48:49]
	v_and_b32_e32 v2, 0xff, v29
	v_cmp_ne_u16_e32 vcc, 0, v2
	s_and_saveexec_b64 s[40:41], vcc
	s_cbranch_execz .LBB4_8756
; %bb.8751:                             ;   in Loop: Header=BB4_8585 Depth=3
	v_cmp_ne_u16_e32 vcc, s80, v2
	v_bfrev_b32_e32 v15, 1
	s_and_saveexec_b64 s[48:49], vcc
	s_cbranch_execz .LBB4_8755
; %bb.8752:                             ;   in Loop: Header=BB4_8585 Depth=3
	v_and_b32_e32 v0, 0x7f, v29
	v_cmp_ne_u32_e32 vcc, s81, v0
	v_mov_b32_e32 v15, 0x7f800001
	s_and_saveexec_b64 s[50:51], vcc
	s_cbranch_execz .LBB4_8754
; %bb.8753:                             ;   in Loop: Header=BB4_8585 Depth=3
	v_and_b32_e32 v15, 7, v2
	v_lshrrev_b32_e32 v16, 3, v0
	v_cmp_gt_u32_e32 vcc, 8, v0
	v_ffbh_u32_e32 v0, v15
	v_min_u32_e32 v40, 32, v0
	v_subrev_u32_e32 v0, 28, v40
	v_lshlrev_b64 v[0:1], v0, v[2:3]
	v_sub_u32_e32 v1, 29, v40
	v_and_b32_e32 v0, 7, v0
	v_cndmask_b32_e32 v1, v16, v1, vcc
	v_cndmask_b32_e32 v0, v15, v0, vcc
	v_lshlrev_b32_e32 v2, 24, v29
	v_lshlrev_b32_e32 v0, 20, v0
	v_and_b32_e32 v2, 0x80000000, v2
	v_lshl_add_u32 v1, v1, 23, v54
	v_or3_b32 v15, v2, v1, v0
.LBB4_8754:                             ;   in Loop: Header=BB4_8585 Depth=3
	s_or_b64 exec, exec, s[50:51]
.LBB4_8755:                             ;   in Loop: Header=BB4_8585 Depth=3
	s_or_b64 exec, exec, s[48:49]
.LBB4_8756:                             ;   in Loop: Header=BB4_8585 Depth=3
	s_or_b64 exec, exec, s[40:41]
	v_max_f32_e32 v0, v15, v15
	v_max_f32_e32 v1, v14, v14
	v_min_f32_e32 v14, v1, v0
.LBB4_8757:                             ;   in Loop: Header=BB4_8585 Depth=3
	v_and_b32_e32 v2, 0x7f800000, v14
	v_cmp_ne_u64_e32 vcc, s[76:77], v[2:3]
                                        ; implicit-def: $vgpr29
	s_and_saveexec_b64 s[40:41], vcc
	s_xor_b64 s[48:49], exec, s[40:41]
	s_cbranch_execz .LBB4_8775
; %bb.8758:                             ;   in Loop: Header=BB4_8585 Depth=3
	v_and_b32_e32 v2, 0x7fffffff, v14
	v_cmp_gt_u64_e32 vcc, s[78:79], v[2:3]
	v_and_b32_sdwa v44, v14, s80 dst_sel:DWORD dst_unused:UNUSED_PAD src0_sel:BYTE_3 src1_sel:DWORD
                                        ; implicit-def: $vgpr29
	s_and_saveexec_b64 s[40:41], vcc
	s_xor_b64 s[50:51], exec, s[40:41]
	s_cbranch_execz .LBB4_8772
; %bb.8759:                             ;   in Loop: Header=BB4_8585 Depth=3
	v_cmp_ne_u32_e32 vcc, 0, v14
	v_mov_b32_e32 v29, 0
	s_and_saveexec_b64 s[52:53], vcc
	s_cbranch_execz .LBB4_8771
; %bb.8760:                             ;   in Loop: Header=BB4_8585 Depth=3
	v_bfe_u32 v29, v14, 23, 8
	v_cmp_gt_u32_e64 s[40:41], s83, v29
	v_sub_u32_e32 v1, 0x79, v29
	v_and_b32_e32 v0, 0x7fffff, v14
	v_cmp_eq_u32_e32 vcc, 0, v29
	v_cndmask_b32_e64 v1, 0, v1, s[40:41]
	v_mov_b32_e32 v14, 0x78
	v_or_b32_e32 v2, 0x800000, v0
	v_cndmask_b32_e32 v58, v1, v14, vcc
	v_cndmask_b32_e32 v2, v2, v0, vcc
	v_add_u32_e32 v0, 20, v58
	v_lshlrev_b64 v[0:1], v0, -1
	v_add_u32_e32 v14, 19, v58
	v_lshlrev_b64 v[14:15], v14, 1
	v_bfi_b32 v1, v1, 0, 0
	v_bfi_b32 v0, v0, 0, v2
	v_cmp_eq_u64_e64 s[40:41], v[0:1], v[14:15]
	v_lshrrev_b64 v[14:15], v58, v[2:3]
	v_mov_b32_e32 v16, v15
	v_mov_b32_e32 v15, v14
	s_and_saveexec_b64 s[54:55], s[40:41]
; %bb.8761:                             ;   in Loop: Header=BB4_8585 Depth=3
	v_bfe_u32 v0, v14, 20, 1
	v_add_co_u32_e64 v0, s[40:41], v14, v0
	v_add_co_u32_e64 v15, s[40:41], -1, v0
; %bb.8762:                             ;   in Loop: Header=BB4_8585 Depth=3
	s_or_b64 exec, exec, s[54:55]
	v_add_u32_e32 v0, 0xffffff81, v29
	v_mov_b32_e32 v1, 0xffffff82
	v_cndmask_b32_e32 v0, v0, v1, vcc
	v_lshrrev_b32_e32 v1, 23, v14
	v_add3_u32 v29, v58, v0, v1
	v_add_u32_e32 v0, 6, v29
	v_and_b32_e32 v1, 0xfffff, v15
	v_add_u32_e32 v2, v1, v14
	v_cmp_ne_u32_e32 vcc, 0, v0
                                        ; implicit-def: $vgpr14_vgpr15
                                        ; implicit-def: $vgpr16
	s_and_saveexec_b64 s[40:41], vcc
	s_xor_b64 s[40:41], exec, s[40:41]
; %bb.8763:                             ;   in Loop: Header=BB4_8585 Depth=3
	v_cmp_lt_u64_e32 vcc, s[88:89], v[2:3]
	v_add_u32_e32 v1, 7, v29
	v_cndmask_b32_e32 v16, v0, v1, vcc
	v_cndmask_b32_e64 v0, 0, 1, vcc
	v_lshrrev_b64 v[14:15], v0, v[2:3]
; %bb.8764:                             ;   in Loop: Header=BB4_8585 Depth=3
	s_andn2_saveexec_b64 s[40:41], s[40:41]
; %bb.8765:                             ;   in Loop: Header=BB4_8585 Depth=3
	v_mov_b32_e32 v15, v3
	v_bfe_u32 v16, v2, 23, 1
	v_mov_b32_e32 v14, v2
; %bb.8766:                             ;   in Loop: Header=BB4_8585 Depth=3
	s_or_b64 exec, exec, s[40:41]
	v_lshrrev_b64 v[0:1], 20, v[14:15]
	v_cmp_gt_i32_e32 vcc, 16, v16
	v_cndmask_b32_e32 v15, 0, v1, vcc
	v_cndmask_b32_e32 v14, 7, v0, vcc
	v_cmp_ne_u64_e32 vcc, 0, v[14:15]
	v_cmp_ne_u32_e64 s[40:41], 0, v16
	s_or_b64 s[40:41], s[40:41], vcc
                                        ; implicit-def: $vgpr29
	s_and_saveexec_b64 vcc, s[40:41]
	s_xor_b64 s[40:41], exec, vcc
; %bb.8767:                             ;   in Loop: Header=BB4_8585 Depth=3
	v_min_i32_e32 v0, 15, v16
	v_lshl_or_b32 v0, v0, 3, v44
	v_and_or_b32 v29, v14, 7, v0
                                        ; implicit-def: $vgpr44
; %bb.8768:                             ;   in Loop: Header=BB4_8585 Depth=3
	s_andn2_saveexec_b64 s[40:41], s[40:41]
; %bb.8769:                             ;   in Loop: Header=BB4_8585 Depth=3
	v_mov_b32_e32 v29, v44
; %bb.8770:                             ;   in Loop: Header=BB4_8585 Depth=3
	s_or_b64 exec, exec, s[40:41]
.LBB4_8771:                             ;   in Loop: Header=BB4_8585 Depth=3
	s_or_b64 exec, exec, s[52:53]
                                        ; implicit-def: $vgpr44
.LBB4_8772:                             ;   in Loop: Header=BB4_8585 Depth=3
	s_andn2_saveexec_b64 s[40:41], s[50:51]
; %bb.8773:                             ;   in Loop: Header=BB4_8585 Depth=3
	v_or_b32_e32 v29, 0x7e, v44
; %bb.8774:                             ;   in Loop: Header=BB4_8585 Depth=3
	s_or_b64 exec, exec, s[40:41]
                                        ; implicit-def: $vgpr14
.LBB4_8775:                             ;   in Loop: Header=BB4_8585 Depth=3
	s_andn2_saveexec_b64 s[40:41], s[48:49]
; %bb.8776:                             ;   in Loop: Header=BB4_8585 Depth=3
	v_or_b32_sdwa v29, v14, s81 dst_sel:DWORD dst_unused:UNUSED_PAD src0_sel:BYTE_3 src1_sel:DWORD
; %bb.8777:                             ;   in Loop: Header=BB4_8585 Depth=3
	s_or_b64 exec, exec, s[40:41]
	v_and_b32_e32 v2, 0xff, v42
	v_cmp_ne_u16_e64 s[40:41], 0, v2
	s_and_b64 vcc, exec, s[28:29]
	s_mov_b64 s[48:49], -1
                                        ; implicit-def: $vgpr14
	s_cbranch_vccnz .LBB4_8791
; %bb.8778:                             ;   in Loop: Header=BB4_8585 Depth=3
	v_mov_b32_e32 v16, 0
	v_mov_b32_e32 v15, 0
	s_and_saveexec_b64 s[48:49], s[40:41]
	s_cbranch_execz .LBB4_8784
; %bb.8779:                             ;   in Loop: Header=BB4_8585 Depth=3
	v_cmp_ne_u16_e32 vcc, s80, v2
	v_bfrev_b32_e32 v15, 1
	s_and_saveexec_b64 s[50:51], vcc
	s_cbranch_execz .LBB4_8783
; %bb.8780:                             ;   in Loop: Header=BB4_8585 Depth=3
	v_and_b32_e32 v0, 0x7f, v42
	v_cmp_ne_u32_e32 vcc, s81, v0
	v_mov_b32_e32 v15, 0x7f800001
	s_and_saveexec_b64 s[52:53], vcc
	s_cbranch_execz .LBB4_8782
; %bb.8781:                             ;   in Loop: Header=BB4_8585 Depth=3
	v_and_b32_e32 v14, 7, v2
	v_lshrrev_b32_e32 v15, 3, v0
	v_cmp_gt_u32_e32 vcc, 8, v0
	v_ffbh_u32_e32 v0, v14
	v_min_u32_e32 v40, 32, v0
	v_subrev_u32_e32 v0, 28, v40
	v_lshlrev_b64 v[0:1], v0, v[2:3]
	v_sub_u32_e32 v1, 29, v40
	v_and_b32_e32 v0, 7, v0
	v_cndmask_b32_e32 v1, v15, v1, vcc
	v_cndmask_b32_e32 v0, v14, v0, vcc
	v_lshlrev_b32_e32 v14, 24, v42
	v_lshlrev_b32_e32 v0, 20, v0
	v_and_b32_e32 v14, 0x80000000, v14
	v_lshl_add_u32 v1, v1, 23, v54
	v_or3_b32 v15, v14, v1, v0
.LBB4_8782:                             ;   in Loop: Header=BB4_8585 Depth=3
	s_or_b64 exec, exec, s[52:53]
.LBB4_8783:                             ;   in Loop: Header=BB4_8585 Depth=3
	s_or_b64 exec, exec, s[50:51]
.LBB4_8784:                             ;   in Loop: Header=BB4_8585 Depth=3
	s_or_b64 exec, exec, s[48:49]
	v_and_b32_e32 v14, 0xff, v34
	v_cmp_ne_u16_e32 vcc, 0, v14
	s_and_saveexec_b64 s[48:49], vcc
	s_cbranch_execz .LBB4_8790
; %bb.8785:                             ;   in Loop: Header=BB4_8585 Depth=3
	v_cmp_ne_u16_e32 vcc, s80, v14
	v_bfrev_b32_e32 v16, 1
	s_and_saveexec_b64 s[50:51], vcc
	s_cbranch_execz .LBB4_8789
; %bb.8786:                             ;   in Loop: Header=BB4_8585 Depth=3
	v_and_b32_e32 v0, 0x7f, v34
	v_cmp_ne_u32_e32 vcc, s81, v0
	v_mov_b32_e32 v16, 0x7f800001
	s_and_saveexec_b64 s[52:53], vcc
	s_cbranch_execz .LBB4_8788
; %bb.8787:                             ;   in Loop: Header=BB4_8585 Depth=3
	v_and_b32_e32 v16, 7, v14
	v_lshrrev_b32_e32 v40, 3, v0
	v_cmp_gt_u32_e32 vcc, 8, v0
	v_ffbh_u32_e32 v0, v16
	s_waitcnt vmcnt(0)
	v_min_u32_e32 v41, 32, v0
	v_subrev_u32_e32 v0, 28, v41
	v_lshlrev_b64 v[0:1], v0, v[14:15]
	v_sub_u32_e32 v1, 29, v41
	buffer_load_dword v41, off, s[0:3], s33 offset:200 ; 4-byte Folded Reload
	v_and_b32_e32 v0, 7, v0
	v_cndmask_b32_e32 v1, v40, v1, vcc
	v_cndmask_b32_e32 v0, v16, v0, vcc
	v_lshlrev_b32_e32 v14, 24, v34
	v_lshlrev_b32_e32 v0, 20, v0
	v_and_b32_e32 v14, 0x80000000, v14
	v_lshl_add_u32 v1, v1, 23, v54
	v_or3_b32 v16, v14, v1, v0
.LBB4_8788:                             ;   in Loop: Header=BB4_8585 Depth=3
	s_or_b64 exec, exec, s[52:53]
.LBB4_8789:                             ;   in Loop: Header=BB4_8585 Depth=3
	s_or_b64 exec, exec, s[50:51]
.LBB4_8790:                             ;   in Loop: Header=BB4_8585 Depth=3
	s_or_b64 exec, exec, s[48:49]
	v_max_f32_e32 v0, v16, v16
	v_max_f32_e32 v1, v15, v15
	;; [unrolled: 1-line block ×3, first 2 shown]
	s_mov_b64 s[48:49], 0
.LBB4_8791:                             ;   in Loop: Header=BB4_8585 Depth=3
	s_and_b64 vcc, exec, s[48:49]
	s_cbranch_vccz .LBB4_8805
; %bb.8792:                             ;   in Loop: Header=BB4_8585 Depth=3
	v_mov_b32_e32 v15, 0
	v_mov_b32_e32 v14, 0
	s_and_saveexec_b64 s[48:49], s[40:41]
	s_cbranch_execz .LBB4_8798
; %bb.8793:                             ;   in Loop: Header=BB4_8585 Depth=3
	v_cmp_ne_u16_e32 vcc, s80, v2
	v_bfrev_b32_e32 v14, 1
	s_and_saveexec_b64 s[40:41], vcc
	s_cbranch_execz .LBB4_8797
; %bb.8794:                             ;   in Loop: Header=BB4_8585 Depth=3
	v_and_b32_e32 v0, 0x7f, v42
	v_cmp_ne_u32_e32 vcc, s81, v0
	v_mov_b32_e32 v14, 0x7f800001
	s_and_saveexec_b64 s[50:51], vcc
	s_cbranch_execz .LBB4_8796
; %bb.8795:                             ;   in Loop: Header=BB4_8585 Depth=3
	v_and_b32_e32 v14, 7, v2
	v_lshrrev_b32_e32 v16, 3, v0
	v_cmp_gt_u32_e32 vcc, 8, v0
	v_ffbh_u32_e32 v0, v14
	v_min_u32_e32 v40, 32, v0
	v_subrev_u32_e32 v0, 28, v40
	v_lshlrev_b64 v[0:1], v0, v[2:3]
	v_sub_u32_e32 v1, 29, v40
	v_and_b32_e32 v0, 7, v0
	v_cndmask_b32_e32 v1, v16, v1, vcc
	v_cndmask_b32_e32 v0, v14, v0, vcc
	v_lshlrev_b32_e32 v2, 24, v42
	v_lshlrev_b32_e32 v0, 20, v0
	v_and_b32_e32 v2, 0x80000000, v2
	v_lshl_add_u32 v1, v1, 23, v54
	v_or3_b32 v14, v2, v1, v0
.LBB4_8796:                             ;   in Loop: Header=BB4_8585 Depth=3
	s_or_b64 exec, exec, s[50:51]
.LBB4_8797:                             ;   in Loop: Header=BB4_8585 Depth=3
	s_or_b64 exec, exec, s[40:41]
.LBB4_8798:                             ;   in Loop: Header=BB4_8585 Depth=3
	s_or_b64 exec, exec, s[48:49]
	v_and_b32_e32 v2, 0xff, v34
	v_cmp_ne_u16_e32 vcc, 0, v2
	s_and_saveexec_b64 s[40:41], vcc
	s_cbranch_execz .LBB4_8804
; %bb.8799:                             ;   in Loop: Header=BB4_8585 Depth=3
	v_cmp_ne_u16_e32 vcc, s80, v2
	v_bfrev_b32_e32 v15, 1
	s_and_saveexec_b64 s[48:49], vcc
	s_cbranch_execz .LBB4_8803
; %bb.8800:                             ;   in Loop: Header=BB4_8585 Depth=3
	v_and_b32_e32 v0, 0x7f, v34
	v_cmp_ne_u32_e32 vcc, s81, v0
	v_mov_b32_e32 v15, 0x7f800001
	s_and_saveexec_b64 s[50:51], vcc
	s_cbranch_execz .LBB4_8802
; %bb.8801:                             ;   in Loop: Header=BB4_8585 Depth=3
	v_and_b32_e32 v15, 7, v2
	v_lshrrev_b32_e32 v16, 3, v0
	v_cmp_gt_u32_e32 vcc, 8, v0
	v_ffbh_u32_e32 v0, v15
	v_min_u32_e32 v40, 32, v0
	v_subrev_u32_e32 v0, 28, v40
	v_lshlrev_b64 v[0:1], v0, v[2:3]
	v_sub_u32_e32 v1, 29, v40
	v_and_b32_e32 v0, 7, v0
	v_cndmask_b32_e32 v1, v16, v1, vcc
	v_cndmask_b32_e32 v0, v15, v0, vcc
	v_lshlrev_b32_e32 v2, 24, v34
	v_lshlrev_b32_e32 v0, 20, v0
	v_and_b32_e32 v2, 0x80000000, v2
	v_lshl_add_u32 v1, v1, 23, v54
	v_or3_b32 v15, v2, v1, v0
.LBB4_8802:                             ;   in Loop: Header=BB4_8585 Depth=3
	s_or_b64 exec, exec, s[50:51]
.LBB4_8803:                             ;   in Loop: Header=BB4_8585 Depth=3
	s_or_b64 exec, exec, s[48:49]
.LBB4_8804:                             ;   in Loop: Header=BB4_8585 Depth=3
	s_or_b64 exec, exec, s[40:41]
	v_max_f32_e32 v0, v15, v15
	v_max_f32_e32 v1, v14, v14
	v_min_f32_e32 v14, v1, v0
.LBB4_8805:                             ;   in Loop: Header=BB4_8585 Depth=3
	v_and_b32_e32 v2, 0x7f800000, v14
	v_cmp_ne_u64_e32 vcc, s[76:77], v[2:3]
                                        ; implicit-def: $vgpr34
	s_and_saveexec_b64 s[40:41], vcc
	s_xor_b64 s[48:49], exec, s[40:41]
	s_cbranch_execz .LBB4_8823
; %bb.8806:                             ;   in Loop: Header=BB4_8585 Depth=3
	v_and_b32_e32 v2, 0x7fffffff, v14
	v_cmp_gt_u64_e32 vcc, s[78:79], v[2:3]
	v_and_b32_sdwa v42, v14, s80 dst_sel:DWORD dst_unused:UNUSED_PAD src0_sel:BYTE_3 src1_sel:DWORD
                                        ; implicit-def: $vgpr34
	s_and_saveexec_b64 s[40:41], vcc
	s_xor_b64 s[50:51], exec, s[40:41]
	s_cbranch_execz .LBB4_8820
; %bb.8807:                             ;   in Loop: Header=BB4_8585 Depth=3
	v_cmp_ne_u32_e32 vcc, 0, v14
	v_mov_b32_e32 v34, 0
	s_and_saveexec_b64 s[52:53], vcc
	s_cbranch_execz .LBB4_8819
; %bb.8808:                             ;   in Loop: Header=BB4_8585 Depth=3
	v_bfe_u32 v34, v14, 23, 8
	v_cmp_gt_u32_e64 s[40:41], s83, v34
	v_sub_u32_e32 v1, 0x79, v34
	v_and_b32_e32 v0, 0x7fffff, v14
	v_cmp_eq_u32_e32 vcc, 0, v34
	v_cndmask_b32_e64 v1, 0, v1, s[40:41]
	v_mov_b32_e32 v14, 0x78
	v_or_b32_e32 v2, 0x800000, v0
	v_cndmask_b32_e32 v44, v1, v14, vcc
	v_cndmask_b32_e32 v2, v2, v0, vcc
	v_add_u32_e32 v0, 20, v44
	v_lshlrev_b64 v[0:1], v0, -1
	v_add_u32_e32 v14, 19, v44
	v_lshlrev_b64 v[14:15], v14, 1
	v_bfi_b32 v1, v1, 0, 0
	v_bfi_b32 v0, v0, 0, v2
	v_cmp_eq_u64_e64 s[40:41], v[0:1], v[14:15]
	v_lshrrev_b64 v[14:15], v44, v[2:3]
	v_mov_b32_e32 v16, v15
	v_mov_b32_e32 v15, v14
	s_and_saveexec_b64 s[54:55], s[40:41]
; %bb.8809:                             ;   in Loop: Header=BB4_8585 Depth=3
	v_bfe_u32 v0, v14, 20, 1
	v_add_co_u32_e64 v0, s[40:41], v14, v0
	v_add_co_u32_e64 v15, s[40:41], -1, v0
; %bb.8810:                             ;   in Loop: Header=BB4_8585 Depth=3
	s_or_b64 exec, exec, s[54:55]
	v_add_u32_e32 v0, 0xffffff81, v34
	v_mov_b32_e32 v1, 0xffffff82
	v_cndmask_b32_e32 v0, v0, v1, vcc
	v_lshrrev_b32_e32 v1, 23, v14
	v_add3_u32 v34, v44, v0, v1
	v_add_u32_e32 v0, 6, v34
	v_and_b32_e32 v1, 0xfffff, v15
	v_add_u32_e32 v2, v1, v14
	v_cmp_ne_u32_e32 vcc, 0, v0
                                        ; implicit-def: $vgpr14_vgpr15
                                        ; implicit-def: $vgpr16
	s_and_saveexec_b64 s[40:41], vcc
	s_xor_b64 s[40:41], exec, s[40:41]
; %bb.8811:                             ;   in Loop: Header=BB4_8585 Depth=3
	v_cmp_lt_u64_e32 vcc, s[88:89], v[2:3]
	v_add_u32_e32 v1, 7, v34
	v_cndmask_b32_e32 v16, v0, v1, vcc
	v_cndmask_b32_e64 v0, 0, 1, vcc
	v_lshrrev_b64 v[14:15], v0, v[2:3]
; %bb.8812:                             ;   in Loop: Header=BB4_8585 Depth=3
	s_andn2_saveexec_b64 s[40:41], s[40:41]
; %bb.8813:                             ;   in Loop: Header=BB4_8585 Depth=3
	v_mov_b32_e32 v15, v3
	v_bfe_u32 v16, v2, 23, 1
	v_mov_b32_e32 v14, v2
; %bb.8814:                             ;   in Loop: Header=BB4_8585 Depth=3
	s_or_b64 exec, exec, s[40:41]
	v_lshrrev_b64 v[0:1], 20, v[14:15]
	v_cmp_gt_i32_e32 vcc, 16, v16
	v_cndmask_b32_e32 v15, 0, v1, vcc
	v_cndmask_b32_e32 v14, 7, v0, vcc
	v_cmp_ne_u64_e32 vcc, 0, v[14:15]
	v_cmp_ne_u32_e64 s[40:41], 0, v16
	s_or_b64 s[40:41], s[40:41], vcc
                                        ; implicit-def: $vgpr34
	s_and_saveexec_b64 vcc, s[40:41]
	s_xor_b64 s[40:41], exec, vcc
; %bb.8815:                             ;   in Loop: Header=BB4_8585 Depth=3
	v_min_i32_e32 v0, 15, v16
	v_lshl_or_b32 v0, v0, 3, v42
	v_and_or_b32 v34, v14, 7, v0
                                        ; implicit-def: $vgpr42
; %bb.8816:                             ;   in Loop: Header=BB4_8585 Depth=3
	s_andn2_saveexec_b64 s[40:41], s[40:41]
; %bb.8817:                             ;   in Loop: Header=BB4_8585 Depth=3
	v_mov_b32_e32 v34, v42
; %bb.8818:                             ;   in Loop: Header=BB4_8585 Depth=3
	s_or_b64 exec, exec, s[40:41]
.LBB4_8819:                             ;   in Loop: Header=BB4_8585 Depth=3
	s_or_b64 exec, exec, s[52:53]
                                        ; implicit-def: $vgpr42
.LBB4_8820:                             ;   in Loop: Header=BB4_8585 Depth=3
	s_andn2_saveexec_b64 s[40:41], s[50:51]
; %bb.8821:                             ;   in Loop: Header=BB4_8585 Depth=3
	v_or_b32_e32 v34, 0x7e, v42
; %bb.8822:                             ;   in Loop: Header=BB4_8585 Depth=3
	s_or_b64 exec, exec, s[40:41]
                                        ; implicit-def: $vgpr14
.LBB4_8823:                             ;   in Loop: Header=BB4_8585 Depth=3
	s_andn2_saveexec_b64 s[40:41], s[48:49]
; %bb.8824:                             ;   in Loop: Header=BB4_8585 Depth=3
	v_or_b32_sdwa v34, v14, s81 dst_sel:DWORD dst_unused:UNUSED_PAD src0_sel:BYTE_3 src1_sel:DWORD
; %bb.8825:                             ;   in Loop: Header=BB4_8585 Depth=3
	s_or_b64 exec, exec, s[40:41]
	v_and_b32_e32 v2, 0xff, v55
	v_cmp_ne_u16_e64 s[40:41], 0, v2
	s_and_b64 vcc, exec, s[28:29]
	s_mov_b64 s[48:49], -1
                                        ; implicit-def: $vgpr14
	s_cbranch_vccnz .LBB4_8839
; %bb.8826:                             ;   in Loop: Header=BB4_8585 Depth=3
	v_mov_b32_e32 v16, 0
	v_mov_b32_e32 v15, 0
	s_and_saveexec_b64 s[48:49], s[40:41]
	s_cbranch_execz .LBB4_8832
; %bb.8827:                             ;   in Loop: Header=BB4_8585 Depth=3
	v_cmp_ne_u16_e32 vcc, s80, v2
	v_bfrev_b32_e32 v15, 1
	s_and_saveexec_b64 s[50:51], vcc
	s_cbranch_execz .LBB4_8831
; %bb.8828:                             ;   in Loop: Header=BB4_8585 Depth=3
	v_and_b32_e32 v0, 0x7f, v55
	v_cmp_ne_u32_e32 vcc, s81, v0
	v_mov_b32_e32 v15, 0x7f800001
	s_and_saveexec_b64 s[52:53], vcc
	s_cbranch_execz .LBB4_8830
; %bb.8829:                             ;   in Loop: Header=BB4_8585 Depth=3
	v_and_b32_e32 v14, 7, v2
	v_lshrrev_b32_e32 v15, 3, v0
	v_cmp_gt_u32_e32 vcc, 8, v0
	v_ffbh_u32_e32 v0, v14
	v_min_u32_e32 v40, 32, v0
	v_subrev_u32_e32 v0, 28, v40
	v_lshlrev_b64 v[0:1], v0, v[2:3]
	v_sub_u32_e32 v1, 29, v40
	v_and_b32_e32 v0, 7, v0
	v_cndmask_b32_e32 v1, v15, v1, vcc
	v_cndmask_b32_e32 v0, v14, v0, vcc
	v_lshlrev_b32_e32 v14, 24, v55
	v_lshlrev_b32_e32 v0, 20, v0
	v_and_b32_e32 v14, 0x80000000, v14
	v_lshl_add_u32 v1, v1, 23, v54
	v_or3_b32 v15, v14, v1, v0
.LBB4_8830:                             ;   in Loop: Header=BB4_8585 Depth=3
	s_or_b64 exec, exec, s[52:53]
.LBB4_8831:                             ;   in Loop: Header=BB4_8585 Depth=3
	s_or_b64 exec, exec, s[50:51]
.LBB4_8832:                             ;   in Loop: Header=BB4_8585 Depth=3
	s_or_b64 exec, exec, s[48:49]
	v_and_b32_e32 v14, 0xff, v37
	v_cmp_ne_u16_e32 vcc, 0, v14
	s_and_saveexec_b64 s[48:49], vcc
	s_cbranch_execz .LBB4_8838
; %bb.8833:                             ;   in Loop: Header=BB4_8585 Depth=3
	v_cmp_ne_u16_e32 vcc, s80, v14
	v_bfrev_b32_e32 v16, 1
	s_and_saveexec_b64 s[50:51], vcc
	s_cbranch_execz .LBB4_8837
; %bb.8834:                             ;   in Loop: Header=BB4_8585 Depth=3
	v_and_b32_e32 v0, 0x7f, v37
	v_cmp_ne_u32_e32 vcc, s81, v0
	v_mov_b32_e32 v16, 0x7f800001
	s_and_saveexec_b64 s[52:53], vcc
	s_cbranch_execz .LBB4_8836
; %bb.8835:                             ;   in Loop: Header=BB4_8585 Depth=3
	v_and_b32_e32 v16, 7, v14
	v_lshrrev_b32_e32 v40, 3, v0
	v_cmp_gt_u32_e32 vcc, 8, v0
	v_ffbh_u32_e32 v0, v16
	s_waitcnt vmcnt(0)
	v_min_u32_e32 v41, 32, v0
	v_subrev_u32_e32 v0, 28, v41
	v_lshlrev_b64 v[0:1], v0, v[14:15]
	v_sub_u32_e32 v1, 29, v41
	buffer_load_dword v41, off, s[0:3], s33 offset:200 ; 4-byte Folded Reload
	v_and_b32_e32 v0, 7, v0
	v_cndmask_b32_e32 v1, v40, v1, vcc
	v_cndmask_b32_e32 v0, v16, v0, vcc
	v_lshlrev_b32_e32 v14, 24, v37
	v_lshlrev_b32_e32 v0, 20, v0
	v_and_b32_e32 v14, 0x80000000, v14
	v_lshl_add_u32 v1, v1, 23, v54
	v_or3_b32 v16, v14, v1, v0
.LBB4_8836:                             ;   in Loop: Header=BB4_8585 Depth=3
	s_or_b64 exec, exec, s[52:53]
.LBB4_8837:                             ;   in Loop: Header=BB4_8585 Depth=3
	s_or_b64 exec, exec, s[50:51]
.LBB4_8838:                             ;   in Loop: Header=BB4_8585 Depth=3
	s_or_b64 exec, exec, s[48:49]
	v_max_f32_e32 v0, v16, v16
	v_max_f32_e32 v1, v15, v15
	;; [unrolled: 1-line block ×3, first 2 shown]
	s_mov_b64 s[48:49], 0
.LBB4_8839:                             ;   in Loop: Header=BB4_8585 Depth=3
	s_and_b64 vcc, exec, s[48:49]
	s_cbranch_vccz .LBB4_8853
; %bb.8840:                             ;   in Loop: Header=BB4_8585 Depth=3
	v_mov_b32_e32 v15, 0
	v_mov_b32_e32 v14, 0
	s_and_saveexec_b64 s[48:49], s[40:41]
	s_cbranch_execz .LBB4_8846
; %bb.8841:                             ;   in Loop: Header=BB4_8585 Depth=3
	v_cmp_ne_u16_e32 vcc, s80, v2
	v_bfrev_b32_e32 v14, 1
	s_and_saveexec_b64 s[40:41], vcc
	s_cbranch_execz .LBB4_8845
; %bb.8842:                             ;   in Loop: Header=BB4_8585 Depth=3
	v_and_b32_e32 v0, 0x7f, v55
	v_cmp_ne_u32_e32 vcc, s81, v0
	v_mov_b32_e32 v14, 0x7f800001
	s_and_saveexec_b64 s[50:51], vcc
	s_cbranch_execz .LBB4_8844
; %bb.8843:                             ;   in Loop: Header=BB4_8585 Depth=3
	v_and_b32_e32 v14, 7, v2
	v_lshrrev_b32_e32 v16, 3, v0
	v_cmp_gt_u32_e32 vcc, 8, v0
	v_ffbh_u32_e32 v0, v14
	v_min_u32_e32 v40, 32, v0
	v_subrev_u32_e32 v0, 28, v40
	v_lshlrev_b64 v[0:1], v0, v[2:3]
	v_sub_u32_e32 v1, 29, v40
	v_and_b32_e32 v0, 7, v0
	v_cndmask_b32_e32 v1, v16, v1, vcc
	v_cndmask_b32_e32 v0, v14, v0, vcc
	v_lshlrev_b32_e32 v2, 24, v55
	v_lshlrev_b32_e32 v0, 20, v0
	v_and_b32_e32 v2, 0x80000000, v2
	v_lshl_add_u32 v1, v1, 23, v54
	v_or3_b32 v14, v2, v1, v0
.LBB4_8844:                             ;   in Loop: Header=BB4_8585 Depth=3
	s_or_b64 exec, exec, s[50:51]
.LBB4_8845:                             ;   in Loop: Header=BB4_8585 Depth=3
	s_or_b64 exec, exec, s[40:41]
.LBB4_8846:                             ;   in Loop: Header=BB4_8585 Depth=3
	s_or_b64 exec, exec, s[48:49]
	v_and_b32_e32 v2, 0xff, v37
	v_cmp_ne_u16_e32 vcc, 0, v2
	s_and_saveexec_b64 s[40:41], vcc
	s_cbranch_execz .LBB4_8852
; %bb.8847:                             ;   in Loop: Header=BB4_8585 Depth=3
	v_cmp_ne_u16_e32 vcc, s80, v2
	v_bfrev_b32_e32 v15, 1
	s_and_saveexec_b64 s[48:49], vcc
	s_cbranch_execz .LBB4_8851
; %bb.8848:                             ;   in Loop: Header=BB4_8585 Depth=3
	v_and_b32_e32 v0, 0x7f, v37
	v_cmp_ne_u32_e32 vcc, s81, v0
	v_mov_b32_e32 v15, 0x7f800001
	s_and_saveexec_b64 s[50:51], vcc
	s_cbranch_execz .LBB4_8850
; %bb.8849:                             ;   in Loop: Header=BB4_8585 Depth=3
	v_and_b32_e32 v15, 7, v2
	v_lshrrev_b32_e32 v16, 3, v0
	v_cmp_gt_u32_e32 vcc, 8, v0
	v_ffbh_u32_e32 v0, v15
	v_min_u32_e32 v55, 32, v0
	v_subrev_u32_e32 v0, 28, v55
	v_lshlrev_b64 v[0:1], v0, v[2:3]
	v_sub_u32_e32 v1, 29, v55
	v_and_b32_e32 v0, 7, v0
	v_cndmask_b32_e32 v1, v16, v1, vcc
	v_cndmask_b32_e32 v0, v15, v0, vcc
	v_lshlrev_b32_e32 v2, 24, v37
	v_lshlrev_b32_e32 v0, 20, v0
	v_and_b32_e32 v2, 0x80000000, v2
	v_lshl_add_u32 v1, v1, 23, v54
	v_or3_b32 v15, v2, v1, v0
.LBB4_8850:                             ;   in Loop: Header=BB4_8585 Depth=3
	s_or_b64 exec, exec, s[50:51]
.LBB4_8851:                             ;   in Loop: Header=BB4_8585 Depth=3
	s_or_b64 exec, exec, s[48:49]
.LBB4_8852:                             ;   in Loop: Header=BB4_8585 Depth=3
	s_or_b64 exec, exec, s[40:41]
	v_max_f32_e32 v0, v15, v15
	v_max_f32_e32 v1, v14, v14
	v_min_f32_e32 v14, v1, v0
.LBB4_8853:                             ;   in Loop: Header=BB4_8585 Depth=3
	v_and_b32_e32 v2, 0x7f800000, v14
	v_cmp_ne_u64_e32 vcc, s[76:77], v[2:3]
                                        ; implicit-def: $vgpr37
	s_and_saveexec_b64 s[40:41], vcc
	s_xor_b64 s[48:49], exec, s[40:41]
	s_cbranch_execz .LBB4_8871
; %bb.8854:                             ;   in Loop: Header=BB4_8585 Depth=3
	v_and_b32_e32 v2, 0x7fffffff, v14
	v_cmp_gt_u64_e32 vcc, s[78:79], v[2:3]
	v_and_b32_sdwa v55, v14, s80 dst_sel:DWORD dst_unused:UNUSED_PAD src0_sel:BYTE_3 src1_sel:DWORD
                                        ; implicit-def: $vgpr37
	s_and_saveexec_b64 s[40:41], vcc
	s_xor_b64 s[50:51], exec, s[40:41]
	s_cbranch_execz .LBB4_8868
; %bb.8855:                             ;   in Loop: Header=BB4_8585 Depth=3
	v_cmp_ne_u32_e32 vcc, 0, v14
	v_mov_b32_e32 v37, 0
	s_and_saveexec_b64 s[52:53], vcc
	s_cbranch_execz .LBB4_8867
; %bb.8856:                             ;   in Loop: Header=BB4_8585 Depth=3
	v_bfe_u32 v37, v14, 23, 8
	v_cmp_gt_u32_e64 s[40:41], s83, v37
	v_sub_u32_e32 v1, 0x79, v37
	v_and_b32_e32 v0, 0x7fffff, v14
	v_cmp_eq_u32_e32 vcc, 0, v37
	v_cndmask_b32_e64 v1, 0, v1, s[40:41]
	v_mov_b32_e32 v14, 0x78
	v_or_b32_e32 v2, 0x800000, v0
	v_cndmask_b32_e32 v42, v1, v14, vcc
	v_cndmask_b32_e32 v2, v2, v0, vcc
	v_add_u32_e32 v0, 20, v42
	v_lshlrev_b64 v[0:1], v0, -1
	v_add_u32_e32 v14, 19, v42
	v_lshlrev_b64 v[14:15], v14, 1
	v_bfi_b32 v1, v1, 0, 0
	v_bfi_b32 v0, v0, 0, v2
	v_cmp_eq_u64_e64 s[40:41], v[0:1], v[14:15]
	v_lshrrev_b64 v[14:15], v42, v[2:3]
	v_mov_b32_e32 v16, v15
	v_mov_b32_e32 v15, v14
	s_and_saveexec_b64 s[54:55], s[40:41]
; %bb.8857:                             ;   in Loop: Header=BB4_8585 Depth=3
	v_bfe_u32 v0, v14, 20, 1
	v_add_co_u32_e64 v0, s[40:41], v14, v0
	v_add_co_u32_e64 v15, s[40:41], -1, v0
; %bb.8858:                             ;   in Loop: Header=BB4_8585 Depth=3
	s_or_b64 exec, exec, s[54:55]
	v_add_u32_e32 v0, 0xffffff81, v37
	v_mov_b32_e32 v1, 0xffffff82
	v_cndmask_b32_e32 v0, v0, v1, vcc
	v_lshrrev_b32_e32 v1, 23, v14
	v_add3_u32 v37, v42, v0, v1
	v_add_u32_e32 v0, 6, v37
	v_and_b32_e32 v1, 0xfffff, v15
	v_add_u32_e32 v2, v1, v14
	v_cmp_ne_u32_e32 vcc, 0, v0
                                        ; implicit-def: $vgpr14_vgpr15
                                        ; implicit-def: $vgpr16
	s_and_saveexec_b64 s[40:41], vcc
	s_xor_b64 s[40:41], exec, s[40:41]
; %bb.8859:                             ;   in Loop: Header=BB4_8585 Depth=3
	v_cmp_lt_u64_e32 vcc, s[88:89], v[2:3]
	v_add_u32_e32 v1, 7, v37
	v_cndmask_b32_e32 v16, v0, v1, vcc
	v_cndmask_b32_e64 v0, 0, 1, vcc
	v_lshrrev_b64 v[14:15], v0, v[2:3]
; %bb.8860:                             ;   in Loop: Header=BB4_8585 Depth=3
	s_andn2_saveexec_b64 s[40:41], s[40:41]
; %bb.8861:                             ;   in Loop: Header=BB4_8585 Depth=3
	v_mov_b32_e32 v15, v3
	v_bfe_u32 v16, v2, 23, 1
	v_mov_b32_e32 v14, v2
; %bb.8862:                             ;   in Loop: Header=BB4_8585 Depth=3
	s_or_b64 exec, exec, s[40:41]
	v_lshrrev_b64 v[0:1], 20, v[14:15]
	v_cmp_gt_i32_e32 vcc, 16, v16
	v_cndmask_b32_e32 v15, 0, v1, vcc
	v_cndmask_b32_e32 v14, 7, v0, vcc
	v_cmp_ne_u64_e32 vcc, 0, v[14:15]
	v_cmp_ne_u32_e64 s[40:41], 0, v16
	s_or_b64 s[40:41], s[40:41], vcc
                                        ; implicit-def: $vgpr37
	s_and_saveexec_b64 vcc, s[40:41]
	s_xor_b64 s[40:41], exec, vcc
; %bb.8863:                             ;   in Loop: Header=BB4_8585 Depth=3
	v_min_i32_e32 v0, 15, v16
	v_lshl_or_b32 v0, v0, 3, v55
	v_and_or_b32 v37, v14, 7, v0
                                        ; implicit-def: $vgpr55
; %bb.8864:                             ;   in Loop: Header=BB4_8585 Depth=3
	s_andn2_saveexec_b64 s[40:41], s[40:41]
; %bb.8865:                             ;   in Loop: Header=BB4_8585 Depth=3
	v_mov_b32_e32 v37, v55
; %bb.8866:                             ;   in Loop: Header=BB4_8585 Depth=3
	s_or_b64 exec, exec, s[40:41]
.LBB4_8867:                             ;   in Loop: Header=BB4_8585 Depth=3
	s_or_b64 exec, exec, s[52:53]
                                        ; implicit-def: $vgpr55
.LBB4_8868:                             ;   in Loop: Header=BB4_8585 Depth=3
	s_andn2_saveexec_b64 s[40:41], s[50:51]
; %bb.8869:                             ;   in Loop: Header=BB4_8585 Depth=3
	v_or_b32_e32 v37, 0x7e, v55
; %bb.8870:                             ;   in Loop: Header=BB4_8585 Depth=3
	s_or_b64 exec, exec, s[40:41]
                                        ; implicit-def: $vgpr14
.LBB4_8871:                             ;   in Loop: Header=BB4_8585 Depth=3
	s_andn2_saveexec_b64 s[40:41], s[48:49]
; %bb.8872:                             ;   in Loop: Header=BB4_8585 Depth=3
	v_or_b32_sdwa v37, v14, s81 dst_sel:DWORD dst_unused:UNUSED_PAD src0_sel:BYTE_3 src1_sel:DWORD
; %bb.8873:                             ;   in Loop: Header=BB4_8585 Depth=3
	s_or_b64 exec, exec, s[40:41]
	v_and_b32_e32 v2, 0xff, v43
	v_cmp_ne_u16_e64 s[40:41], 0, v2
	s_and_b64 vcc, exec, s[28:29]
	s_mov_b64 s[48:49], -1
                                        ; implicit-def: $vgpr14
	s_cbranch_vccnz .LBB4_8887
; %bb.8874:                             ;   in Loop: Header=BB4_8585 Depth=3
	v_mov_b32_e32 v16, 0
	v_mov_b32_e32 v15, 0
	s_and_saveexec_b64 s[48:49], s[40:41]
	s_cbranch_execz .LBB4_8880
; %bb.8875:                             ;   in Loop: Header=BB4_8585 Depth=3
	v_cmp_ne_u16_e32 vcc, s80, v2
	v_bfrev_b32_e32 v15, 1
	s_and_saveexec_b64 s[50:51], vcc
	s_cbranch_execz .LBB4_8879
; %bb.8876:                             ;   in Loop: Header=BB4_8585 Depth=3
	v_and_b32_e32 v0, 0x7f, v43
	v_cmp_ne_u32_e32 vcc, s81, v0
	v_mov_b32_e32 v15, 0x7f800001
	s_and_saveexec_b64 s[52:53], vcc
	s_cbranch_execz .LBB4_8878
; %bb.8877:                             ;   in Loop: Header=BB4_8585 Depth=3
	v_and_b32_e32 v14, 7, v2
	v_lshrrev_b32_e32 v15, 3, v0
	v_cmp_gt_u32_e32 vcc, 8, v0
	v_ffbh_u32_e32 v0, v14
	v_min_u32_e32 v55, 32, v0
	v_subrev_u32_e32 v0, 28, v55
	v_lshlrev_b64 v[0:1], v0, v[2:3]
	v_sub_u32_e32 v1, 29, v55
	v_and_b32_e32 v0, 7, v0
	v_cndmask_b32_e32 v1, v15, v1, vcc
	v_cndmask_b32_e32 v0, v14, v0, vcc
	v_lshlrev_b32_e32 v14, 24, v43
	v_lshlrev_b32_e32 v0, 20, v0
	v_and_b32_e32 v14, 0x80000000, v14
	v_lshl_add_u32 v1, v1, 23, v54
	v_or3_b32 v15, v14, v1, v0
.LBB4_8878:                             ;   in Loop: Header=BB4_8585 Depth=3
	s_or_b64 exec, exec, s[52:53]
.LBB4_8879:                             ;   in Loop: Header=BB4_8585 Depth=3
	s_or_b64 exec, exec, s[50:51]
.LBB4_8880:                             ;   in Loop: Header=BB4_8585 Depth=3
	s_or_b64 exec, exec, s[48:49]
	v_and_b32_e32 v14, 0xff, v53
	v_cmp_ne_u16_e32 vcc, 0, v14
	s_and_saveexec_b64 s[48:49], vcc
	s_cbranch_execz .LBB4_8886
; %bb.8881:                             ;   in Loop: Header=BB4_8585 Depth=3
	v_cmp_ne_u16_e32 vcc, s80, v14
	v_bfrev_b32_e32 v16, 1
	s_and_saveexec_b64 s[50:51], vcc
	s_cbranch_execz .LBB4_8885
; %bb.8882:                             ;   in Loop: Header=BB4_8585 Depth=3
	v_and_b32_e32 v0, 0x7f, v53
	v_cmp_ne_u32_e32 vcc, s81, v0
	v_mov_b32_e32 v16, 0x7f800001
	s_and_saveexec_b64 s[52:53], vcc
	s_cbranch_execz .LBB4_8884
; %bb.8883:                             ;   in Loop: Header=BB4_8585 Depth=3
	v_and_b32_e32 v16, 7, v14
	v_lshrrev_b32_e32 v55, 3, v0
	v_cmp_gt_u32_e32 vcc, 8, v0
	v_ffbh_u32_e32 v0, v16
	v_min_u32_e32 v40, 32, v0
	v_subrev_u32_e32 v0, 28, v40
	v_lshlrev_b64 v[0:1], v0, v[14:15]
	v_sub_u32_e32 v1, 29, v40
	v_and_b32_e32 v0, 7, v0
	v_cndmask_b32_e32 v1, v55, v1, vcc
	v_cndmask_b32_e32 v0, v16, v0, vcc
	v_lshlrev_b32_e32 v14, 24, v53
	v_lshlrev_b32_e32 v0, 20, v0
	v_and_b32_e32 v14, 0x80000000, v14
	v_lshl_add_u32 v1, v1, 23, v54
	v_or3_b32 v16, v14, v1, v0
.LBB4_8884:                             ;   in Loop: Header=BB4_8585 Depth=3
	s_or_b64 exec, exec, s[52:53]
.LBB4_8885:                             ;   in Loop: Header=BB4_8585 Depth=3
	s_or_b64 exec, exec, s[50:51]
.LBB4_8886:                             ;   in Loop: Header=BB4_8585 Depth=3
	s_or_b64 exec, exec, s[48:49]
	v_max_f32_e32 v0, v16, v16
	v_max_f32_e32 v1, v15, v15
	;; [unrolled: 1-line block ×3, first 2 shown]
	s_mov_b64 s[48:49], 0
.LBB4_8887:                             ;   in Loop: Header=BB4_8585 Depth=3
	s_and_b64 vcc, exec, s[48:49]
	s_cbranch_vccz .LBB4_8901
; %bb.8888:                             ;   in Loop: Header=BB4_8585 Depth=3
	v_mov_b32_e32 v15, 0
	v_mov_b32_e32 v14, 0
	s_and_saveexec_b64 s[48:49], s[40:41]
	s_cbranch_execz .LBB4_8894
; %bb.8889:                             ;   in Loop: Header=BB4_8585 Depth=3
	v_cmp_ne_u16_e32 vcc, s80, v2
	v_bfrev_b32_e32 v14, 1
	s_and_saveexec_b64 s[40:41], vcc
	s_cbranch_execz .LBB4_8893
; %bb.8890:                             ;   in Loop: Header=BB4_8585 Depth=3
	v_and_b32_e32 v0, 0x7f, v43
	v_cmp_ne_u32_e32 vcc, s81, v0
	v_mov_b32_e32 v14, 0x7f800001
	s_and_saveexec_b64 s[50:51], vcc
	s_cbranch_execz .LBB4_8892
; %bb.8891:                             ;   in Loop: Header=BB4_8585 Depth=3
	v_and_b32_e32 v14, 7, v2
	v_lshrrev_b32_e32 v16, 3, v0
	v_cmp_gt_u32_e32 vcc, 8, v0
	v_ffbh_u32_e32 v0, v14
	v_min_u32_e32 v55, 32, v0
	v_subrev_u32_e32 v0, 28, v55
	v_lshlrev_b64 v[0:1], v0, v[2:3]
	v_sub_u32_e32 v1, 29, v55
	v_and_b32_e32 v0, 7, v0
	v_cndmask_b32_e32 v1, v16, v1, vcc
	v_cndmask_b32_e32 v0, v14, v0, vcc
	v_lshlrev_b32_e32 v2, 24, v43
	v_lshlrev_b32_e32 v0, 20, v0
	v_and_b32_e32 v2, 0x80000000, v2
	v_lshl_add_u32 v1, v1, 23, v54
	v_or3_b32 v14, v2, v1, v0
.LBB4_8892:                             ;   in Loop: Header=BB4_8585 Depth=3
	s_or_b64 exec, exec, s[50:51]
.LBB4_8893:                             ;   in Loop: Header=BB4_8585 Depth=3
	s_or_b64 exec, exec, s[40:41]
.LBB4_8894:                             ;   in Loop: Header=BB4_8585 Depth=3
	s_or_b64 exec, exec, s[48:49]
	v_and_b32_e32 v2, 0xff, v53
	v_cmp_ne_u16_e32 vcc, 0, v2
	s_and_saveexec_b64 s[40:41], vcc
	s_cbranch_execz .LBB4_8900
; %bb.8895:                             ;   in Loop: Header=BB4_8585 Depth=3
	v_cmp_ne_u16_e32 vcc, s80, v2
	v_bfrev_b32_e32 v15, 1
	s_and_saveexec_b64 s[48:49], vcc
	s_cbranch_execz .LBB4_8899
; %bb.8896:                             ;   in Loop: Header=BB4_8585 Depth=3
	v_and_b32_e32 v0, 0x7f, v53
	v_cmp_ne_u32_e32 vcc, s81, v0
	v_mov_b32_e32 v15, 0x7f800001
	s_and_saveexec_b64 s[50:51], vcc
	s_cbranch_execz .LBB4_8898
; %bb.8897:                             ;   in Loop: Header=BB4_8585 Depth=3
	v_and_b32_e32 v15, 7, v2
	v_lshrrev_b32_e32 v16, 3, v0
	v_cmp_gt_u32_e32 vcc, 8, v0
	v_ffbh_u32_e32 v0, v15
	v_min_u32_e32 v55, 32, v0
	v_subrev_u32_e32 v0, 28, v55
	v_lshlrev_b64 v[0:1], v0, v[2:3]
	v_sub_u32_e32 v1, 29, v55
	v_and_b32_e32 v0, 7, v0
	v_cndmask_b32_e32 v1, v16, v1, vcc
	v_cndmask_b32_e32 v0, v15, v0, vcc
	v_lshlrev_b32_e32 v2, 24, v53
	v_lshlrev_b32_e32 v0, 20, v0
	v_and_b32_e32 v2, 0x80000000, v2
	v_lshl_add_u32 v1, v1, 23, v54
	v_or3_b32 v15, v2, v1, v0
.LBB4_8898:                             ;   in Loop: Header=BB4_8585 Depth=3
	s_or_b64 exec, exec, s[50:51]
.LBB4_8899:                             ;   in Loop: Header=BB4_8585 Depth=3
	s_or_b64 exec, exec, s[48:49]
.LBB4_8900:                             ;   in Loop: Header=BB4_8585 Depth=3
	s_or_b64 exec, exec, s[40:41]
	v_max_f32_e32 v0, v15, v15
	v_max_f32_e32 v1, v14, v14
	v_min_f32_e32 v14, v1, v0
.LBB4_8901:                             ;   in Loop: Header=BB4_8585 Depth=3
	v_and_b32_e32 v2, 0x7f800000, v14
	v_cmp_ne_u64_e32 vcc, s[76:77], v[2:3]
                                        ; implicit-def: $vgpr53
	s_and_saveexec_b64 s[40:41], vcc
	s_xor_b64 s[48:49], exec, s[40:41]
	s_cbranch_execz .LBB4_8919
; %bb.8902:                             ;   in Loop: Header=BB4_8585 Depth=3
	v_and_b32_e32 v2, 0x7fffffff, v14
	v_cmp_gt_u64_e32 vcc, s[78:79], v[2:3]
	v_and_b32_sdwa v55, v14, s80 dst_sel:DWORD dst_unused:UNUSED_PAD src0_sel:BYTE_3 src1_sel:DWORD
                                        ; implicit-def: $vgpr53
	s_and_saveexec_b64 s[40:41], vcc
	s_xor_b64 s[50:51], exec, s[40:41]
	s_cbranch_execz .LBB4_8916
; %bb.8903:                             ;   in Loop: Header=BB4_8585 Depth=3
	v_cmp_ne_u32_e32 vcc, 0, v14
	v_mov_b32_e32 v53, 0
	s_and_saveexec_b64 s[52:53], vcc
	s_cbranch_execz .LBB4_8915
; %bb.8904:                             ;   in Loop: Header=BB4_8585 Depth=3
	v_bfe_u32 v53, v14, 23, 8
	v_cmp_gt_u32_e64 s[40:41], s83, v53
	v_sub_u32_e32 v1, 0x79, v53
	v_and_b32_e32 v0, 0x7fffff, v14
	v_cmp_eq_u32_e32 vcc, 0, v53
	v_cndmask_b32_e64 v1, 0, v1, s[40:41]
	v_mov_b32_e32 v14, 0x78
	v_or_b32_e32 v2, 0x800000, v0
	v_cndmask_b32_e32 v42, v1, v14, vcc
	v_cndmask_b32_e32 v2, v2, v0, vcc
	v_add_u32_e32 v0, 20, v42
	v_lshlrev_b64 v[0:1], v0, -1
	v_add_u32_e32 v14, 19, v42
	v_lshlrev_b64 v[14:15], v14, 1
	v_bfi_b32 v1, v1, 0, 0
	v_bfi_b32 v0, v0, 0, v2
	v_cmp_eq_u64_e64 s[40:41], v[0:1], v[14:15]
	v_lshrrev_b64 v[14:15], v42, v[2:3]
	v_mov_b32_e32 v16, v15
	v_mov_b32_e32 v15, v14
	s_and_saveexec_b64 s[54:55], s[40:41]
; %bb.8905:                             ;   in Loop: Header=BB4_8585 Depth=3
	v_bfe_u32 v0, v14, 20, 1
	v_add_co_u32_e64 v0, s[40:41], v14, v0
	v_add_co_u32_e64 v15, s[40:41], -1, v0
; %bb.8906:                             ;   in Loop: Header=BB4_8585 Depth=3
	s_or_b64 exec, exec, s[54:55]
	v_add_u32_e32 v0, 0xffffff81, v53
	v_mov_b32_e32 v1, 0xffffff82
	v_cndmask_b32_e32 v0, v0, v1, vcc
	v_lshrrev_b32_e32 v1, 23, v14
	v_add3_u32 v53, v42, v0, v1
	v_add_u32_e32 v0, 6, v53
	v_and_b32_e32 v1, 0xfffff, v15
	v_add_u32_e32 v2, v1, v14
	v_cmp_ne_u32_e32 vcc, 0, v0
                                        ; implicit-def: $vgpr14_vgpr15
                                        ; implicit-def: $vgpr16
	s_and_saveexec_b64 s[40:41], vcc
	s_xor_b64 s[40:41], exec, s[40:41]
; %bb.8907:                             ;   in Loop: Header=BB4_8585 Depth=3
	v_cmp_lt_u64_e32 vcc, s[88:89], v[2:3]
	v_add_u32_e32 v1, 7, v53
	v_cndmask_b32_e32 v16, v0, v1, vcc
	v_cndmask_b32_e64 v0, 0, 1, vcc
	v_lshrrev_b64 v[14:15], v0, v[2:3]
; %bb.8908:                             ;   in Loop: Header=BB4_8585 Depth=3
	s_andn2_saveexec_b64 s[40:41], s[40:41]
; %bb.8909:                             ;   in Loop: Header=BB4_8585 Depth=3
	v_mov_b32_e32 v15, v3
	v_bfe_u32 v16, v2, 23, 1
	v_mov_b32_e32 v14, v2
; %bb.8910:                             ;   in Loop: Header=BB4_8585 Depth=3
	s_or_b64 exec, exec, s[40:41]
	v_lshrrev_b64 v[0:1], 20, v[14:15]
	v_cmp_gt_i32_e32 vcc, 16, v16
	v_cndmask_b32_e32 v15, 0, v1, vcc
	v_cndmask_b32_e32 v14, 7, v0, vcc
	v_cmp_ne_u64_e32 vcc, 0, v[14:15]
	v_cmp_ne_u32_e64 s[40:41], 0, v16
	s_or_b64 s[40:41], s[40:41], vcc
                                        ; implicit-def: $vgpr53
	s_and_saveexec_b64 vcc, s[40:41]
	s_xor_b64 s[40:41], exec, vcc
; %bb.8911:                             ;   in Loop: Header=BB4_8585 Depth=3
	v_min_i32_e32 v0, 15, v16
	v_lshl_or_b32 v0, v0, 3, v55
	v_and_or_b32 v53, v14, 7, v0
                                        ; implicit-def: $vgpr55
; %bb.8912:                             ;   in Loop: Header=BB4_8585 Depth=3
	s_andn2_saveexec_b64 s[40:41], s[40:41]
; %bb.8913:                             ;   in Loop: Header=BB4_8585 Depth=3
	v_mov_b32_e32 v53, v55
; %bb.8914:                             ;   in Loop: Header=BB4_8585 Depth=3
	s_or_b64 exec, exec, s[40:41]
.LBB4_8915:                             ;   in Loop: Header=BB4_8585 Depth=3
	s_or_b64 exec, exec, s[52:53]
                                        ; implicit-def: $vgpr55
.LBB4_8916:                             ;   in Loop: Header=BB4_8585 Depth=3
	s_andn2_saveexec_b64 s[40:41], s[50:51]
; %bb.8917:                             ;   in Loop: Header=BB4_8585 Depth=3
	v_or_b32_e32 v53, 0x7e, v55
; %bb.8918:                             ;   in Loop: Header=BB4_8585 Depth=3
	s_or_b64 exec, exec, s[40:41]
                                        ; implicit-def: $vgpr14
.LBB4_8919:                             ;   in Loop: Header=BB4_8585 Depth=3
	s_andn2_saveexec_b64 s[40:41], s[48:49]
; %bb.8920:                             ;   in Loop: Header=BB4_8585 Depth=3
	v_or_b32_sdwa v53, v14, s81 dst_sel:DWORD dst_unused:UNUSED_PAD src0_sel:BYTE_3 src1_sel:DWORD
; %bb.8921:                             ;   in Loop: Header=BB4_8585 Depth=3
	s_or_b64 exec, exec, s[40:41]
	v_and_b32_e32 v2, 0xff, v57
	v_cmp_ne_u16_e64 s[40:41], 0, v2
	s_and_b64 vcc, exec, s[28:29]
	s_mov_b64 s[48:49], -1
                                        ; implicit-def: $vgpr14
	s_cbranch_vccnz .LBB4_8935
; %bb.8922:                             ;   in Loop: Header=BB4_8585 Depth=3
	v_mov_b32_e32 v16, 0
	v_mov_b32_e32 v15, 0
	s_and_saveexec_b64 s[48:49], s[40:41]
	s_cbranch_execz .LBB4_8928
; %bb.8923:                             ;   in Loop: Header=BB4_8585 Depth=3
	v_cmp_ne_u16_e32 vcc, s80, v2
	v_bfrev_b32_e32 v15, 1
	s_and_saveexec_b64 s[50:51], vcc
	s_cbranch_execz .LBB4_8927
; %bb.8924:                             ;   in Loop: Header=BB4_8585 Depth=3
	v_and_b32_e32 v0, 0x7f, v57
	v_cmp_ne_u32_e32 vcc, s81, v0
	v_mov_b32_e32 v15, 0x7f800001
	s_and_saveexec_b64 s[52:53], vcc
	s_cbranch_execz .LBB4_8926
; %bb.8925:                             ;   in Loop: Header=BB4_8585 Depth=3
	v_and_b32_e32 v14, 7, v2
	v_lshrrev_b32_e32 v15, 3, v0
	v_cmp_gt_u32_e32 vcc, 8, v0
	v_ffbh_u32_e32 v0, v14
	v_min_u32_e32 v55, 32, v0
	v_subrev_u32_e32 v0, 28, v55
	v_lshlrev_b64 v[0:1], v0, v[2:3]
	v_sub_u32_e32 v1, 29, v55
	v_and_b32_e32 v0, 7, v0
	v_cndmask_b32_e32 v1, v15, v1, vcc
	v_cndmask_b32_e32 v0, v14, v0, vcc
	v_lshlrev_b32_e32 v14, 24, v57
	v_lshlrev_b32_e32 v0, 20, v0
	v_and_b32_e32 v14, 0x80000000, v14
	v_lshl_add_u32 v1, v1, 23, v54
	v_or3_b32 v15, v14, v1, v0
.LBB4_8926:                             ;   in Loop: Header=BB4_8585 Depth=3
	s_or_b64 exec, exec, s[52:53]
.LBB4_8927:                             ;   in Loop: Header=BB4_8585 Depth=3
	s_or_b64 exec, exec, s[50:51]
.LBB4_8928:                             ;   in Loop: Header=BB4_8585 Depth=3
	s_or_b64 exec, exec, s[48:49]
	v_and_b32_e32 v14, 0xff, v47
	v_cmp_ne_u16_e32 vcc, 0, v14
	s_and_saveexec_b64 s[48:49], vcc
	s_cbranch_execz .LBB4_8934
; %bb.8929:                             ;   in Loop: Header=BB4_8585 Depth=3
	v_cmp_ne_u16_e32 vcc, s80, v14
	v_bfrev_b32_e32 v16, 1
	s_and_saveexec_b64 s[50:51], vcc
	s_cbranch_execz .LBB4_8933
; %bb.8930:                             ;   in Loop: Header=BB4_8585 Depth=3
	v_and_b32_e32 v0, 0x7f, v47
	v_cmp_ne_u32_e32 vcc, s81, v0
	v_mov_b32_e32 v16, 0x7f800001
	s_and_saveexec_b64 s[52:53], vcc
	s_cbranch_execz .LBB4_8932
; %bb.8931:                             ;   in Loop: Header=BB4_8585 Depth=3
	v_and_b32_e32 v16, 7, v14
	v_lshrrev_b32_e32 v55, 3, v0
	v_cmp_gt_u32_e32 vcc, 8, v0
	v_ffbh_u32_e32 v0, v16
	v_min_u32_e32 v40, 32, v0
	v_subrev_u32_e32 v0, 28, v40
	v_lshlrev_b64 v[0:1], v0, v[14:15]
	v_sub_u32_e32 v1, 29, v40
	v_and_b32_e32 v0, 7, v0
	v_cndmask_b32_e32 v1, v55, v1, vcc
	v_cndmask_b32_e32 v0, v16, v0, vcc
	v_lshlrev_b32_e32 v14, 24, v47
	v_lshlrev_b32_e32 v0, 20, v0
	v_and_b32_e32 v14, 0x80000000, v14
	v_lshl_add_u32 v1, v1, 23, v54
	v_or3_b32 v16, v14, v1, v0
.LBB4_8932:                             ;   in Loop: Header=BB4_8585 Depth=3
	s_or_b64 exec, exec, s[52:53]
.LBB4_8933:                             ;   in Loop: Header=BB4_8585 Depth=3
	s_or_b64 exec, exec, s[50:51]
.LBB4_8934:                             ;   in Loop: Header=BB4_8585 Depth=3
	s_or_b64 exec, exec, s[48:49]
	v_max_f32_e32 v0, v16, v16
	v_max_f32_e32 v1, v15, v15
	;; [unrolled: 1-line block ×3, first 2 shown]
	s_mov_b64 s[48:49], 0
.LBB4_8935:                             ;   in Loop: Header=BB4_8585 Depth=3
	s_and_b64 vcc, exec, s[48:49]
	s_cbranch_vccz .LBB4_8949
; %bb.8936:                             ;   in Loop: Header=BB4_8585 Depth=3
	v_mov_b32_e32 v15, 0
	v_mov_b32_e32 v14, 0
	s_and_saveexec_b64 s[48:49], s[40:41]
	s_cbranch_execz .LBB4_8942
; %bb.8937:                             ;   in Loop: Header=BB4_8585 Depth=3
	v_cmp_ne_u16_e32 vcc, s80, v2
	v_bfrev_b32_e32 v14, 1
	s_and_saveexec_b64 s[40:41], vcc
	s_cbranch_execz .LBB4_8941
; %bb.8938:                             ;   in Loop: Header=BB4_8585 Depth=3
	v_and_b32_e32 v0, 0x7f, v57
	v_cmp_ne_u32_e32 vcc, s81, v0
	v_mov_b32_e32 v14, 0x7f800001
	s_and_saveexec_b64 s[50:51], vcc
	s_cbranch_execz .LBB4_8940
; %bb.8939:                             ;   in Loop: Header=BB4_8585 Depth=3
	v_and_b32_e32 v14, 7, v2
	v_lshrrev_b32_e32 v16, 3, v0
	v_cmp_gt_u32_e32 vcc, 8, v0
	v_ffbh_u32_e32 v0, v14
	v_min_u32_e32 v55, 32, v0
	v_subrev_u32_e32 v0, 28, v55
	v_lshlrev_b64 v[0:1], v0, v[2:3]
	v_sub_u32_e32 v1, 29, v55
	v_and_b32_e32 v0, 7, v0
	v_cndmask_b32_e32 v1, v16, v1, vcc
	v_cndmask_b32_e32 v0, v14, v0, vcc
	v_lshlrev_b32_e32 v2, 24, v57
	v_lshlrev_b32_e32 v0, 20, v0
	v_and_b32_e32 v2, 0x80000000, v2
	v_lshl_add_u32 v1, v1, 23, v54
	v_or3_b32 v14, v2, v1, v0
.LBB4_8940:                             ;   in Loop: Header=BB4_8585 Depth=3
	s_or_b64 exec, exec, s[50:51]
.LBB4_8941:                             ;   in Loop: Header=BB4_8585 Depth=3
	s_or_b64 exec, exec, s[40:41]
.LBB4_8942:                             ;   in Loop: Header=BB4_8585 Depth=3
	s_or_b64 exec, exec, s[48:49]
	v_and_b32_e32 v2, 0xff, v47
	v_cmp_ne_u16_e32 vcc, 0, v2
	s_and_saveexec_b64 s[40:41], vcc
	s_cbranch_execz .LBB4_8948
; %bb.8943:                             ;   in Loop: Header=BB4_8585 Depth=3
	v_cmp_ne_u16_e32 vcc, s80, v2
	v_bfrev_b32_e32 v15, 1
	s_and_saveexec_b64 s[48:49], vcc
	s_cbranch_execz .LBB4_8947
; %bb.8944:                             ;   in Loop: Header=BB4_8585 Depth=3
	v_and_b32_e32 v0, 0x7f, v47
	v_cmp_ne_u32_e32 vcc, s81, v0
	v_mov_b32_e32 v15, 0x7f800001
	s_and_saveexec_b64 s[50:51], vcc
	s_cbranch_execz .LBB4_8946
; %bb.8945:                             ;   in Loop: Header=BB4_8585 Depth=3
	v_and_b32_e32 v15, 7, v2
	v_lshrrev_b32_e32 v16, 3, v0
	v_cmp_gt_u32_e32 vcc, 8, v0
	v_ffbh_u32_e32 v0, v15
	v_min_u32_e32 v55, 32, v0
	v_subrev_u32_e32 v0, 28, v55
	v_lshlrev_b64 v[0:1], v0, v[2:3]
	v_sub_u32_e32 v1, 29, v55
	v_and_b32_e32 v0, 7, v0
	v_cndmask_b32_e32 v1, v16, v1, vcc
	v_cndmask_b32_e32 v0, v15, v0, vcc
	v_lshlrev_b32_e32 v2, 24, v47
	v_lshlrev_b32_e32 v0, 20, v0
	v_and_b32_e32 v2, 0x80000000, v2
	v_lshl_add_u32 v1, v1, 23, v54
	v_or3_b32 v15, v2, v1, v0
.LBB4_8946:                             ;   in Loop: Header=BB4_8585 Depth=3
	s_or_b64 exec, exec, s[50:51]
.LBB4_8947:                             ;   in Loop: Header=BB4_8585 Depth=3
	s_or_b64 exec, exec, s[48:49]
.LBB4_8948:                             ;   in Loop: Header=BB4_8585 Depth=3
	s_or_b64 exec, exec, s[40:41]
	v_max_f32_e32 v0, v15, v15
	v_max_f32_e32 v1, v14, v14
	v_min_f32_e32 v14, v1, v0
.LBB4_8949:                             ;   in Loop: Header=BB4_8585 Depth=3
	v_and_b32_e32 v2, 0x7f800000, v14
	v_cmp_ne_u64_e32 vcc, s[76:77], v[2:3]
                                        ; implicit-def: $vgpr47
	s_mov_b64 s[40:41], exec
	buffer_load_dword v57, off, s[0:3], s33 offset:68 ; 4-byte Folded Reload
	s_and_b64 vcc, s[40:41], vcc
	s_xor_b64 s[48:49], vcc, s[40:41]
	s_mov_b64 exec, vcc
	s_cbranch_execz .LBB4_8967
; %bb.8950:                             ;   in Loop: Header=BB4_8585 Depth=3
	v_and_b32_e32 v2, 0x7fffffff, v14
	v_cmp_gt_u64_e32 vcc, s[78:79], v[2:3]
	v_and_b32_sdwa v55, v14, s80 dst_sel:DWORD dst_unused:UNUSED_PAD src0_sel:BYTE_3 src1_sel:DWORD
                                        ; implicit-def: $vgpr47
	s_and_saveexec_b64 s[40:41], vcc
	s_xor_b64 s[50:51], exec, s[40:41]
	s_cbranch_execz .LBB4_8964
; %bb.8951:                             ;   in Loop: Header=BB4_8585 Depth=3
	v_cmp_ne_u32_e32 vcc, 0, v14
	v_mov_b32_e32 v47, 0
	s_and_saveexec_b64 s[52:53], vcc
	s_cbranch_execz .LBB4_8963
; %bb.8952:                             ;   in Loop: Header=BB4_8585 Depth=3
	v_bfe_u32 v42, v14, 23, 8
	v_cmp_gt_u32_e64 s[40:41], s83, v42
	v_sub_u32_e32 v1, 0x79, v42
	v_and_b32_e32 v0, 0x7fffff, v14
	v_cmp_eq_u32_e32 vcc, 0, v42
	v_cndmask_b32_e64 v1, 0, v1, s[40:41]
	v_mov_b32_e32 v14, 0x78
	v_or_b32_e32 v2, 0x800000, v0
	v_cndmask_b32_e32 v43, v1, v14, vcc
	v_cndmask_b32_e32 v2, v2, v0, vcc
	v_add_u32_e32 v0, 20, v43
	v_lshlrev_b64 v[0:1], v0, -1
	v_add_u32_e32 v14, 19, v43
	v_lshlrev_b64 v[14:15], v14, 1
	v_bfi_b32 v1, v1, 0, 0
	v_bfi_b32 v0, v0, 0, v2
	v_cmp_eq_u64_e64 s[40:41], v[0:1], v[14:15]
	v_lshrrev_b64 v[14:15], v43, v[2:3]
	v_mov_b32_e32 v16, v15
	v_mov_b32_e32 v15, v14
	s_and_saveexec_b64 s[54:55], s[40:41]
; %bb.8953:                             ;   in Loop: Header=BB4_8585 Depth=3
	v_bfe_u32 v0, v14, 20, 1
	v_add_co_u32_e64 v0, s[40:41], v14, v0
	v_add_co_u32_e64 v15, s[40:41], -1, v0
; %bb.8954:                             ;   in Loop: Header=BB4_8585 Depth=3
	s_or_b64 exec, exec, s[54:55]
	v_add_u32_e32 v0, 0xffffff81, v42
	v_mov_b32_e32 v1, 0xffffff82
	v_cndmask_b32_e32 v0, v0, v1, vcc
	v_lshrrev_b32_e32 v1, 23, v14
	v_add3_u32 v42, v43, v0, v1
	v_add_u32_e32 v0, 6, v42
	v_and_b32_e32 v1, 0xfffff, v15
	v_add_u32_e32 v2, v1, v14
	v_cmp_ne_u32_e32 vcc, 0, v0
                                        ; implicit-def: $vgpr14_vgpr15
                                        ; implicit-def: $vgpr16
	s_and_saveexec_b64 s[40:41], vcc
	s_xor_b64 s[40:41], exec, s[40:41]
; %bb.8955:                             ;   in Loop: Header=BB4_8585 Depth=3
	v_cmp_lt_u64_e32 vcc, s[88:89], v[2:3]
	v_add_u32_e32 v1, 7, v42
	v_cndmask_b32_e32 v16, v0, v1, vcc
	v_cndmask_b32_e64 v0, 0, 1, vcc
	v_lshrrev_b64 v[14:15], v0, v[2:3]
; %bb.8956:                             ;   in Loop: Header=BB4_8585 Depth=3
	s_andn2_saveexec_b64 s[40:41], s[40:41]
; %bb.8957:                             ;   in Loop: Header=BB4_8585 Depth=3
	v_mov_b32_e32 v15, v3
	v_bfe_u32 v16, v2, 23, 1
	v_mov_b32_e32 v14, v2
; %bb.8958:                             ;   in Loop: Header=BB4_8585 Depth=3
	s_or_b64 exec, exec, s[40:41]
	v_lshrrev_b64 v[0:1], 20, v[14:15]
	v_cmp_gt_i32_e32 vcc, 16, v16
	v_cndmask_b32_e32 v15, 0, v1, vcc
	v_cndmask_b32_e32 v14, 7, v0, vcc
	v_cmp_ne_u64_e32 vcc, 0, v[14:15]
	v_cmp_ne_u32_e64 s[40:41], 0, v16
	s_or_b64 s[40:41], s[40:41], vcc
                                        ; implicit-def: $vgpr47
	s_and_saveexec_b64 vcc, s[40:41]
	s_xor_b64 s[40:41], exec, vcc
; %bb.8959:                             ;   in Loop: Header=BB4_8585 Depth=3
	v_min_i32_e32 v0, 15, v16
	v_lshl_or_b32 v0, v0, 3, v55
	v_and_or_b32 v47, v14, 7, v0
                                        ; implicit-def: $vgpr55
; %bb.8960:                             ;   in Loop: Header=BB4_8585 Depth=3
	s_andn2_saveexec_b64 s[40:41], s[40:41]
; %bb.8961:                             ;   in Loop: Header=BB4_8585 Depth=3
	v_mov_b32_e32 v47, v55
; %bb.8962:                             ;   in Loop: Header=BB4_8585 Depth=3
	s_or_b64 exec, exec, s[40:41]
.LBB4_8963:                             ;   in Loop: Header=BB4_8585 Depth=3
	s_or_b64 exec, exec, s[52:53]
                                        ; implicit-def: $vgpr55
.LBB4_8964:                             ;   in Loop: Header=BB4_8585 Depth=3
	s_andn2_saveexec_b64 s[40:41], s[50:51]
; %bb.8965:                             ;   in Loop: Header=BB4_8585 Depth=3
	v_or_b32_e32 v47, 0x7e, v55
; %bb.8966:                             ;   in Loop: Header=BB4_8585 Depth=3
	s_or_b64 exec, exec, s[40:41]
                                        ; implicit-def: $vgpr14
.LBB4_8967:                             ;   in Loop: Header=BB4_8585 Depth=3
	s_andn2_saveexec_b64 s[40:41], s[48:49]
; %bb.8968:                             ;   in Loop: Header=BB4_8585 Depth=3
	v_or_b32_sdwa v47, v14, s81 dst_sel:DWORD dst_unused:UNUSED_PAD src0_sel:BYTE_3 src1_sel:DWORD
; %bb.8969:                             ;   in Loop: Header=BB4_8585 Depth=3
	s_or_b64 exec, exec, s[40:41]
	v_and_b32_e32 v2, 0xff, v46
	v_cmp_ne_u16_e64 s[40:41], 0, v2
	s_and_b64 vcc, exec, s[28:29]
	s_mov_b64 s[48:49], -1
                                        ; implicit-def: $vgpr14
	s_cbranch_vccnz .LBB4_8983
; %bb.8970:                             ;   in Loop: Header=BB4_8585 Depth=3
	v_mov_b32_e32 v16, 0
	v_mov_b32_e32 v15, 0
	s_and_saveexec_b64 s[48:49], s[40:41]
	s_cbranch_execz .LBB4_8976
; %bb.8971:                             ;   in Loop: Header=BB4_8585 Depth=3
	v_cmp_ne_u16_e32 vcc, s80, v2
	v_bfrev_b32_e32 v15, 1
	s_and_saveexec_b64 s[50:51], vcc
	s_cbranch_execz .LBB4_8975
; %bb.8972:                             ;   in Loop: Header=BB4_8585 Depth=3
	v_and_b32_e32 v0, 0x7f, v46
	v_cmp_ne_u32_e32 vcc, s81, v0
	v_mov_b32_e32 v15, 0x7f800001
	s_and_saveexec_b64 s[52:53], vcc
	s_cbranch_execz .LBB4_8974
; %bb.8973:                             ;   in Loop: Header=BB4_8585 Depth=3
	v_and_b32_e32 v14, 7, v2
	v_lshrrev_b32_e32 v15, 3, v0
	v_cmp_gt_u32_e32 vcc, 8, v0
	v_ffbh_u32_e32 v0, v14
	v_min_u32_e32 v55, 32, v0
	v_subrev_u32_e32 v0, 28, v55
	v_lshlrev_b64 v[0:1], v0, v[2:3]
	v_sub_u32_e32 v1, 29, v55
	v_and_b32_e32 v0, 7, v0
	v_cndmask_b32_e32 v1, v15, v1, vcc
	v_cndmask_b32_e32 v0, v14, v0, vcc
	v_lshlrev_b32_e32 v14, 24, v46
	v_lshlrev_b32_e32 v0, 20, v0
	v_and_b32_e32 v14, 0x80000000, v14
	v_lshl_add_u32 v1, v1, 23, v54
	v_or3_b32 v15, v14, v1, v0
.LBB4_8974:                             ;   in Loop: Header=BB4_8585 Depth=3
	s_or_b64 exec, exec, s[52:53]
.LBB4_8975:                             ;   in Loop: Header=BB4_8585 Depth=3
	s_or_b64 exec, exec, s[50:51]
.LBB4_8976:                             ;   in Loop: Header=BB4_8585 Depth=3
	s_or_b64 exec, exec, s[48:49]
	v_and_b32_e32 v14, 0xff, v45
	v_cmp_ne_u16_e32 vcc, 0, v14
	s_and_saveexec_b64 s[48:49], vcc
	s_cbranch_execz .LBB4_8982
; %bb.8977:                             ;   in Loop: Header=BB4_8585 Depth=3
	v_cmp_ne_u16_e32 vcc, s80, v14
	v_bfrev_b32_e32 v16, 1
	s_and_saveexec_b64 s[50:51], vcc
	s_cbranch_execz .LBB4_8981
; %bb.8978:                             ;   in Loop: Header=BB4_8585 Depth=3
	v_and_b32_e32 v0, 0x7f, v45
	v_cmp_ne_u32_e32 vcc, s81, v0
	v_mov_b32_e32 v16, 0x7f800001
	s_and_saveexec_b64 s[52:53], vcc
	s_cbranch_execz .LBB4_8980
; %bb.8979:                             ;   in Loop: Header=BB4_8585 Depth=3
	v_and_b32_e32 v16, 7, v14
	v_lshrrev_b32_e32 v55, 3, v0
	v_cmp_gt_u32_e32 vcc, 8, v0
	v_ffbh_u32_e32 v0, v16
	v_min_u32_e32 v40, 32, v0
	v_subrev_u32_e32 v0, 28, v40
	v_lshlrev_b64 v[0:1], v0, v[14:15]
	v_sub_u32_e32 v1, 29, v40
	v_and_b32_e32 v0, 7, v0
	v_cndmask_b32_e32 v1, v55, v1, vcc
	v_cndmask_b32_e32 v0, v16, v0, vcc
	v_lshlrev_b32_e32 v14, 24, v45
	v_lshlrev_b32_e32 v0, 20, v0
	v_and_b32_e32 v14, 0x80000000, v14
	v_lshl_add_u32 v1, v1, 23, v54
	v_or3_b32 v16, v14, v1, v0
.LBB4_8980:                             ;   in Loop: Header=BB4_8585 Depth=3
	s_or_b64 exec, exec, s[52:53]
.LBB4_8981:                             ;   in Loop: Header=BB4_8585 Depth=3
	s_or_b64 exec, exec, s[50:51]
.LBB4_8982:                             ;   in Loop: Header=BB4_8585 Depth=3
	s_or_b64 exec, exec, s[48:49]
	v_max_f32_e32 v0, v16, v16
	v_max_f32_e32 v1, v15, v15
	;; [unrolled: 1-line block ×3, first 2 shown]
	s_mov_b64 s[48:49], 0
.LBB4_8983:                             ;   in Loop: Header=BB4_8585 Depth=3
	s_and_b64 vcc, exec, s[48:49]
	s_cbranch_vccz .LBB4_8997
; %bb.8984:                             ;   in Loop: Header=BB4_8585 Depth=3
	v_mov_b32_e32 v15, 0
	v_mov_b32_e32 v14, 0
	s_and_saveexec_b64 s[48:49], s[40:41]
	s_cbranch_execz .LBB4_8990
; %bb.8985:                             ;   in Loop: Header=BB4_8585 Depth=3
	v_cmp_ne_u16_e32 vcc, s80, v2
	v_bfrev_b32_e32 v14, 1
	s_and_saveexec_b64 s[40:41], vcc
	s_cbranch_execz .LBB4_8989
; %bb.8986:                             ;   in Loop: Header=BB4_8585 Depth=3
	v_and_b32_e32 v0, 0x7f, v46
	v_cmp_ne_u32_e32 vcc, s81, v0
	v_mov_b32_e32 v14, 0x7f800001
	s_and_saveexec_b64 s[50:51], vcc
	s_cbranch_execz .LBB4_8988
; %bb.8987:                             ;   in Loop: Header=BB4_8585 Depth=3
	v_and_b32_e32 v14, 7, v2
	v_lshrrev_b32_e32 v16, 3, v0
	v_cmp_gt_u32_e32 vcc, 8, v0
	v_ffbh_u32_e32 v0, v14
	v_min_u32_e32 v55, 32, v0
	v_subrev_u32_e32 v0, 28, v55
	v_lshlrev_b64 v[0:1], v0, v[2:3]
	v_sub_u32_e32 v1, 29, v55
	v_and_b32_e32 v0, 7, v0
	v_cndmask_b32_e32 v1, v16, v1, vcc
	v_cndmask_b32_e32 v0, v14, v0, vcc
	v_lshlrev_b32_e32 v2, 24, v46
	v_lshlrev_b32_e32 v0, 20, v0
	v_and_b32_e32 v2, 0x80000000, v2
	v_lshl_add_u32 v1, v1, 23, v54
	v_or3_b32 v14, v2, v1, v0
.LBB4_8988:                             ;   in Loop: Header=BB4_8585 Depth=3
	s_or_b64 exec, exec, s[50:51]
.LBB4_8989:                             ;   in Loop: Header=BB4_8585 Depth=3
	s_or_b64 exec, exec, s[40:41]
.LBB4_8990:                             ;   in Loop: Header=BB4_8585 Depth=3
	s_or_b64 exec, exec, s[48:49]
	v_and_b32_e32 v2, 0xff, v45
	v_cmp_ne_u16_e32 vcc, 0, v2
	s_and_saveexec_b64 s[40:41], vcc
	s_cbranch_execz .LBB4_8996
; %bb.8991:                             ;   in Loop: Header=BB4_8585 Depth=3
	v_cmp_ne_u16_e32 vcc, s80, v2
	v_bfrev_b32_e32 v15, 1
	s_and_saveexec_b64 s[48:49], vcc
	s_cbranch_execz .LBB4_8995
; %bb.8992:                             ;   in Loop: Header=BB4_8585 Depth=3
	v_and_b32_e32 v0, 0x7f, v45
	v_cmp_ne_u32_e32 vcc, s81, v0
	v_mov_b32_e32 v15, 0x7f800001
	s_and_saveexec_b64 s[50:51], vcc
	s_cbranch_execz .LBB4_8994
; %bb.8993:                             ;   in Loop: Header=BB4_8585 Depth=3
	v_and_b32_e32 v15, 7, v2
	v_lshrrev_b32_e32 v16, 3, v0
	v_cmp_gt_u32_e32 vcc, 8, v0
	v_ffbh_u32_e32 v0, v15
	v_min_u32_e32 v55, 32, v0
	v_subrev_u32_e32 v0, 28, v55
	v_lshlrev_b64 v[0:1], v0, v[2:3]
	v_sub_u32_e32 v1, 29, v55
	v_and_b32_e32 v0, 7, v0
	v_cndmask_b32_e32 v1, v16, v1, vcc
	v_cndmask_b32_e32 v0, v15, v0, vcc
	v_lshlrev_b32_e32 v2, 24, v45
	v_lshlrev_b32_e32 v0, 20, v0
	v_and_b32_e32 v2, 0x80000000, v2
	v_lshl_add_u32 v1, v1, 23, v54
	v_or3_b32 v15, v2, v1, v0
.LBB4_8994:                             ;   in Loop: Header=BB4_8585 Depth=3
	s_or_b64 exec, exec, s[50:51]
.LBB4_8995:                             ;   in Loop: Header=BB4_8585 Depth=3
	s_or_b64 exec, exec, s[48:49]
.LBB4_8996:                             ;   in Loop: Header=BB4_8585 Depth=3
	s_or_b64 exec, exec, s[40:41]
	v_max_f32_e32 v0, v15, v15
	v_max_f32_e32 v1, v14, v14
	v_min_f32_e32 v14, v1, v0
.LBB4_8997:                             ;   in Loop: Header=BB4_8585 Depth=3
	v_and_b32_e32 v2, 0x7f800000, v14
	v_cmp_ne_u64_e32 vcc, s[76:77], v[2:3]
                                        ; implicit-def: $vgpr45
	s_and_saveexec_b64 s[40:41], vcc
	s_xor_b64 s[48:49], exec, s[40:41]
	s_cbranch_execz .LBB4_9015
; %bb.8998:                             ;   in Loop: Header=BB4_8585 Depth=3
	v_and_b32_e32 v2, 0x7fffffff, v14
	v_cmp_gt_u64_e32 vcc, s[78:79], v[2:3]
	v_and_b32_sdwa v55, v14, s80 dst_sel:DWORD dst_unused:UNUSED_PAD src0_sel:BYTE_3 src1_sel:DWORD
                                        ; implicit-def: $vgpr45
	s_and_saveexec_b64 s[40:41], vcc
	s_xor_b64 s[50:51], exec, s[40:41]
	s_cbranch_execz .LBB4_9012
; %bb.8999:                             ;   in Loop: Header=BB4_8585 Depth=3
	v_cmp_ne_u32_e32 vcc, 0, v14
	v_mov_b32_e32 v45, 0
	s_and_saveexec_b64 s[52:53], vcc
	s_cbranch_execz .LBB4_9011
; %bb.9000:                             ;   in Loop: Header=BB4_8585 Depth=3
	v_bfe_u32 v42, v14, 23, 8
	v_cmp_gt_u32_e64 s[40:41], s83, v42
	v_sub_u32_e32 v1, 0x79, v42
	v_and_b32_e32 v0, 0x7fffff, v14
	v_cmp_eq_u32_e32 vcc, 0, v42
	v_cndmask_b32_e64 v1, 0, v1, s[40:41]
	v_mov_b32_e32 v14, 0x78
	v_or_b32_e32 v2, 0x800000, v0
	v_cndmask_b32_e32 v43, v1, v14, vcc
	v_cndmask_b32_e32 v2, v2, v0, vcc
	v_add_u32_e32 v0, 20, v43
	v_lshlrev_b64 v[0:1], v0, -1
	v_add_u32_e32 v14, 19, v43
	v_lshlrev_b64 v[14:15], v14, 1
	v_bfi_b32 v1, v1, 0, 0
	v_bfi_b32 v0, v0, 0, v2
	v_cmp_eq_u64_e64 s[40:41], v[0:1], v[14:15]
	v_lshrrev_b64 v[14:15], v43, v[2:3]
	v_mov_b32_e32 v16, v15
	v_mov_b32_e32 v15, v14
	s_and_saveexec_b64 s[54:55], s[40:41]
; %bb.9001:                             ;   in Loop: Header=BB4_8585 Depth=3
	v_bfe_u32 v0, v14, 20, 1
	v_add_co_u32_e64 v0, s[40:41], v14, v0
	v_add_co_u32_e64 v15, s[40:41], -1, v0
; %bb.9002:                             ;   in Loop: Header=BB4_8585 Depth=3
	s_or_b64 exec, exec, s[54:55]
	v_add_u32_e32 v0, 0xffffff81, v42
	v_mov_b32_e32 v1, 0xffffff82
	v_cndmask_b32_e32 v0, v0, v1, vcc
	v_lshrrev_b32_e32 v1, 23, v14
	v_add3_u32 v42, v43, v0, v1
	v_add_u32_e32 v0, 6, v42
	v_and_b32_e32 v1, 0xfffff, v15
	v_add_u32_e32 v2, v1, v14
	v_cmp_ne_u32_e32 vcc, 0, v0
                                        ; implicit-def: $vgpr14_vgpr15
                                        ; implicit-def: $vgpr16
	s_and_saveexec_b64 s[40:41], vcc
	s_xor_b64 s[40:41], exec, s[40:41]
; %bb.9003:                             ;   in Loop: Header=BB4_8585 Depth=3
	v_cmp_lt_u64_e32 vcc, s[88:89], v[2:3]
	v_add_u32_e32 v1, 7, v42
	v_cndmask_b32_e32 v16, v0, v1, vcc
	v_cndmask_b32_e64 v0, 0, 1, vcc
	v_lshrrev_b64 v[14:15], v0, v[2:3]
; %bb.9004:                             ;   in Loop: Header=BB4_8585 Depth=3
	s_andn2_saveexec_b64 s[40:41], s[40:41]
; %bb.9005:                             ;   in Loop: Header=BB4_8585 Depth=3
	v_mov_b32_e32 v15, v3
	v_bfe_u32 v16, v2, 23, 1
	v_mov_b32_e32 v14, v2
; %bb.9006:                             ;   in Loop: Header=BB4_8585 Depth=3
	s_or_b64 exec, exec, s[40:41]
	v_lshrrev_b64 v[0:1], 20, v[14:15]
	v_cmp_gt_i32_e32 vcc, 16, v16
	v_cndmask_b32_e32 v15, 0, v1, vcc
	v_cndmask_b32_e32 v14, 7, v0, vcc
	v_cmp_ne_u64_e32 vcc, 0, v[14:15]
	v_cmp_ne_u32_e64 s[40:41], 0, v16
	s_or_b64 s[40:41], s[40:41], vcc
                                        ; implicit-def: $vgpr45
	s_and_saveexec_b64 vcc, s[40:41]
	s_xor_b64 s[40:41], exec, vcc
; %bb.9007:                             ;   in Loop: Header=BB4_8585 Depth=3
	v_min_i32_e32 v0, 15, v16
	v_lshl_or_b32 v0, v0, 3, v55
	v_and_or_b32 v45, v14, 7, v0
                                        ; implicit-def: $vgpr55
; %bb.9008:                             ;   in Loop: Header=BB4_8585 Depth=3
	s_andn2_saveexec_b64 s[40:41], s[40:41]
; %bb.9009:                             ;   in Loop: Header=BB4_8585 Depth=3
	v_mov_b32_e32 v45, v55
; %bb.9010:                             ;   in Loop: Header=BB4_8585 Depth=3
	s_or_b64 exec, exec, s[40:41]
.LBB4_9011:                             ;   in Loop: Header=BB4_8585 Depth=3
	s_or_b64 exec, exec, s[52:53]
                                        ; implicit-def: $vgpr55
.LBB4_9012:                             ;   in Loop: Header=BB4_8585 Depth=3
	s_andn2_saveexec_b64 s[40:41], s[50:51]
; %bb.9013:                             ;   in Loop: Header=BB4_8585 Depth=3
	v_or_b32_e32 v45, 0x7e, v55
; %bb.9014:                             ;   in Loop: Header=BB4_8585 Depth=3
	s_or_b64 exec, exec, s[40:41]
                                        ; implicit-def: $vgpr14
.LBB4_9015:                             ;   in Loop: Header=BB4_8585 Depth=3
	s_andn2_saveexec_b64 s[40:41], s[48:49]
; %bb.9016:                             ;   in Loop: Header=BB4_8585 Depth=3
	v_or_b32_sdwa v45, v14, s81 dst_sel:DWORD dst_unused:UNUSED_PAD src0_sel:BYTE_3 src1_sel:DWORD
; %bb.9017:                             ;   in Loop: Header=BB4_8585 Depth=3
	s_or_b64 exec, exec, s[40:41]
	v_and_b32_e32 v2, 0xff, v51
	v_cmp_ne_u16_e64 s[40:41], 0, v2
	s_and_b64 vcc, exec, s[28:29]
	s_mov_b64 s[48:49], -1
                                        ; implicit-def: $vgpr14
	s_cbranch_vccnz .LBB4_9031
; %bb.9018:                             ;   in Loop: Header=BB4_8585 Depth=3
	v_mov_b32_e32 v16, 0
	v_mov_b32_e32 v15, 0
	s_and_saveexec_b64 s[48:49], s[40:41]
	s_cbranch_execz .LBB4_9024
; %bb.9019:                             ;   in Loop: Header=BB4_8585 Depth=3
	v_cmp_ne_u16_e32 vcc, s80, v2
	v_bfrev_b32_e32 v15, 1
	s_and_saveexec_b64 s[50:51], vcc
	s_cbranch_execz .LBB4_9023
; %bb.9020:                             ;   in Loop: Header=BB4_8585 Depth=3
	v_and_b32_e32 v0, 0x7f, v51
	v_cmp_ne_u32_e32 vcc, s81, v0
	v_mov_b32_e32 v15, 0x7f800001
	s_and_saveexec_b64 s[52:53], vcc
	s_cbranch_execz .LBB4_9022
; %bb.9021:                             ;   in Loop: Header=BB4_8585 Depth=3
	v_and_b32_e32 v14, 7, v2
	v_lshrrev_b32_e32 v15, 3, v0
	v_cmp_gt_u32_e32 vcc, 8, v0
	v_ffbh_u32_e32 v0, v14
	v_min_u32_e32 v55, 32, v0
	v_subrev_u32_e32 v0, 28, v55
	v_lshlrev_b64 v[0:1], v0, v[2:3]
	v_sub_u32_e32 v1, 29, v55
	v_and_b32_e32 v0, 7, v0
	v_cndmask_b32_e32 v1, v15, v1, vcc
	v_cndmask_b32_e32 v0, v14, v0, vcc
	v_lshlrev_b32_e32 v14, 24, v51
	v_lshlrev_b32_e32 v0, 20, v0
	v_and_b32_e32 v14, 0x80000000, v14
	v_lshl_add_u32 v1, v1, 23, v54
	v_or3_b32 v15, v14, v1, v0
.LBB4_9022:                             ;   in Loop: Header=BB4_8585 Depth=3
	s_or_b64 exec, exec, s[52:53]
.LBB4_9023:                             ;   in Loop: Header=BB4_8585 Depth=3
	s_or_b64 exec, exec, s[50:51]
.LBB4_9024:                             ;   in Loop: Header=BB4_8585 Depth=3
	s_or_b64 exec, exec, s[48:49]
	v_and_b32_e32 v14, 0xff, v50
	v_cmp_ne_u16_e32 vcc, 0, v14
	s_and_saveexec_b64 s[48:49], vcc
	s_cbranch_execz .LBB4_9030
; %bb.9025:                             ;   in Loop: Header=BB4_8585 Depth=3
	v_cmp_ne_u16_e32 vcc, s80, v14
	v_bfrev_b32_e32 v16, 1
	s_and_saveexec_b64 s[50:51], vcc
	s_cbranch_execz .LBB4_9029
; %bb.9026:                             ;   in Loop: Header=BB4_8585 Depth=3
	v_and_b32_e32 v0, 0x7f, v50
	v_cmp_ne_u32_e32 vcc, s81, v0
	v_mov_b32_e32 v16, 0x7f800001
	s_and_saveexec_b64 s[52:53], vcc
	s_cbranch_execz .LBB4_9028
; %bb.9027:                             ;   in Loop: Header=BB4_8585 Depth=3
	v_and_b32_e32 v16, 7, v14
	v_lshrrev_b32_e32 v55, 3, v0
	v_cmp_gt_u32_e32 vcc, 8, v0
	v_ffbh_u32_e32 v0, v16
	v_min_u32_e32 v40, 32, v0
	v_subrev_u32_e32 v0, 28, v40
	v_lshlrev_b64 v[0:1], v0, v[14:15]
	v_sub_u32_e32 v1, 29, v40
	v_and_b32_e32 v0, 7, v0
	v_cndmask_b32_e32 v1, v55, v1, vcc
	v_cndmask_b32_e32 v0, v16, v0, vcc
	v_lshlrev_b32_e32 v14, 24, v50
	v_lshlrev_b32_e32 v0, 20, v0
	v_and_b32_e32 v14, 0x80000000, v14
	v_lshl_add_u32 v1, v1, 23, v54
	v_or3_b32 v16, v14, v1, v0
.LBB4_9028:                             ;   in Loop: Header=BB4_8585 Depth=3
	s_or_b64 exec, exec, s[52:53]
.LBB4_9029:                             ;   in Loop: Header=BB4_8585 Depth=3
	s_or_b64 exec, exec, s[50:51]
.LBB4_9030:                             ;   in Loop: Header=BB4_8585 Depth=3
	s_or_b64 exec, exec, s[48:49]
	v_max_f32_e32 v0, v16, v16
	v_max_f32_e32 v1, v15, v15
	;; [unrolled: 1-line block ×3, first 2 shown]
	s_mov_b64 s[48:49], 0
.LBB4_9031:                             ;   in Loop: Header=BB4_8585 Depth=3
	s_and_b64 vcc, exec, s[48:49]
	s_cbranch_vccz .LBB4_9045
; %bb.9032:                             ;   in Loop: Header=BB4_8585 Depth=3
	v_mov_b32_e32 v15, 0
	v_mov_b32_e32 v14, 0
	s_and_saveexec_b64 s[48:49], s[40:41]
	s_cbranch_execz .LBB4_9038
; %bb.9033:                             ;   in Loop: Header=BB4_8585 Depth=3
	v_cmp_ne_u16_e32 vcc, s80, v2
	v_bfrev_b32_e32 v14, 1
	s_and_saveexec_b64 s[40:41], vcc
	s_cbranch_execz .LBB4_9037
; %bb.9034:                             ;   in Loop: Header=BB4_8585 Depth=3
	v_and_b32_e32 v0, 0x7f, v51
	v_cmp_ne_u32_e32 vcc, s81, v0
	v_mov_b32_e32 v14, 0x7f800001
	s_and_saveexec_b64 s[50:51], vcc
	s_cbranch_execz .LBB4_9036
; %bb.9035:                             ;   in Loop: Header=BB4_8585 Depth=3
	v_and_b32_e32 v14, 7, v2
	v_lshrrev_b32_e32 v16, 3, v0
	v_cmp_gt_u32_e32 vcc, 8, v0
	v_ffbh_u32_e32 v0, v14
	v_min_u32_e32 v55, 32, v0
	v_subrev_u32_e32 v0, 28, v55
	v_lshlrev_b64 v[0:1], v0, v[2:3]
	v_sub_u32_e32 v1, 29, v55
	v_and_b32_e32 v0, 7, v0
	v_cndmask_b32_e32 v1, v16, v1, vcc
	v_cndmask_b32_e32 v0, v14, v0, vcc
	v_lshlrev_b32_e32 v2, 24, v51
	v_lshlrev_b32_e32 v0, 20, v0
	v_and_b32_e32 v2, 0x80000000, v2
	v_lshl_add_u32 v1, v1, 23, v54
	v_or3_b32 v14, v2, v1, v0
.LBB4_9036:                             ;   in Loop: Header=BB4_8585 Depth=3
	s_or_b64 exec, exec, s[50:51]
.LBB4_9037:                             ;   in Loop: Header=BB4_8585 Depth=3
	s_or_b64 exec, exec, s[40:41]
.LBB4_9038:                             ;   in Loop: Header=BB4_8585 Depth=3
	s_or_b64 exec, exec, s[48:49]
	v_and_b32_e32 v2, 0xff, v50
	v_cmp_ne_u16_e32 vcc, 0, v2
	s_and_saveexec_b64 s[40:41], vcc
	s_cbranch_execz .LBB4_9044
; %bb.9039:                             ;   in Loop: Header=BB4_8585 Depth=3
	v_cmp_ne_u16_e32 vcc, s80, v2
	v_bfrev_b32_e32 v15, 1
	s_and_saveexec_b64 s[48:49], vcc
	s_cbranch_execz .LBB4_9043
; %bb.9040:                             ;   in Loop: Header=BB4_8585 Depth=3
	v_and_b32_e32 v0, 0x7f, v50
	v_cmp_ne_u32_e32 vcc, s81, v0
	v_mov_b32_e32 v15, 0x7f800001
	s_and_saveexec_b64 s[50:51], vcc
	s_cbranch_execz .LBB4_9042
; %bb.9041:                             ;   in Loop: Header=BB4_8585 Depth=3
	v_and_b32_e32 v15, 7, v2
	v_lshrrev_b32_e32 v16, 3, v0
	v_cmp_gt_u32_e32 vcc, 8, v0
	v_ffbh_u32_e32 v0, v15
	v_min_u32_e32 v51, 32, v0
	v_subrev_u32_e32 v0, 28, v51
	v_lshlrev_b64 v[0:1], v0, v[2:3]
	v_sub_u32_e32 v1, 29, v51
	v_and_b32_e32 v0, 7, v0
	v_cndmask_b32_e32 v1, v16, v1, vcc
	v_cndmask_b32_e32 v0, v15, v0, vcc
	v_lshlrev_b32_e32 v2, 24, v50
	v_lshlrev_b32_e32 v0, 20, v0
	v_and_b32_e32 v2, 0x80000000, v2
	v_lshl_add_u32 v1, v1, 23, v54
	v_or3_b32 v15, v2, v1, v0
.LBB4_9042:                             ;   in Loop: Header=BB4_8585 Depth=3
	s_or_b64 exec, exec, s[50:51]
.LBB4_9043:                             ;   in Loop: Header=BB4_8585 Depth=3
	s_or_b64 exec, exec, s[48:49]
.LBB4_9044:                             ;   in Loop: Header=BB4_8585 Depth=3
	s_or_b64 exec, exec, s[40:41]
	v_max_f32_e32 v0, v15, v15
	v_max_f32_e32 v1, v14, v14
	v_min_f32_e32 v14, v1, v0
.LBB4_9045:                             ;   in Loop: Header=BB4_8585 Depth=3
	v_and_b32_e32 v2, 0x7f800000, v14
	v_cmp_ne_u64_e32 vcc, s[76:77], v[2:3]
                                        ; implicit-def: $vgpr50
	s_and_saveexec_b64 s[40:41], vcc
	s_xor_b64 s[48:49], exec, s[40:41]
	s_cbranch_execz .LBB4_9063
; %bb.9046:                             ;   in Loop: Header=BB4_8585 Depth=3
	v_and_b32_e32 v2, 0x7fffffff, v14
	v_cmp_gt_u64_e32 vcc, s[78:79], v[2:3]
	v_and_b32_sdwa v51, v14, s80 dst_sel:DWORD dst_unused:UNUSED_PAD src0_sel:BYTE_3 src1_sel:DWORD
                                        ; implicit-def: $vgpr50
	s_and_saveexec_b64 s[40:41], vcc
	s_xor_b64 s[50:51], exec, s[40:41]
	s_cbranch_execz .LBB4_9060
; %bb.9047:                             ;   in Loop: Header=BB4_8585 Depth=3
	v_cmp_ne_u32_e32 vcc, 0, v14
	v_mov_b32_e32 v50, 0
	s_and_saveexec_b64 s[52:53], vcc
	s_cbranch_execz .LBB4_9059
; %bb.9048:                             ;   in Loop: Header=BB4_8585 Depth=3
	v_bfe_u32 v50, v14, 23, 8
	v_cmp_gt_u32_e64 s[40:41], s83, v50
	v_sub_u32_e32 v1, 0x79, v50
	v_and_b32_e32 v0, 0x7fffff, v14
	v_cmp_eq_u32_e32 vcc, 0, v50
	v_cndmask_b32_e64 v1, 0, v1, s[40:41]
	v_mov_b32_e32 v14, 0x78
	v_or_b32_e32 v2, 0x800000, v0
	v_cndmask_b32_e32 v55, v1, v14, vcc
	v_cndmask_b32_e32 v2, v2, v0, vcc
	v_add_u32_e32 v0, 20, v55
	v_lshlrev_b64 v[0:1], v0, -1
	v_add_u32_e32 v14, 19, v55
	v_lshlrev_b64 v[14:15], v14, 1
	v_bfi_b32 v1, v1, 0, 0
	v_bfi_b32 v0, v0, 0, v2
	v_cmp_eq_u64_e64 s[40:41], v[0:1], v[14:15]
	v_lshrrev_b64 v[14:15], v55, v[2:3]
	v_mov_b32_e32 v16, v15
	v_mov_b32_e32 v15, v14
	s_and_saveexec_b64 s[54:55], s[40:41]
; %bb.9049:                             ;   in Loop: Header=BB4_8585 Depth=3
	v_bfe_u32 v0, v14, 20, 1
	v_add_co_u32_e64 v0, s[40:41], v14, v0
	v_add_co_u32_e64 v15, s[40:41], -1, v0
; %bb.9050:                             ;   in Loop: Header=BB4_8585 Depth=3
	s_or_b64 exec, exec, s[54:55]
	v_add_u32_e32 v0, 0xffffff81, v50
	v_mov_b32_e32 v1, 0xffffff82
	v_cndmask_b32_e32 v0, v0, v1, vcc
	v_lshrrev_b32_e32 v1, 23, v14
	v_add3_u32 v50, v55, v0, v1
	v_add_u32_e32 v0, 6, v50
	v_and_b32_e32 v1, 0xfffff, v15
	v_add_u32_e32 v2, v1, v14
	v_cmp_ne_u32_e32 vcc, 0, v0
                                        ; implicit-def: $vgpr14_vgpr15
                                        ; implicit-def: $vgpr16
	s_and_saveexec_b64 s[40:41], vcc
	s_xor_b64 s[40:41], exec, s[40:41]
; %bb.9051:                             ;   in Loop: Header=BB4_8585 Depth=3
	v_cmp_lt_u64_e32 vcc, s[88:89], v[2:3]
	v_add_u32_e32 v1, 7, v50
	v_cndmask_b32_e32 v16, v0, v1, vcc
	v_cndmask_b32_e64 v0, 0, 1, vcc
	v_lshrrev_b64 v[14:15], v0, v[2:3]
; %bb.9052:                             ;   in Loop: Header=BB4_8585 Depth=3
	s_andn2_saveexec_b64 s[40:41], s[40:41]
; %bb.9053:                             ;   in Loop: Header=BB4_8585 Depth=3
	v_mov_b32_e32 v15, v3
	v_bfe_u32 v16, v2, 23, 1
	v_mov_b32_e32 v14, v2
; %bb.9054:                             ;   in Loop: Header=BB4_8585 Depth=3
	s_or_b64 exec, exec, s[40:41]
	v_lshrrev_b64 v[0:1], 20, v[14:15]
	v_cmp_gt_i32_e32 vcc, 16, v16
	v_cndmask_b32_e32 v15, 0, v1, vcc
	v_cndmask_b32_e32 v14, 7, v0, vcc
	v_cmp_ne_u64_e32 vcc, 0, v[14:15]
	v_cmp_ne_u32_e64 s[40:41], 0, v16
	s_or_b64 s[40:41], s[40:41], vcc
                                        ; implicit-def: $vgpr50
	s_and_saveexec_b64 vcc, s[40:41]
	s_xor_b64 s[40:41], exec, vcc
; %bb.9055:                             ;   in Loop: Header=BB4_8585 Depth=3
	v_min_i32_e32 v0, 15, v16
	v_lshl_or_b32 v0, v0, 3, v51
	v_and_or_b32 v50, v14, 7, v0
                                        ; implicit-def: $vgpr51
; %bb.9056:                             ;   in Loop: Header=BB4_8585 Depth=3
	s_andn2_saveexec_b64 s[40:41], s[40:41]
; %bb.9057:                             ;   in Loop: Header=BB4_8585 Depth=3
	v_mov_b32_e32 v50, v51
; %bb.9058:                             ;   in Loop: Header=BB4_8585 Depth=3
	s_or_b64 exec, exec, s[40:41]
.LBB4_9059:                             ;   in Loop: Header=BB4_8585 Depth=3
	s_or_b64 exec, exec, s[52:53]
                                        ; implicit-def: $vgpr51
.LBB4_9060:                             ;   in Loop: Header=BB4_8585 Depth=3
	s_andn2_saveexec_b64 s[40:41], s[50:51]
; %bb.9061:                             ;   in Loop: Header=BB4_8585 Depth=3
	v_or_b32_e32 v50, 0x7e, v51
; %bb.9062:                             ;   in Loop: Header=BB4_8585 Depth=3
	s_or_b64 exec, exec, s[40:41]
                                        ; implicit-def: $vgpr14
.LBB4_9063:                             ;   in Loop: Header=BB4_8585 Depth=3
	s_andn2_saveexec_b64 s[40:41], s[48:49]
; %bb.9064:                             ;   in Loop: Header=BB4_8585 Depth=3
	v_or_b32_sdwa v50, v14, s81 dst_sel:DWORD dst_unused:UNUSED_PAD src0_sel:BYTE_3 src1_sel:DWORD
; %bb.9065:                             ;   in Loop: Header=BB4_8585 Depth=3
	s_or_b64 exec, exec, s[40:41]
	v_and_b32_e32 v2, 0xff, v36
	v_cmp_ne_u16_e64 s[40:41], 0, v2
	s_and_b64 vcc, exec, s[28:29]
	s_mov_b64 s[48:49], -1
                                        ; implicit-def: $vgpr14
	s_cbranch_vccnz .LBB4_9079
; %bb.9066:                             ;   in Loop: Header=BB4_8585 Depth=3
	v_mov_b32_e32 v16, 0
	v_mov_b32_e32 v15, 0
	s_and_saveexec_b64 s[48:49], s[40:41]
	s_cbranch_execz .LBB4_9072
; %bb.9067:                             ;   in Loop: Header=BB4_8585 Depth=3
	v_cmp_ne_u16_e32 vcc, s80, v2
	v_bfrev_b32_e32 v15, 1
	s_and_saveexec_b64 s[50:51], vcc
	s_cbranch_execz .LBB4_9071
; %bb.9068:                             ;   in Loop: Header=BB4_8585 Depth=3
	v_and_b32_e32 v0, 0x7f, v36
	v_cmp_ne_u32_e32 vcc, s81, v0
	v_mov_b32_e32 v15, 0x7f800001
	s_and_saveexec_b64 s[52:53], vcc
	s_cbranch_execz .LBB4_9070
; %bb.9069:                             ;   in Loop: Header=BB4_8585 Depth=3
	v_and_b32_e32 v14, 7, v2
	v_lshrrev_b32_e32 v15, 3, v0
	v_cmp_gt_u32_e32 vcc, 8, v0
	v_ffbh_u32_e32 v0, v14
	v_min_u32_e32 v51, 32, v0
	v_subrev_u32_e32 v0, 28, v51
	v_lshlrev_b64 v[0:1], v0, v[2:3]
	v_sub_u32_e32 v1, 29, v51
	v_and_b32_e32 v0, 7, v0
	v_cndmask_b32_e32 v1, v15, v1, vcc
	v_cndmask_b32_e32 v0, v14, v0, vcc
	v_lshlrev_b32_e32 v14, 24, v36
	v_lshlrev_b32_e32 v0, 20, v0
	v_and_b32_e32 v14, 0x80000000, v14
	v_lshl_add_u32 v1, v1, 23, v54
	v_or3_b32 v15, v14, v1, v0
.LBB4_9070:                             ;   in Loop: Header=BB4_8585 Depth=3
	s_or_b64 exec, exec, s[52:53]
.LBB4_9071:                             ;   in Loop: Header=BB4_8585 Depth=3
	s_or_b64 exec, exec, s[50:51]
.LBB4_9072:                             ;   in Loop: Header=BB4_8585 Depth=3
	s_or_b64 exec, exec, s[48:49]
	v_and_b32_e32 v14, 0xff, v35
	v_cmp_ne_u16_e32 vcc, 0, v14
	s_and_saveexec_b64 s[48:49], vcc
	s_cbranch_execz .LBB4_9078
; %bb.9073:                             ;   in Loop: Header=BB4_8585 Depth=3
	v_cmp_ne_u16_e32 vcc, s80, v14
	v_bfrev_b32_e32 v16, 1
	s_and_saveexec_b64 s[50:51], vcc
	s_cbranch_execz .LBB4_9077
; %bb.9074:                             ;   in Loop: Header=BB4_8585 Depth=3
	v_and_b32_e32 v0, 0x7f, v35
	v_cmp_ne_u32_e32 vcc, s81, v0
	v_mov_b32_e32 v16, 0x7f800001
	s_and_saveexec_b64 s[52:53], vcc
	s_cbranch_execz .LBB4_9076
; %bb.9075:                             ;   in Loop: Header=BB4_8585 Depth=3
	v_and_b32_e32 v16, 7, v14
	v_lshrrev_b32_e32 v51, 3, v0
	v_cmp_gt_u32_e32 vcc, 8, v0
	v_ffbh_u32_e32 v0, v16
	v_min_u32_e32 v55, 32, v0
	v_subrev_u32_e32 v0, 28, v55
	v_lshlrev_b64 v[0:1], v0, v[14:15]
	v_sub_u32_e32 v1, 29, v55
	v_and_b32_e32 v0, 7, v0
	v_cndmask_b32_e32 v1, v51, v1, vcc
	v_cndmask_b32_e32 v0, v16, v0, vcc
	v_lshlrev_b32_e32 v14, 24, v35
	v_lshlrev_b32_e32 v0, 20, v0
	v_and_b32_e32 v14, 0x80000000, v14
	v_lshl_add_u32 v1, v1, 23, v54
	v_or3_b32 v16, v14, v1, v0
.LBB4_9076:                             ;   in Loop: Header=BB4_8585 Depth=3
	s_or_b64 exec, exec, s[52:53]
.LBB4_9077:                             ;   in Loop: Header=BB4_8585 Depth=3
	s_or_b64 exec, exec, s[50:51]
.LBB4_9078:                             ;   in Loop: Header=BB4_8585 Depth=3
	s_or_b64 exec, exec, s[48:49]
	v_max_f32_e32 v0, v16, v16
	v_max_f32_e32 v1, v15, v15
	;; [unrolled: 1-line block ×3, first 2 shown]
	s_mov_b64 s[48:49], 0
.LBB4_9079:                             ;   in Loop: Header=BB4_8585 Depth=3
	s_and_b64 vcc, exec, s[48:49]
	s_cbranch_vccz .LBB4_9093
; %bb.9080:                             ;   in Loop: Header=BB4_8585 Depth=3
	v_mov_b32_e32 v15, 0
	v_mov_b32_e32 v14, 0
	s_and_saveexec_b64 s[48:49], s[40:41]
	s_cbranch_execz .LBB4_9086
; %bb.9081:                             ;   in Loop: Header=BB4_8585 Depth=3
	v_cmp_ne_u16_e32 vcc, s80, v2
	v_bfrev_b32_e32 v14, 1
	s_and_saveexec_b64 s[40:41], vcc
	s_cbranch_execz .LBB4_9085
; %bb.9082:                             ;   in Loop: Header=BB4_8585 Depth=3
	v_and_b32_e32 v0, 0x7f, v36
	v_cmp_ne_u32_e32 vcc, s81, v0
	v_mov_b32_e32 v14, 0x7f800001
	s_and_saveexec_b64 s[50:51], vcc
	s_cbranch_execz .LBB4_9084
; %bb.9083:                             ;   in Loop: Header=BB4_8585 Depth=3
	v_and_b32_e32 v14, 7, v2
	v_lshrrev_b32_e32 v16, 3, v0
	v_cmp_gt_u32_e32 vcc, 8, v0
	v_ffbh_u32_e32 v0, v14
	v_min_u32_e32 v51, 32, v0
	v_subrev_u32_e32 v0, 28, v51
	v_lshlrev_b64 v[0:1], v0, v[2:3]
	v_sub_u32_e32 v1, 29, v51
	v_and_b32_e32 v0, 7, v0
	v_cndmask_b32_e32 v1, v16, v1, vcc
	v_cndmask_b32_e32 v0, v14, v0, vcc
	v_lshlrev_b32_e32 v2, 24, v36
	v_lshlrev_b32_e32 v0, 20, v0
	v_and_b32_e32 v2, 0x80000000, v2
	v_lshl_add_u32 v1, v1, 23, v54
	v_or3_b32 v14, v2, v1, v0
.LBB4_9084:                             ;   in Loop: Header=BB4_8585 Depth=3
	s_or_b64 exec, exec, s[50:51]
.LBB4_9085:                             ;   in Loop: Header=BB4_8585 Depth=3
	s_or_b64 exec, exec, s[40:41]
.LBB4_9086:                             ;   in Loop: Header=BB4_8585 Depth=3
	s_or_b64 exec, exec, s[48:49]
	v_and_b32_e32 v2, 0xff, v35
	v_cmp_ne_u16_e32 vcc, 0, v2
	s_and_saveexec_b64 s[40:41], vcc
	s_cbranch_execz .LBB4_9092
; %bb.9087:                             ;   in Loop: Header=BB4_8585 Depth=3
	v_cmp_ne_u16_e32 vcc, s80, v2
	v_bfrev_b32_e32 v15, 1
	s_and_saveexec_b64 s[48:49], vcc
	s_cbranch_execz .LBB4_9091
; %bb.9088:                             ;   in Loop: Header=BB4_8585 Depth=3
	v_and_b32_e32 v0, 0x7f, v35
	v_cmp_ne_u32_e32 vcc, s81, v0
	v_mov_b32_e32 v15, 0x7f800001
	s_and_saveexec_b64 s[50:51], vcc
	s_cbranch_execz .LBB4_9090
; %bb.9089:                             ;   in Loop: Header=BB4_8585 Depth=3
	v_and_b32_e32 v15, 7, v2
	v_lshrrev_b32_e32 v16, 3, v0
	v_cmp_gt_u32_e32 vcc, 8, v0
	v_ffbh_u32_e32 v0, v15
	v_min_u32_e32 v36, 32, v0
	v_subrev_u32_e32 v0, 28, v36
	v_lshlrev_b64 v[0:1], v0, v[2:3]
	v_sub_u32_e32 v1, 29, v36
	v_and_b32_e32 v0, 7, v0
	v_cndmask_b32_e32 v1, v16, v1, vcc
	v_cndmask_b32_e32 v0, v15, v0, vcc
	v_lshlrev_b32_e32 v2, 24, v35
	v_lshlrev_b32_e32 v0, 20, v0
	v_and_b32_e32 v2, 0x80000000, v2
	v_lshl_add_u32 v1, v1, 23, v54
	v_or3_b32 v15, v2, v1, v0
.LBB4_9090:                             ;   in Loop: Header=BB4_8585 Depth=3
	s_or_b64 exec, exec, s[50:51]
.LBB4_9091:                             ;   in Loop: Header=BB4_8585 Depth=3
	s_or_b64 exec, exec, s[48:49]
.LBB4_9092:                             ;   in Loop: Header=BB4_8585 Depth=3
	s_or_b64 exec, exec, s[40:41]
	v_max_f32_e32 v0, v15, v15
	v_max_f32_e32 v1, v14, v14
	v_min_f32_e32 v14, v1, v0
.LBB4_9093:                             ;   in Loop: Header=BB4_8585 Depth=3
	v_and_b32_e32 v2, 0x7f800000, v14
	v_cmp_ne_u64_e32 vcc, s[76:77], v[2:3]
                                        ; implicit-def: $vgpr35
	s_and_saveexec_b64 s[40:41], vcc
	s_xor_b64 s[48:49], exec, s[40:41]
	s_cbranch_execz .LBB4_9111
; %bb.9094:                             ;   in Loop: Header=BB4_8585 Depth=3
	v_and_b32_e32 v2, 0x7fffffff, v14
	v_cmp_gt_u64_e32 vcc, s[78:79], v[2:3]
	v_and_b32_sdwa v36, v14, s80 dst_sel:DWORD dst_unused:UNUSED_PAD src0_sel:BYTE_3 src1_sel:DWORD
                                        ; implicit-def: $vgpr35
	s_and_saveexec_b64 s[40:41], vcc
	s_xor_b64 s[50:51], exec, s[40:41]
	s_cbranch_execz .LBB4_9108
; %bb.9095:                             ;   in Loop: Header=BB4_8585 Depth=3
	v_cmp_ne_u32_e32 vcc, 0, v14
	v_mov_b32_e32 v35, 0
	s_and_saveexec_b64 s[52:53], vcc
	s_cbranch_execz .LBB4_9107
; %bb.9096:                             ;   in Loop: Header=BB4_8585 Depth=3
	v_bfe_u32 v35, v14, 23, 8
	v_cmp_gt_u32_e64 s[40:41], s83, v35
	v_sub_u32_e32 v1, 0x79, v35
	v_and_b32_e32 v0, 0x7fffff, v14
	v_cmp_eq_u32_e32 vcc, 0, v35
	v_cndmask_b32_e64 v1, 0, v1, s[40:41]
	v_mov_b32_e32 v14, 0x78
	v_or_b32_e32 v2, 0x800000, v0
	v_cndmask_b32_e32 v51, v1, v14, vcc
	v_cndmask_b32_e32 v2, v2, v0, vcc
	v_add_u32_e32 v0, 20, v51
	v_lshlrev_b64 v[0:1], v0, -1
	v_add_u32_e32 v14, 19, v51
	v_lshlrev_b64 v[14:15], v14, 1
	v_bfi_b32 v1, v1, 0, 0
	v_bfi_b32 v0, v0, 0, v2
	v_cmp_eq_u64_e64 s[40:41], v[0:1], v[14:15]
	v_lshrrev_b64 v[14:15], v51, v[2:3]
	v_mov_b32_e32 v16, v15
	v_mov_b32_e32 v15, v14
	s_and_saveexec_b64 s[54:55], s[40:41]
; %bb.9097:                             ;   in Loop: Header=BB4_8585 Depth=3
	v_bfe_u32 v0, v14, 20, 1
	v_add_co_u32_e64 v0, s[40:41], v14, v0
	v_add_co_u32_e64 v15, s[40:41], -1, v0
; %bb.9098:                             ;   in Loop: Header=BB4_8585 Depth=3
	s_or_b64 exec, exec, s[54:55]
	v_add_u32_e32 v0, 0xffffff81, v35
	v_mov_b32_e32 v1, 0xffffff82
	v_cndmask_b32_e32 v0, v0, v1, vcc
	v_lshrrev_b32_e32 v1, 23, v14
	v_add3_u32 v35, v51, v0, v1
	v_add_u32_e32 v0, 6, v35
	v_and_b32_e32 v1, 0xfffff, v15
	v_add_u32_e32 v2, v1, v14
	v_cmp_ne_u32_e32 vcc, 0, v0
                                        ; implicit-def: $vgpr14_vgpr15
                                        ; implicit-def: $vgpr16
	s_and_saveexec_b64 s[40:41], vcc
	s_xor_b64 s[40:41], exec, s[40:41]
; %bb.9099:                             ;   in Loop: Header=BB4_8585 Depth=3
	v_cmp_lt_u64_e32 vcc, s[88:89], v[2:3]
	v_add_u32_e32 v1, 7, v35
	v_cndmask_b32_e32 v16, v0, v1, vcc
	v_cndmask_b32_e64 v0, 0, 1, vcc
	v_lshrrev_b64 v[14:15], v0, v[2:3]
; %bb.9100:                             ;   in Loop: Header=BB4_8585 Depth=3
	s_andn2_saveexec_b64 s[40:41], s[40:41]
; %bb.9101:                             ;   in Loop: Header=BB4_8585 Depth=3
	v_mov_b32_e32 v15, v3
	v_bfe_u32 v16, v2, 23, 1
	v_mov_b32_e32 v14, v2
; %bb.9102:                             ;   in Loop: Header=BB4_8585 Depth=3
	s_or_b64 exec, exec, s[40:41]
	v_lshrrev_b64 v[0:1], 20, v[14:15]
	v_cmp_gt_i32_e32 vcc, 16, v16
	v_cndmask_b32_e32 v15, 0, v1, vcc
	v_cndmask_b32_e32 v14, 7, v0, vcc
	v_cmp_ne_u64_e32 vcc, 0, v[14:15]
	v_cmp_ne_u32_e64 s[40:41], 0, v16
	s_or_b64 s[40:41], s[40:41], vcc
                                        ; implicit-def: $vgpr35
	s_and_saveexec_b64 vcc, s[40:41]
	s_xor_b64 s[40:41], exec, vcc
; %bb.9103:                             ;   in Loop: Header=BB4_8585 Depth=3
	v_min_i32_e32 v0, 15, v16
	v_lshl_or_b32 v0, v0, 3, v36
	v_and_or_b32 v35, v14, 7, v0
                                        ; implicit-def: $vgpr36
; %bb.9104:                             ;   in Loop: Header=BB4_8585 Depth=3
	s_andn2_saveexec_b64 s[40:41], s[40:41]
; %bb.9105:                             ;   in Loop: Header=BB4_8585 Depth=3
	v_mov_b32_e32 v35, v36
; %bb.9106:                             ;   in Loop: Header=BB4_8585 Depth=3
	s_or_b64 exec, exec, s[40:41]
.LBB4_9107:                             ;   in Loop: Header=BB4_8585 Depth=3
	s_or_b64 exec, exec, s[52:53]
                                        ; implicit-def: $vgpr36
.LBB4_9108:                             ;   in Loop: Header=BB4_8585 Depth=3
	s_andn2_saveexec_b64 s[40:41], s[50:51]
; %bb.9109:                             ;   in Loop: Header=BB4_8585 Depth=3
	v_or_b32_e32 v35, 0x7e, v36
; %bb.9110:                             ;   in Loop: Header=BB4_8585 Depth=3
	s_or_b64 exec, exec, s[40:41]
                                        ; implicit-def: $vgpr14
.LBB4_9111:                             ;   in Loop: Header=BB4_8585 Depth=3
	s_andn2_saveexec_b64 s[40:41], s[48:49]
; %bb.9112:                             ;   in Loop: Header=BB4_8585 Depth=3
	v_or_b32_sdwa v35, v14, s81 dst_sel:DWORD dst_unused:UNUSED_PAD src0_sel:BYTE_3 src1_sel:DWORD
; %bb.9113:                             ;   in Loop: Header=BB4_8585 Depth=3
	s_or_b64 exec, exec, s[40:41]
	v_and_b32_e32 v2, 0xff, v31
	v_cmp_ne_u16_e64 s[40:41], 0, v2
	s_and_b64 vcc, exec, s[28:29]
	s_mov_b64 s[48:49], -1
                                        ; implicit-def: $vgpr14
	s_cbranch_vccnz .LBB4_9127
; %bb.9114:                             ;   in Loop: Header=BB4_8585 Depth=3
	v_mov_b32_e32 v16, 0
	v_mov_b32_e32 v15, 0
	s_and_saveexec_b64 s[48:49], s[40:41]
	s_cbranch_execz .LBB4_9120
; %bb.9115:                             ;   in Loop: Header=BB4_8585 Depth=3
	v_cmp_ne_u16_e32 vcc, s80, v2
	v_bfrev_b32_e32 v15, 1
	s_and_saveexec_b64 s[50:51], vcc
	s_cbranch_execz .LBB4_9119
; %bb.9116:                             ;   in Loop: Header=BB4_8585 Depth=3
	v_and_b32_e32 v0, 0x7f, v31
	v_cmp_ne_u32_e32 vcc, s81, v0
	v_mov_b32_e32 v15, 0x7f800001
	s_and_saveexec_b64 s[52:53], vcc
	s_cbranch_execz .LBB4_9118
; %bb.9117:                             ;   in Loop: Header=BB4_8585 Depth=3
	v_and_b32_e32 v14, 7, v2
	v_lshrrev_b32_e32 v15, 3, v0
	v_cmp_gt_u32_e32 vcc, 8, v0
	v_ffbh_u32_e32 v0, v14
	v_min_u32_e32 v36, 32, v0
	v_subrev_u32_e32 v0, 28, v36
	v_lshlrev_b64 v[0:1], v0, v[2:3]
	v_sub_u32_e32 v1, 29, v36
	v_and_b32_e32 v0, 7, v0
	v_cndmask_b32_e32 v1, v15, v1, vcc
	v_cndmask_b32_e32 v0, v14, v0, vcc
	v_lshlrev_b32_e32 v14, 24, v31
	v_lshlrev_b32_e32 v0, 20, v0
	v_and_b32_e32 v14, 0x80000000, v14
	v_lshl_add_u32 v1, v1, 23, v54
	v_or3_b32 v15, v14, v1, v0
.LBB4_9118:                             ;   in Loop: Header=BB4_8585 Depth=3
	s_or_b64 exec, exec, s[52:53]
.LBB4_9119:                             ;   in Loop: Header=BB4_8585 Depth=3
	s_or_b64 exec, exec, s[50:51]
.LBB4_9120:                             ;   in Loop: Header=BB4_8585 Depth=3
	s_or_b64 exec, exec, s[48:49]
	v_and_b32_e32 v14, 0xff, v30
	v_cmp_ne_u16_e32 vcc, 0, v14
	s_and_saveexec_b64 s[48:49], vcc
	s_cbranch_execz .LBB4_9126
; %bb.9121:                             ;   in Loop: Header=BB4_8585 Depth=3
	v_cmp_ne_u16_e32 vcc, s80, v14
	v_bfrev_b32_e32 v16, 1
	s_and_saveexec_b64 s[50:51], vcc
	s_cbranch_execz .LBB4_9125
; %bb.9122:                             ;   in Loop: Header=BB4_8585 Depth=3
	v_and_b32_e32 v0, 0x7f, v30
	v_cmp_ne_u32_e32 vcc, s81, v0
	v_mov_b32_e32 v16, 0x7f800001
	s_and_saveexec_b64 s[52:53], vcc
	s_cbranch_execz .LBB4_9124
; %bb.9123:                             ;   in Loop: Header=BB4_8585 Depth=3
	v_and_b32_e32 v16, 7, v14
	v_lshrrev_b32_e32 v36, 3, v0
	v_cmp_gt_u32_e32 vcc, 8, v0
	v_ffbh_u32_e32 v0, v16
	v_min_u32_e32 v51, 32, v0
	v_subrev_u32_e32 v0, 28, v51
	v_lshlrev_b64 v[0:1], v0, v[14:15]
	v_sub_u32_e32 v1, 29, v51
	v_and_b32_e32 v0, 7, v0
	v_cndmask_b32_e32 v1, v36, v1, vcc
	v_cndmask_b32_e32 v0, v16, v0, vcc
	v_lshlrev_b32_e32 v14, 24, v30
	v_lshlrev_b32_e32 v0, 20, v0
	v_and_b32_e32 v14, 0x80000000, v14
	v_lshl_add_u32 v1, v1, 23, v54
	v_or3_b32 v16, v14, v1, v0
.LBB4_9124:                             ;   in Loop: Header=BB4_8585 Depth=3
	s_or_b64 exec, exec, s[52:53]
.LBB4_9125:                             ;   in Loop: Header=BB4_8585 Depth=3
	s_or_b64 exec, exec, s[50:51]
.LBB4_9126:                             ;   in Loop: Header=BB4_8585 Depth=3
	s_or_b64 exec, exec, s[48:49]
	v_max_f32_e32 v0, v16, v16
	v_max_f32_e32 v1, v15, v15
	;; [unrolled: 1-line block ×3, first 2 shown]
	s_mov_b64 s[48:49], 0
.LBB4_9127:                             ;   in Loop: Header=BB4_8585 Depth=3
	s_and_b64 vcc, exec, s[48:49]
	s_cbranch_vccz .LBB4_9141
; %bb.9128:                             ;   in Loop: Header=BB4_8585 Depth=3
	v_mov_b32_e32 v15, 0
	v_mov_b32_e32 v14, 0
	s_and_saveexec_b64 s[48:49], s[40:41]
	s_cbranch_execz .LBB4_9134
; %bb.9129:                             ;   in Loop: Header=BB4_8585 Depth=3
	v_cmp_ne_u16_e32 vcc, s80, v2
	v_bfrev_b32_e32 v14, 1
	s_and_saveexec_b64 s[40:41], vcc
	s_cbranch_execz .LBB4_9133
; %bb.9130:                             ;   in Loop: Header=BB4_8585 Depth=3
	v_and_b32_e32 v0, 0x7f, v31
	v_cmp_ne_u32_e32 vcc, s81, v0
	v_mov_b32_e32 v14, 0x7f800001
	s_and_saveexec_b64 s[50:51], vcc
	s_cbranch_execz .LBB4_9132
; %bb.9131:                             ;   in Loop: Header=BB4_8585 Depth=3
	v_and_b32_e32 v14, 7, v2
	v_lshrrev_b32_e32 v16, 3, v0
	v_cmp_gt_u32_e32 vcc, 8, v0
	v_ffbh_u32_e32 v0, v14
	v_min_u32_e32 v36, 32, v0
	v_subrev_u32_e32 v0, 28, v36
	v_lshlrev_b64 v[0:1], v0, v[2:3]
	v_sub_u32_e32 v1, 29, v36
	v_and_b32_e32 v0, 7, v0
	v_cndmask_b32_e32 v1, v16, v1, vcc
	v_cndmask_b32_e32 v0, v14, v0, vcc
	v_lshlrev_b32_e32 v2, 24, v31
	v_lshlrev_b32_e32 v0, 20, v0
	v_and_b32_e32 v2, 0x80000000, v2
	v_lshl_add_u32 v1, v1, 23, v54
	v_or3_b32 v14, v2, v1, v0
.LBB4_9132:                             ;   in Loop: Header=BB4_8585 Depth=3
	s_or_b64 exec, exec, s[50:51]
.LBB4_9133:                             ;   in Loop: Header=BB4_8585 Depth=3
	s_or_b64 exec, exec, s[40:41]
.LBB4_9134:                             ;   in Loop: Header=BB4_8585 Depth=3
	s_or_b64 exec, exec, s[48:49]
	v_and_b32_e32 v2, 0xff, v30
	v_cmp_ne_u16_e32 vcc, 0, v2
	s_and_saveexec_b64 s[40:41], vcc
	s_cbranch_execz .LBB4_9140
; %bb.9135:                             ;   in Loop: Header=BB4_8585 Depth=3
	v_cmp_ne_u16_e32 vcc, s80, v2
	v_bfrev_b32_e32 v15, 1
	s_and_saveexec_b64 s[48:49], vcc
	s_cbranch_execz .LBB4_9139
; %bb.9136:                             ;   in Loop: Header=BB4_8585 Depth=3
	v_and_b32_e32 v0, 0x7f, v30
	v_cmp_ne_u32_e32 vcc, s81, v0
	v_mov_b32_e32 v15, 0x7f800001
	s_and_saveexec_b64 s[50:51], vcc
	s_cbranch_execz .LBB4_9138
; %bb.9137:                             ;   in Loop: Header=BB4_8585 Depth=3
	v_and_b32_e32 v15, 7, v2
	v_lshrrev_b32_e32 v16, 3, v0
	v_cmp_gt_u32_e32 vcc, 8, v0
	v_ffbh_u32_e32 v0, v15
	v_min_u32_e32 v31, 32, v0
	v_subrev_u32_e32 v0, 28, v31
	v_lshlrev_b64 v[0:1], v0, v[2:3]
	v_sub_u32_e32 v1, 29, v31
	v_and_b32_e32 v0, 7, v0
	v_cndmask_b32_e32 v1, v16, v1, vcc
	v_cndmask_b32_e32 v0, v15, v0, vcc
	v_lshlrev_b32_e32 v2, 24, v30
	v_lshlrev_b32_e32 v0, 20, v0
	v_and_b32_e32 v2, 0x80000000, v2
	v_lshl_add_u32 v1, v1, 23, v54
	v_or3_b32 v15, v2, v1, v0
.LBB4_9138:                             ;   in Loop: Header=BB4_8585 Depth=3
	s_or_b64 exec, exec, s[50:51]
.LBB4_9139:                             ;   in Loop: Header=BB4_8585 Depth=3
	s_or_b64 exec, exec, s[48:49]
.LBB4_9140:                             ;   in Loop: Header=BB4_8585 Depth=3
	s_or_b64 exec, exec, s[40:41]
	v_max_f32_e32 v0, v15, v15
	v_max_f32_e32 v1, v14, v14
	v_min_f32_e32 v14, v1, v0
.LBB4_9141:                             ;   in Loop: Header=BB4_8585 Depth=3
	v_and_b32_e32 v2, 0x7f800000, v14
	v_cmp_ne_u64_e32 vcc, s[76:77], v[2:3]
                                        ; implicit-def: $vgpr30
	s_and_saveexec_b64 s[40:41], vcc
	s_xor_b64 s[48:49], exec, s[40:41]
	s_cbranch_execz .LBB4_9159
; %bb.9142:                             ;   in Loop: Header=BB4_8585 Depth=3
	v_and_b32_e32 v2, 0x7fffffff, v14
	v_cmp_gt_u64_e32 vcc, s[78:79], v[2:3]
	v_and_b32_sdwa v31, v14, s80 dst_sel:DWORD dst_unused:UNUSED_PAD src0_sel:BYTE_3 src1_sel:DWORD
                                        ; implicit-def: $vgpr30
	s_and_saveexec_b64 s[40:41], vcc
	s_xor_b64 s[50:51], exec, s[40:41]
	s_cbranch_execz .LBB4_9156
; %bb.9143:                             ;   in Loop: Header=BB4_8585 Depth=3
	v_cmp_ne_u32_e32 vcc, 0, v14
	v_mov_b32_e32 v30, 0
	s_and_saveexec_b64 s[52:53], vcc
	s_cbranch_execz .LBB4_9155
; %bb.9144:                             ;   in Loop: Header=BB4_8585 Depth=3
	v_bfe_u32 v30, v14, 23, 8
	v_cmp_gt_u32_e64 s[40:41], s83, v30
	v_sub_u32_e32 v1, 0x79, v30
	v_and_b32_e32 v0, 0x7fffff, v14
	v_cmp_eq_u32_e32 vcc, 0, v30
	v_cndmask_b32_e64 v1, 0, v1, s[40:41]
	v_mov_b32_e32 v14, 0x78
	v_or_b32_e32 v2, 0x800000, v0
	v_cndmask_b32_e32 v36, v1, v14, vcc
	v_cndmask_b32_e32 v2, v2, v0, vcc
	v_add_u32_e32 v0, 20, v36
	v_lshlrev_b64 v[0:1], v0, -1
	v_add_u32_e32 v14, 19, v36
	v_lshlrev_b64 v[14:15], v14, 1
	v_bfi_b32 v1, v1, 0, 0
	v_bfi_b32 v0, v0, 0, v2
	v_cmp_eq_u64_e64 s[40:41], v[0:1], v[14:15]
	v_lshrrev_b64 v[14:15], v36, v[2:3]
	v_mov_b32_e32 v16, v15
	v_mov_b32_e32 v15, v14
	s_and_saveexec_b64 s[54:55], s[40:41]
; %bb.9145:                             ;   in Loop: Header=BB4_8585 Depth=3
	v_bfe_u32 v0, v14, 20, 1
	v_add_co_u32_e64 v0, s[40:41], v14, v0
	v_add_co_u32_e64 v15, s[40:41], -1, v0
; %bb.9146:                             ;   in Loop: Header=BB4_8585 Depth=3
	s_or_b64 exec, exec, s[54:55]
	v_add_u32_e32 v0, 0xffffff81, v30
	v_mov_b32_e32 v1, 0xffffff82
	v_cndmask_b32_e32 v0, v0, v1, vcc
	v_lshrrev_b32_e32 v1, 23, v14
	v_add3_u32 v30, v36, v0, v1
	v_add_u32_e32 v0, 6, v30
	v_and_b32_e32 v1, 0xfffff, v15
	v_add_u32_e32 v2, v1, v14
	v_cmp_ne_u32_e32 vcc, 0, v0
                                        ; implicit-def: $vgpr14_vgpr15
                                        ; implicit-def: $vgpr16
	s_and_saveexec_b64 s[40:41], vcc
	s_xor_b64 s[40:41], exec, s[40:41]
; %bb.9147:                             ;   in Loop: Header=BB4_8585 Depth=3
	v_cmp_lt_u64_e32 vcc, s[88:89], v[2:3]
	v_add_u32_e32 v1, 7, v30
	v_cndmask_b32_e32 v16, v0, v1, vcc
	v_cndmask_b32_e64 v0, 0, 1, vcc
	v_lshrrev_b64 v[14:15], v0, v[2:3]
; %bb.9148:                             ;   in Loop: Header=BB4_8585 Depth=3
	s_andn2_saveexec_b64 s[40:41], s[40:41]
; %bb.9149:                             ;   in Loop: Header=BB4_8585 Depth=3
	v_mov_b32_e32 v15, v3
	v_bfe_u32 v16, v2, 23, 1
	v_mov_b32_e32 v14, v2
; %bb.9150:                             ;   in Loop: Header=BB4_8585 Depth=3
	s_or_b64 exec, exec, s[40:41]
	v_lshrrev_b64 v[0:1], 20, v[14:15]
	v_cmp_gt_i32_e32 vcc, 16, v16
	v_cndmask_b32_e32 v15, 0, v1, vcc
	v_cndmask_b32_e32 v14, 7, v0, vcc
	v_cmp_ne_u64_e32 vcc, 0, v[14:15]
	v_cmp_ne_u32_e64 s[40:41], 0, v16
	s_or_b64 s[40:41], s[40:41], vcc
                                        ; implicit-def: $vgpr30
	s_and_saveexec_b64 vcc, s[40:41]
	s_xor_b64 s[40:41], exec, vcc
; %bb.9151:                             ;   in Loop: Header=BB4_8585 Depth=3
	v_min_i32_e32 v0, 15, v16
	v_lshl_or_b32 v0, v0, 3, v31
	v_and_or_b32 v30, v14, 7, v0
                                        ; implicit-def: $vgpr31
; %bb.9152:                             ;   in Loop: Header=BB4_8585 Depth=3
	s_andn2_saveexec_b64 s[40:41], s[40:41]
; %bb.9153:                             ;   in Loop: Header=BB4_8585 Depth=3
	v_mov_b32_e32 v30, v31
; %bb.9154:                             ;   in Loop: Header=BB4_8585 Depth=3
	s_or_b64 exec, exec, s[40:41]
.LBB4_9155:                             ;   in Loop: Header=BB4_8585 Depth=3
	s_or_b64 exec, exec, s[52:53]
                                        ; implicit-def: $vgpr31
.LBB4_9156:                             ;   in Loop: Header=BB4_8585 Depth=3
	s_andn2_saveexec_b64 s[40:41], s[50:51]
; %bb.9157:                             ;   in Loop: Header=BB4_8585 Depth=3
	v_or_b32_e32 v30, 0x7e, v31
; %bb.9158:                             ;   in Loop: Header=BB4_8585 Depth=3
	s_or_b64 exec, exec, s[40:41]
                                        ; implicit-def: $vgpr14
.LBB4_9159:                             ;   in Loop: Header=BB4_8585 Depth=3
	s_andn2_saveexec_b64 s[40:41], s[48:49]
; %bb.9160:                             ;   in Loop: Header=BB4_8585 Depth=3
	v_or_b32_sdwa v30, v14, s81 dst_sel:DWORD dst_unused:UNUSED_PAD src0_sel:BYTE_3 src1_sel:DWORD
; %bb.9161:                             ;   in Loop: Header=BB4_8585 Depth=3
	s_or_b64 exec, exec, s[40:41]
	v_and_b32_e32 v2, 0xff, v28
	v_cmp_ne_u16_e64 s[40:41], 0, v2
	s_and_b64 vcc, exec, s[28:29]
	s_mov_b64 s[48:49], -1
                                        ; implicit-def: $vgpr14
	s_cbranch_vccnz .LBB4_9175
; %bb.9162:                             ;   in Loop: Header=BB4_8585 Depth=3
	v_mov_b32_e32 v16, 0
	v_mov_b32_e32 v15, 0
	s_and_saveexec_b64 s[48:49], s[40:41]
	s_cbranch_execz .LBB4_9168
; %bb.9163:                             ;   in Loop: Header=BB4_8585 Depth=3
	v_cmp_ne_u16_e32 vcc, s80, v2
	v_bfrev_b32_e32 v15, 1
	s_and_saveexec_b64 s[50:51], vcc
	s_cbranch_execz .LBB4_9167
; %bb.9164:                             ;   in Loop: Header=BB4_8585 Depth=3
	v_and_b32_e32 v0, 0x7f, v28
	v_cmp_ne_u32_e32 vcc, s81, v0
	v_mov_b32_e32 v15, 0x7f800001
	s_and_saveexec_b64 s[52:53], vcc
	s_cbranch_execz .LBB4_9166
; %bb.9165:                             ;   in Loop: Header=BB4_8585 Depth=3
	v_and_b32_e32 v14, 7, v2
	v_lshrrev_b32_e32 v15, 3, v0
	v_cmp_gt_u32_e32 vcc, 8, v0
	v_ffbh_u32_e32 v0, v14
	v_min_u32_e32 v31, 32, v0
	v_subrev_u32_e32 v0, 28, v31
	v_lshlrev_b64 v[0:1], v0, v[2:3]
	v_sub_u32_e32 v1, 29, v31
	v_and_b32_e32 v0, 7, v0
	v_cndmask_b32_e32 v1, v15, v1, vcc
	v_cndmask_b32_e32 v0, v14, v0, vcc
	v_lshlrev_b32_e32 v14, 24, v28
	v_lshlrev_b32_e32 v0, 20, v0
	v_and_b32_e32 v14, 0x80000000, v14
	v_lshl_add_u32 v1, v1, 23, v54
	v_or3_b32 v15, v14, v1, v0
.LBB4_9166:                             ;   in Loop: Header=BB4_8585 Depth=3
	s_or_b64 exec, exec, s[52:53]
.LBB4_9167:                             ;   in Loop: Header=BB4_8585 Depth=3
	s_or_b64 exec, exec, s[50:51]
.LBB4_9168:                             ;   in Loop: Header=BB4_8585 Depth=3
	s_or_b64 exec, exec, s[48:49]
	v_and_b32_e32 v14, 0xff, v6
	v_cmp_ne_u16_e32 vcc, 0, v14
	s_and_saveexec_b64 s[48:49], vcc
	s_cbranch_execz .LBB4_9174
; %bb.9169:                             ;   in Loop: Header=BB4_8585 Depth=3
	v_cmp_ne_u16_e32 vcc, s80, v14
	v_bfrev_b32_e32 v16, 1
	s_and_saveexec_b64 s[50:51], vcc
	s_cbranch_execz .LBB4_9173
; %bb.9170:                             ;   in Loop: Header=BB4_8585 Depth=3
	v_and_b32_e32 v0, 0x7f, v6
	v_cmp_ne_u32_e32 vcc, s81, v0
	v_mov_b32_e32 v16, 0x7f800001
	s_and_saveexec_b64 s[52:53], vcc
	s_cbranch_execz .LBB4_9172
; %bb.9171:                             ;   in Loop: Header=BB4_8585 Depth=3
	v_and_b32_e32 v16, 7, v14
	v_lshrrev_b32_e32 v31, 3, v0
	v_cmp_gt_u32_e32 vcc, 8, v0
	v_ffbh_u32_e32 v0, v16
	v_min_u32_e32 v36, 32, v0
	v_subrev_u32_e32 v0, 28, v36
	v_lshlrev_b64 v[0:1], v0, v[14:15]
	v_sub_u32_e32 v1, 29, v36
	v_and_b32_e32 v0, 7, v0
	v_cndmask_b32_e32 v1, v31, v1, vcc
	v_cndmask_b32_e32 v0, v16, v0, vcc
	v_lshlrev_b32_e32 v14, 24, v6
	v_lshlrev_b32_e32 v0, 20, v0
	v_and_b32_e32 v14, 0x80000000, v14
	v_lshl_add_u32 v1, v1, 23, v54
	v_or3_b32 v16, v14, v1, v0
.LBB4_9172:                             ;   in Loop: Header=BB4_8585 Depth=3
	s_or_b64 exec, exec, s[52:53]
.LBB4_9173:                             ;   in Loop: Header=BB4_8585 Depth=3
	s_or_b64 exec, exec, s[50:51]
.LBB4_9174:                             ;   in Loop: Header=BB4_8585 Depth=3
	s_or_b64 exec, exec, s[48:49]
	v_max_f32_e32 v0, v16, v16
	v_max_f32_e32 v1, v15, v15
	;; [unrolled: 1-line block ×3, first 2 shown]
	s_mov_b64 s[48:49], 0
.LBB4_9175:                             ;   in Loop: Header=BB4_8585 Depth=3
	s_and_b64 vcc, exec, s[48:49]
	s_cbranch_vccz .LBB4_9189
; %bb.9176:                             ;   in Loop: Header=BB4_8585 Depth=3
	v_mov_b32_e32 v15, 0
	v_mov_b32_e32 v14, 0
	s_and_saveexec_b64 s[48:49], s[40:41]
	s_cbranch_execz .LBB4_9182
; %bb.9177:                             ;   in Loop: Header=BB4_8585 Depth=3
	v_cmp_ne_u16_e32 vcc, s80, v2
	v_bfrev_b32_e32 v14, 1
	s_and_saveexec_b64 s[40:41], vcc
	s_cbranch_execz .LBB4_9181
; %bb.9178:                             ;   in Loop: Header=BB4_8585 Depth=3
	v_and_b32_e32 v0, 0x7f, v28
	v_cmp_ne_u32_e32 vcc, s81, v0
	v_mov_b32_e32 v14, 0x7f800001
	s_and_saveexec_b64 s[50:51], vcc
	s_cbranch_execz .LBB4_9180
; %bb.9179:                             ;   in Loop: Header=BB4_8585 Depth=3
	v_and_b32_e32 v14, 7, v2
	v_lshrrev_b32_e32 v16, 3, v0
	v_cmp_gt_u32_e32 vcc, 8, v0
	v_ffbh_u32_e32 v0, v14
	v_min_u32_e32 v31, 32, v0
	v_subrev_u32_e32 v0, 28, v31
	v_lshlrev_b64 v[0:1], v0, v[2:3]
	v_sub_u32_e32 v1, 29, v31
	v_and_b32_e32 v0, 7, v0
	v_cndmask_b32_e32 v1, v16, v1, vcc
	v_cndmask_b32_e32 v0, v14, v0, vcc
	v_lshlrev_b32_e32 v2, 24, v28
	v_lshlrev_b32_e32 v0, 20, v0
	v_and_b32_e32 v2, 0x80000000, v2
	v_lshl_add_u32 v1, v1, 23, v54
	v_or3_b32 v14, v2, v1, v0
.LBB4_9180:                             ;   in Loop: Header=BB4_8585 Depth=3
	s_or_b64 exec, exec, s[50:51]
.LBB4_9181:                             ;   in Loop: Header=BB4_8585 Depth=3
	s_or_b64 exec, exec, s[40:41]
.LBB4_9182:                             ;   in Loop: Header=BB4_8585 Depth=3
	s_or_b64 exec, exec, s[48:49]
	v_and_b32_e32 v2, 0xff, v6
	v_cmp_ne_u16_e32 vcc, 0, v2
	s_and_saveexec_b64 s[40:41], vcc
	s_cbranch_execz .LBB4_9188
; %bb.9183:                             ;   in Loop: Header=BB4_8585 Depth=3
	v_cmp_ne_u16_e32 vcc, s80, v2
	v_bfrev_b32_e32 v15, 1
	s_and_saveexec_b64 s[48:49], vcc
	s_cbranch_execz .LBB4_9187
; %bb.9184:                             ;   in Loop: Header=BB4_8585 Depth=3
	v_and_b32_e32 v0, 0x7f, v6
	v_cmp_ne_u32_e32 vcc, s81, v0
	v_mov_b32_e32 v15, 0x7f800001
	s_and_saveexec_b64 s[50:51], vcc
	s_cbranch_execz .LBB4_9186
; %bb.9185:                             ;   in Loop: Header=BB4_8585 Depth=3
	v_and_b32_e32 v15, 7, v2
	v_lshrrev_b32_e32 v16, 3, v0
	v_cmp_gt_u32_e32 vcc, 8, v0
	v_ffbh_u32_e32 v0, v15
	v_min_u32_e32 v28, 32, v0
	v_subrev_u32_e32 v0, 28, v28
	v_lshlrev_b64 v[0:1], v0, v[2:3]
	v_sub_u32_e32 v1, 29, v28
	v_and_b32_e32 v0, 7, v0
	v_cndmask_b32_e32 v1, v16, v1, vcc
	v_cndmask_b32_e32 v0, v15, v0, vcc
	v_lshlrev_b32_e32 v2, 24, v6
	v_lshlrev_b32_e32 v0, 20, v0
	v_and_b32_e32 v2, 0x80000000, v2
	v_lshl_add_u32 v1, v1, 23, v54
	v_or3_b32 v15, v2, v1, v0
.LBB4_9186:                             ;   in Loop: Header=BB4_8585 Depth=3
	s_or_b64 exec, exec, s[50:51]
.LBB4_9187:                             ;   in Loop: Header=BB4_8585 Depth=3
	s_or_b64 exec, exec, s[48:49]
.LBB4_9188:                             ;   in Loop: Header=BB4_8585 Depth=3
	s_or_b64 exec, exec, s[40:41]
	v_max_f32_e32 v0, v15, v15
	v_max_f32_e32 v1, v14, v14
	v_min_f32_e32 v14, v1, v0
.LBB4_9189:                             ;   in Loop: Header=BB4_8585 Depth=3
	v_and_b32_e32 v2, 0x7f800000, v14
	v_cmp_ne_u64_e32 vcc, s[76:77], v[2:3]
                                        ; implicit-def: $vgpr6
	s_and_saveexec_b64 s[40:41], vcc
	s_xor_b64 s[48:49], exec, s[40:41]
	s_cbranch_execz .LBB4_9207
; %bb.9190:                             ;   in Loop: Header=BB4_8585 Depth=3
	v_and_b32_e32 v2, 0x7fffffff, v14
	v_cmp_gt_u64_e32 vcc, s[78:79], v[2:3]
	v_and_b32_sdwa v28, v14, s80 dst_sel:DWORD dst_unused:UNUSED_PAD src0_sel:BYTE_3 src1_sel:DWORD
                                        ; implicit-def: $vgpr6
	s_and_saveexec_b64 s[40:41], vcc
	s_xor_b64 s[50:51], exec, s[40:41]
	s_cbranch_execz .LBB4_9204
; %bb.9191:                             ;   in Loop: Header=BB4_8585 Depth=3
	v_cmp_ne_u32_e32 vcc, 0, v14
	v_mov_b32_e32 v6, 0
	s_and_saveexec_b64 s[52:53], vcc
	s_cbranch_execz .LBB4_9203
; %bb.9192:                             ;   in Loop: Header=BB4_8585 Depth=3
	v_bfe_u32 v6, v14, 23, 8
	v_cmp_gt_u32_e64 s[40:41], s83, v6
	v_sub_u32_e32 v1, 0x79, v6
	v_and_b32_e32 v0, 0x7fffff, v14
	v_cmp_eq_u32_e32 vcc, 0, v6
	v_cndmask_b32_e64 v1, 0, v1, s[40:41]
	v_mov_b32_e32 v14, 0x78
	v_or_b32_e32 v2, 0x800000, v0
	v_cndmask_b32_e32 v31, v1, v14, vcc
	v_cndmask_b32_e32 v2, v2, v0, vcc
	v_add_u32_e32 v0, 20, v31
	v_lshlrev_b64 v[0:1], v0, -1
	v_add_u32_e32 v14, 19, v31
	v_lshlrev_b64 v[14:15], v14, 1
	v_bfi_b32 v1, v1, 0, 0
	v_bfi_b32 v0, v0, 0, v2
	v_cmp_eq_u64_e64 s[40:41], v[0:1], v[14:15]
	v_lshrrev_b64 v[14:15], v31, v[2:3]
	v_mov_b32_e32 v16, v15
	v_mov_b32_e32 v15, v14
	s_and_saveexec_b64 s[54:55], s[40:41]
; %bb.9193:                             ;   in Loop: Header=BB4_8585 Depth=3
	v_bfe_u32 v0, v14, 20, 1
	v_add_co_u32_e64 v0, s[40:41], v14, v0
	v_add_co_u32_e64 v15, s[40:41], -1, v0
; %bb.9194:                             ;   in Loop: Header=BB4_8585 Depth=3
	s_or_b64 exec, exec, s[54:55]
	v_add_u32_e32 v0, 0xffffff81, v6
	v_mov_b32_e32 v1, 0xffffff82
	v_cndmask_b32_e32 v0, v0, v1, vcc
	v_lshrrev_b32_e32 v1, 23, v14
	v_add3_u32 v6, v31, v0, v1
	v_add_u32_e32 v0, 6, v6
	v_and_b32_e32 v1, 0xfffff, v15
	v_add_u32_e32 v2, v1, v14
	v_cmp_ne_u32_e32 vcc, 0, v0
                                        ; implicit-def: $vgpr14_vgpr15
                                        ; implicit-def: $vgpr16
	s_and_saveexec_b64 s[40:41], vcc
	s_xor_b64 s[40:41], exec, s[40:41]
; %bb.9195:                             ;   in Loop: Header=BB4_8585 Depth=3
	v_cmp_lt_u64_e32 vcc, s[88:89], v[2:3]
	v_add_u32_e32 v1, 7, v6
	v_cndmask_b32_e32 v16, v0, v1, vcc
	v_cndmask_b32_e64 v0, 0, 1, vcc
	v_lshrrev_b64 v[14:15], v0, v[2:3]
; %bb.9196:                             ;   in Loop: Header=BB4_8585 Depth=3
	s_andn2_saveexec_b64 s[40:41], s[40:41]
; %bb.9197:                             ;   in Loop: Header=BB4_8585 Depth=3
	v_mov_b32_e32 v15, v3
	v_bfe_u32 v16, v2, 23, 1
	v_mov_b32_e32 v14, v2
; %bb.9198:                             ;   in Loop: Header=BB4_8585 Depth=3
	s_or_b64 exec, exec, s[40:41]
	v_lshrrev_b64 v[0:1], 20, v[14:15]
	v_cmp_gt_i32_e32 vcc, 16, v16
	v_cndmask_b32_e32 v15, 0, v1, vcc
	v_cndmask_b32_e32 v14, 7, v0, vcc
	v_cmp_ne_u64_e32 vcc, 0, v[14:15]
	v_cmp_ne_u32_e64 s[40:41], 0, v16
	s_or_b64 s[40:41], s[40:41], vcc
                                        ; implicit-def: $vgpr6
	s_and_saveexec_b64 vcc, s[40:41]
	s_xor_b64 s[40:41], exec, vcc
; %bb.9199:                             ;   in Loop: Header=BB4_8585 Depth=3
	v_min_i32_e32 v0, 15, v16
	v_lshl_or_b32 v0, v0, 3, v28
	v_and_or_b32 v6, v14, 7, v0
                                        ; implicit-def: $vgpr28
; %bb.9200:                             ;   in Loop: Header=BB4_8585 Depth=3
	s_andn2_saveexec_b64 s[40:41], s[40:41]
; %bb.9201:                             ;   in Loop: Header=BB4_8585 Depth=3
	v_mov_b32_e32 v6, v28
; %bb.9202:                             ;   in Loop: Header=BB4_8585 Depth=3
	s_or_b64 exec, exec, s[40:41]
.LBB4_9203:                             ;   in Loop: Header=BB4_8585 Depth=3
	s_or_b64 exec, exec, s[52:53]
                                        ; implicit-def: $vgpr28
.LBB4_9204:                             ;   in Loop: Header=BB4_8585 Depth=3
	s_andn2_saveexec_b64 s[40:41], s[50:51]
; %bb.9205:                             ;   in Loop: Header=BB4_8585 Depth=3
	v_or_b32_e32 v6, 0x7e, v28
; %bb.9206:                             ;   in Loop: Header=BB4_8585 Depth=3
	s_or_b64 exec, exec, s[40:41]
                                        ; implicit-def: $vgpr14
.LBB4_9207:                             ;   in Loop: Header=BB4_8585 Depth=3
	s_andn2_saveexec_b64 s[40:41], s[48:49]
; %bb.9208:                             ;   in Loop: Header=BB4_8585 Depth=3
	v_or_b32_sdwa v6, v14, s81 dst_sel:DWORD dst_unused:UNUSED_PAD src0_sel:BYTE_3 src1_sel:DWORD
; %bb.9209:                             ;   in Loop: Header=BB4_8585 Depth=3
	s_or_b64 exec, exec, s[40:41]
	v_and_b32_e32 v2, 0xff, v26
	v_cmp_ne_u16_e64 s[40:41], 0, v2
	s_and_b64 vcc, exec, s[28:29]
	s_mov_b64 s[48:49], -1
                                        ; implicit-def: $vgpr14
	s_cbranch_vccnz .LBB4_9223
; %bb.9210:                             ;   in Loop: Header=BB4_8585 Depth=3
	v_mov_b32_e32 v16, 0
	v_mov_b32_e32 v15, 0
	s_and_saveexec_b64 s[48:49], s[40:41]
	s_cbranch_execz .LBB4_9216
; %bb.9211:                             ;   in Loop: Header=BB4_8585 Depth=3
	v_cmp_ne_u16_e32 vcc, s80, v2
	v_bfrev_b32_e32 v15, 1
	s_and_saveexec_b64 s[50:51], vcc
	s_cbranch_execz .LBB4_9215
; %bb.9212:                             ;   in Loop: Header=BB4_8585 Depth=3
	v_and_b32_e32 v0, 0x7f, v26
	v_cmp_ne_u32_e32 vcc, s81, v0
	v_mov_b32_e32 v15, 0x7f800001
	s_and_saveexec_b64 s[52:53], vcc
	s_cbranch_execz .LBB4_9214
; %bb.9213:                             ;   in Loop: Header=BB4_8585 Depth=3
	v_and_b32_e32 v14, 7, v2
	v_lshrrev_b32_e32 v15, 3, v0
	v_cmp_gt_u32_e32 vcc, 8, v0
	v_ffbh_u32_e32 v0, v14
	v_min_u32_e32 v28, 32, v0
	v_subrev_u32_e32 v0, 28, v28
	v_lshlrev_b64 v[0:1], v0, v[2:3]
	v_sub_u32_e32 v1, 29, v28
	v_and_b32_e32 v0, 7, v0
	v_cndmask_b32_e32 v1, v15, v1, vcc
	v_cndmask_b32_e32 v0, v14, v0, vcc
	v_lshlrev_b32_e32 v14, 24, v26
	v_lshlrev_b32_e32 v0, 20, v0
	v_and_b32_e32 v14, 0x80000000, v14
	v_lshl_add_u32 v1, v1, 23, v54
	v_or3_b32 v15, v14, v1, v0
.LBB4_9214:                             ;   in Loop: Header=BB4_8585 Depth=3
	s_or_b64 exec, exec, s[52:53]
.LBB4_9215:                             ;   in Loop: Header=BB4_8585 Depth=3
	s_or_b64 exec, exec, s[50:51]
.LBB4_9216:                             ;   in Loop: Header=BB4_8585 Depth=3
	s_or_b64 exec, exec, s[48:49]
	v_and_b32_e32 v14, 0xff, v25
	v_cmp_ne_u16_e32 vcc, 0, v14
	s_and_saveexec_b64 s[48:49], vcc
	s_cbranch_execz .LBB4_9222
; %bb.9217:                             ;   in Loop: Header=BB4_8585 Depth=3
	v_cmp_ne_u16_e32 vcc, s80, v14
	v_bfrev_b32_e32 v16, 1
	s_and_saveexec_b64 s[50:51], vcc
	s_cbranch_execz .LBB4_9221
; %bb.9218:                             ;   in Loop: Header=BB4_8585 Depth=3
	v_and_b32_e32 v0, 0x7f, v25
	v_cmp_ne_u32_e32 vcc, s81, v0
	v_mov_b32_e32 v16, 0x7f800001
	s_and_saveexec_b64 s[52:53], vcc
	s_cbranch_execz .LBB4_9220
; %bb.9219:                             ;   in Loop: Header=BB4_8585 Depth=3
	v_and_b32_e32 v16, 7, v14
	v_lshrrev_b32_e32 v28, 3, v0
	v_cmp_gt_u32_e32 vcc, 8, v0
	v_ffbh_u32_e32 v0, v16
	v_min_u32_e32 v31, 32, v0
	v_subrev_u32_e32 v0, 28, v31
	v_lshlrev_b64 v[0:1], v0, v[14:15]
	v_sub_u32_e32 v1, 29, v31
	v_and_b32_e32 v0, 7, v0
	v_cndmask_b32_e32 v1, v28, v1, vcc
	v_cndmask_b32_e32 v0, v16, v0, vcc
	v_lshlrev_b32_e32 v14, 24, v25
	v_lshlrev_b32_e32 v0, 20, v0
	v_and_b32_e32 v14, 0x80000000, v14
	v_lshl_add_u32 v1, v1, 23, v54
	v_or3_b32 v16, v14, v1, v0
.LBB4_9220:                             ;   in Loop: Header=BB4_8585 Depth=3
	s_or_b64 exec, exec, s[52:53]
.LBB4_9221:                             ;   in Loop: Header=BB4_8585 Depth=3
	s_or_b64 exec, exec, s[50:51]
.LBB4_9222:                             ;   in Loop: Header=BB4_8585 Depth=3
	s_or_b64 exec, exec, s[48:49]
	v_max_f32_e32 v0, v16, v16
	v_max_f32_e32 v1, v15, v15
	;; [unrolled: 1-line block ×3, first 2 shown]
	s_mov_b64 s[48:49], 0
.LBB4_9223:                             ;   in Loop: Header=BB4_8585 Depth=3
	s_and_b64 vcc, exec, s[48:49]
	s_cbranch_vccz .LBB4_9237
; %bb.9224:                             ;   in Loop: Header=BB4_8585 Depth=3
	v_mov_b32_e32 v15, 0
	v_mov_b32_e32 v14, 0
	s_and_saveexec_b64 s[48:49], s[40:41]
	s_cbranch_execz .LBB4_9230
; %bb.9225:                             ;   in Loop: Header=BB4_8585 Depth=3
	v_cmp_ne_u16_e32 vcc, s80, v2
	v_bfrev_b32_e32 v14, 1
	s_and_saveexec_b64 s[40:41], vcc
	s_cbranch_execz .LBB4_9229
; %bb.9226:                             ;   in Loop: Header=BB4_8585 Depth=3
	v_and_b32_e32 v0, 0x7f, v26
	v_cmp_ne_u32_e32 vcc, s81, v0
	v_mov_b32_e32 v14, 0x7f800001
	s_and_saveexec_b64 s[50:51], vcc
	s_cbranch_execz .LBB4_9228
; %bb.9227:                             ;   in Loop: Header=BB4_8585 Depth=3
	v_and_b32_e32 v14, 7, v2
	v_lshrrev_b32_e32 v16, 3, v0
	v_cmp_gt_u32_e32 vcc, 8, v0
	v_ffbh_u32_e32 v0, v14
	v_min_u32_e32 v28, 32, v0
	v_subrev_u32_e32 v0, 28, v28
	v_lshlrev_b64 v[0:1], v0, v[2:3]
	v_sub_u32_e32 v1, 29, v28
	v_and_b32_e32 v0, 7, v0
	v_cndmask_b32_e32 v1, v16, v1, vcc
	v_cndmask_b32_e32 v0, v14, v0, vcc
	v_lshlrev_b32_e32 v2, 24, v26
	v_lshlrev_b32_e32 v0, 20, v0
	v_and_b32_e32 v2, 0x80000000, v2
	v_lshl_add_u32 v1, v1, 23, v54
	v_or3_b32 v14, v2, v1, v0
.LBB4_9228:                             ;   in Loop: Header=BB4_8585 Depth=3
	s_or_b64 exec, exec, s[50:51]
.LBB4_9229:                             ;   in Loop: Header=BB4_8585 Depth=3
	s_or_b64 exec, exec, s[40:41]
.LBB4_9230:                             ;   in Loop: Header=BB4_8585 Depth=3
	s_or_b64 exec, exec, s[48:49]
	v_and_b32_e32 v2, 0xff, v25
	v_cmp_ne_u16_e32 vcc, 0, v2
	s_and_saveexec_b64 s[40:41], vcc
	s_cbranch_execz .LBB4_9236
; %bb.9231:                             ;   in Loop: Header=BB4_8585 Depth=3
	v_cmp_ne_u16_e32 vcc, s80, v2
	v_bfrev_b32_e32 v15, 1
	s_and_saveexec_b64 s[48:49], vcc
	s_cbranch_execz .LBB4_9235
; %bb.9232:                             ;   in Loop: Header=BB4_8585 Depth=3
	v_and_b32_e32 v0, 0x7f, v25
	v_cmp_ne_u32_e32 vcc, s81, v0
	v_mov_b32_e32 v15, 0x7f800001
	s_and_saveexec_b64 s[50:51], vcc
	s_cbranch_execz .LBB4_9234
; %bb.9233:                             ;   in Loop: Header=BB4_8585 Depth=3
	v_and_b32_e32 v15, 7, v2
	v_lshrrev_b32_e32 v16, 3, v0
	v_cmp_gt_u32_e32 vcc, 8, v0
	v_ffbh_u32_e32 v0, v15
	v_min_u32_e32 v26, 32, v0
	v_subrev_u32_e32 v0, 28, v26
	v_lshlrev_b64 v[0:1], v0, v[2:3]
	v_sub_u32_e32 v1, 29, v26
	v_and_b32_e32 v0, 7, v0
	v_cndmask_b32_e32 v1, v16, v1, vcc
	v_cndmask_b32_e32 v0, v15, v0, vcc
	v_lshlrev_b32_e32 v2, 24, v25
	v_lshlrev_b32_e32 v0, 20, v0
	v_and_b32_e32 v2, 0x80000000, v2
	v_lshl_add_u32 v1, v1, 23, v54
	v_or3_b32 v15, v2, v1, v0
.LBB4_9234:                             ;   in Loop: Header=BB4_8585 Depth=3
	s_or_b64 exec, exec, s[50:51]
.LBB4_9235:                             ;   in Loop: Header=BB4_8585 Depth=3
	s_or_b64 exec, exec, s[48:49]
.LBB4_9236:                             ;   in Loop: Header=BB4_8585 Depth=3
	s_or_b64 exec, exec, s[40:41]
	v_max_f32_e32 v0, v15, v15
	v_max_f32_e32 v1, v14, v14
	v_min_f32_e32 v14, v1, v0
.LBB4_9237:                             ;   in Loop: Header=BB4_8585 Depth=3
	v_and_b32_e32 v2, 0x7f800000, v14
	v_cmp_ne_u64_e32 vcc, s[76:77], v[2:3]
                                        ; implicit-def: $vgpr25
	s_and_saveexec_b64 s[40:41], vcc
	s_xor_b64 s[48:49], exec, s[40:41]
	s_cbranch_execz .LBB4_9255
; %bb.9238:                             ;   in Loop: Header=BB4_8585 Depth=3
	v_and_b32_e32 v2, 0x7fffffff, v14
	v_cmp_gt_u64_e32 vcc, s[78:79], v[2:3]
	v_and_b32_sdwa v26, v14, s80 dst_sel:DWORD dst_unused:UNUSED_PAD src0_sel:BYTE_3 src1_sel:DWORD
                                        ; implicit-def: $vgpr25
	s_and_saveexec_b64 s[40:41], vcc
	s_xor_b64 s[50:51], exec, s[40:41]
	s_cbranch_execz .LBB4_9252
; %bb.9239:                             ;   in Loop: Header=BB4_8585 Depth=3
	v_cmp_ne_u32_e32 vcc, 0, v14
	v_mov_b32_e32 v25, 0
	s_and_saveexec_b64 s[52:53], vcc
	s_cbranch_execz .LBB4_9251
; %bb.9240:                             ;   in Loop: Header=BB4_8585 Depth=3
	v_bfe_u32 v25, v14, 23, 8
	v_cmp_gt_u32_e64 s[40:41], s83, v25
	v_sub_u32_e32 v1, 0x79, v25
	v_and_b32_e32 v0, 0x7fffff, v14
	v_cmp_eq_u32_e32 vcc, 0, v25
	v_cndmask_b32_e64 v1, 0, v1, s[40:41]
	v_mov_b32_e32 v14, 0x78
	v_or_b32_e32 v2, 0x800000, v0
	v_cndmask_b32_e32 v28, v1, v14, vcc
	v_cndmask_b32_e32 v2, v2, v0, vcc
	v_add_u32_e32 v0, 20, v28
	v_lshlrev_b64 v[0:1], v0, -1
	v_add_u32_e32 v14, 19, v28
	v_lshlrev_b64 v[14:15], v14, 1
	v_bfi_b32 v1, v1, 0, 0
	v_bfi_b32 v0, v0, 0, v2
	v_cmp_eq_u64_e64 s[40:41], v[0:1], v[14:15]
	v_lshrrev_b64 v[14:15], v28, v[2:3]
	v_mov_b32_e32 v16, v15
	v_mov_b32_e32 v15, v14
	s_and_saveexec_b64 s[54:55], s[40:41]
; %bb.9241:                             ;   in Loop: Header=BB4_8585 Depth=3
	v_bfe_u32 v0, v14, 20, 1
	v_add_co_u32_e64 v0, s[40:41], v14, v0
	v_add_co_u32_e64 v15, s[40:41], -1, v0
; %bb.9242:                             ;   in Loop: Header=BB4_8585 Depth=3
	s_or_b64 exec, exec, s[54:55]
	v_add_u32_e32 v0, 0xffffff81, v25
	v_mov_b32_e32 v1, 0xffffff82
	v_cndmask_b32_e32 v0, v0, v1, vcc
	v_lshrrev_b32_e32 v1, 23, v14
	v_add3_u32 v25, v28, v0, v1
	v_add_u32_e32 v0, 6, v25
	v_and_b32_e32 v1, 0xfffff, v15
	v_add_u32_e32 v2, v1, v14
	v_cmp_ne_u32_e32 vcc, 0, v0
                                        ; implicit-def: $vgpr14_vgpr15
                                        ; implicit-def: $vgpr16
	s_and_saveexec_b64 s[40:41], vcc
	s_xor_b64 s[40:41], exec, s[40:41]
; %bb.9243:                             ;   in Loop: Header=BB4_8585 Depth=3
	v_cmp_lt_u64_e32 vcc, s[88:89], v[2:3]
	v_add_u32_e32 v1, 7, v25
	v_cndmask_b32_e32 v16, v0, v1, vcc
	v_cndmask_b32_e64 v0, 0, 1, vcc
	v_lshrrev_b64 v[14:15], v0, v[2:3]
; %bb.9244:                             ;   in Loop: Header=BB4_8585 Depth=3
	s_andn2_saveexec_b64 s[40:41], s[40:41]
; %bb.9245:                             ;   in Loop: Header=BB4_8585 Depth=3
	v_mov_b32_e32 v15, v3
	v_bfe_u32 v16, v2, 23, 1
	v_mov_b32_e32 v14, v2
; %bb.9246:                             ;   in Loop: Header=BB4_8585 Depth=3
	s_or_b64 exec, exec, s[40:41]
	v_lshrrev_b64 v[0:1], 20, v[14:15]
	v_cmp_gt_i32_e32 vcc, 16, v16
	v_cndmask_b32_e32 v15, 0, v1, vcc
	v_cndmask_b32_e32 v14, 7, v0, vcc
	v_cmp_ne_u64_e32 vcc, 0, v[14:15]
	v_cmp_ne_u32_e64 s[40:41], 0, v16
	s_or_b64 s[40:41], s[40:41], vcc
                                        ; implicit-def: $vgpr25
	s_and_saveexec_b64 vcc, s[40:41]
	s_xor_b64 s[40:41], exec, vcc
; %bb.9247:                             ;   in Loop: Header=BB4_8585 Depth=3
	v_min_i32_e32 v0, 15, v16
	v_lshl_or_b32 v0, v0, 3, v26
	v_and_or_b32 v25, v14, 7, v0
                                        ; implicit-def: $vgpr26
; %bb.9248:                             ;   in Loop: Header=BB4_8585 Depth=3
	s_andn2_saveexec_b64 s[40:41], s[40:41]
; %bb.9249:                             ;   in Loop: Header=BB4_8585 Depth=3
	v_mov_b32_e32 v25, v26
; %bb.9250:                             ;   in Loop: Header=BB4_8585 Depth=3
	s_or_b64 exec, exec, s[40:41]
.LBB4_9251:                             ;   in Loop: Header=BB4_8585 Depth=3
	s_or_b64 exec, exec, s[52:53]
                                        ; implicit-def: $vgpr26
.LBB4_9252:                             ;   in Loop: Header=BB4_8585 Depth=3
	s_andn2_saveexec_b64 s[40:41], s[50:51]
; %bb.9253:                             ;   in Loop: Header=BB4_8585 Depth=3
	v_or_b32_e32 v25, 0x7e, v26
; %bb.9254:                             ;   in Loop: Header=BB4_8585 Depth=3
	s_or_b64 exec, exec, s[40:41]
                                        ; implicit-def: $vgpr14
.LBB4_9255:                             ;   in Loop: Header=BB4_8585 Depth=3
	s_andn2_saveexec_b64 s[40:41], s[48:49]
; %bb.9256:                             ;   in Loop: Header=BB4_8585 Depth=3
	v_or_b32_sdwa v25, v14, s81 dst_sel:DWORD dst_unused:UNUSED_PAD src0_sel:BYTE_3 src1_sel:DWORD
; %bb.9257:                             ;   in Loop: Header=BB4_8585 Depth=3
	s_or_b64 exec, exec, s[40:41]
	v_and_b32_e32 v2, 0xff, v23
	v_cmp_ne_u16_e64 s[40:41], 0, v2
	s_and_b64 vcc, exec, s[28:29]
	s_mov_b64 s[48:49], -1
                                        ; implicit-def: $vgpr14
	s_cbranch_vccnz .LBB4_9271
; %bb.9258:                             ;   in Loop: Header=BB4_8585 Depth=3
	v_mov_b32_e32 v16, 0
	v_mov_b32_e32 v15, 0
	s_and_saveexec_b64 s[48:49], s[40:41]
	s_cbranch_execz .LBB4_9264
; %bb.9259:                             ;   in Loop: Header=BB4_8585 Depth=3
	v_cmp_ne_u16_e32 vcc, s80, v2
	v_bfrev_b32_e32 v15, 1
	s_and_saveexec_b64 s[50:51], vcc
	s_cbranch_execz .LBB4_9263
; %bb.9260:                             ;   in Loop: Header=BB4_8585 Depth=3
	v_and_b32_e32 v0, 0x7f, v23
	v_cmp_ne_u32_e32 vcc, s81, v0
	v_mov_b32_e32 v15, 0x7f800001
	s_and_saveexec_b64 s[52:53], vcc
	s_cbranch_execz .LBB4_9262
; %bb.9261:                             ;   in Loop: Header=BB4_8585 Depth=3
	v_and_b32_e32 v14, 7, v2
	v_lshrrev_b32_e32 v15, 3, v0
	v_cmp_gt_u32_e32 vcc, 8, v0
	v_ffbh_u32_e32 v0, v14
	v_min_u32_e32 v26, 32, v0
	v_subrev_u32_e32 v0, 28, v26
	v_lshlrev_b64 v[0:1], v0, v[2:3]
	v_sub_u32_e32 v1, 29, v26
	v_and_b32_e32 v0, 7, v0
	v_cndmask_b32_e32 v1, v15, v1, vcc
	v_cndmask_b32_e32 v0, v14, v0, vcc
	v_lshlrev_b32_e32 v14, 24, v23
	v_lshlrev_b32_e32 v0, 20, v0
	v_and_b32_e32 v14, 0x80000000, v14
	v_lshl_add_u32 v1, v1, 23, v54
	v_or3_b32 v15, v14, v1, v0
.LBB4_9262:                             ;   in Loop: Header=BB4_8585 Depth=3
	s_or_b64 exec, exec, s[52:53]
.LBB4_9263:                             ;   in Loop: Header=BB4_8585 Depth=3
	s_or_b64 exec, exec, s[50:51]
.LBB4_9264:                             ;   in Loop: Header=BB4_8585 Depth=3
	s_or_b64 exec, exec, s[48:49]
	v_and_b32_e32 v14, 0xff, v22
	v_cmp_ne_u16_e32 vcc, 0, v14
	s_and_saveexec_b64 s[48:49], vcc
	s_cbranch_execz .LBB4_9270
; %bb.9265:                             ;   in Loop: Header=BB4_8585 Depth=3
	v_cmp_ne_u16_e32 vcc, s80, v14
	v_bfrev_b32_e32 v16, 1
	s_and_saveexec_b64 s[50:51], vcc
	s_cbranch_execz .LBB4_9269
; %bb.9266:                             ;   in Loop: Header=BB4_8585 Depth=3
	v_and_b32_e32 v0, 0x7f, v22
	v_cmp_ne_u32_e32 vcc, s81, v0
	v_mov_b32_e32 v16, 0x7f800001
	s_and_saveexec_b64 s[52:53], vcc
	s_cbranch_execz .LBB4_9268
; %bb.9267:                             ;   in Loop: Header=BB4_8585 Depth=3
	v_and_b32_e32 v16, 7, v14
	v_lshrrev_b32_e32 v26, 3, v0
	v_cmp_gt_u32_e32 vcc, 8, v0
	v_ffbh_u32_e32 v0, v16
	v_min_u32_e32 v28, 32, v0
	v_subrev_u32_e32 v0, 28, v28
	v_lshlrev_b64 v[0:1], v0, v[14:15]
	v_sub_u32_e32 v1, 29, v28
	v_and_b32_e32 v0, 7, v0
	v_cndmask_b32_e32 v1, v26, v1, vcc
	v_cndmask_b32_e32 v0, v16, v0, vcc
	v_lshlrev_b32_e32 v14, 24, v22
	v_lshlrev_b32_e32 v0, 20, v0
	v_and_b32_e32 v14, 0x80000000, v14
	v_lshl_add_u32 v1, v1, 23, v54
	v_or3_b32 v16, v14, v1, v0
.LBB4_9268:                             ;   in Loop: Header=BB4_8585 Depth=3
	s_or_b64 exec, exec, s[52:53]
.LBB4_9269:                             ;   in Loop: Header=BB4_8585 Depth=3
	s_or_b64 exec, exec, s[50:51]
.LBB4_9270:                             ;   in Loop: Header=BB4_8585 Depth=3
	s_or_b64 exec, exec, s[48:49]
	v_max_f32_e32 v0, v16, v16
	v_max_f32_e32 v1, v15, v15
	;; [unrolled: 1-line block ×3, first 2 shown]
	s_mov_b64 s[48:49], 0
.LBB4_9271:                             ;   in Loop: Header=BB4_8585 Depth=3
	s_and_b64 vcc, exec, s[48:49]
	s_cbranch_vccz .LBB4_9285
; %bb.9272:                             ;   in Loop: Header=BB4_8585 Depth=3
	v_mov_b32_e32 v15, 0
	v_mov_b32_e32 v14, 0
	s_and_saveexec_b64 s[48:49], s[40:41]
	s_cbranch_execz .LBB4_9278
; %bb.9273:                             ;   in Loop: Header=BB4_8585 Depth=3
	v_cmp_ne_u16_e32 vcc, s80, v2
	v_bfrev_b32_e32 v14, 1
	s_and_saveexec_b64 s[40:41], vcc
	s_cbranch_execz .LBB4_9277
; %bb.9274:                             ;   in Loop: Header=BB4_8585 Depth=3
	v_and_b32_e32 v0, 0x7f, v23
	v_cmp_ne_u32_e32 vcc, s81, v0
	v_mov_b32_e32 v14, 0x7f800001
	s_and_saveexec_b64 s[50:51], vcc
	s_cbranch_execz .LBB4_9276
; %bb.9275:                             ;   in Loop: Header=BB4_8585 Depth=3
	v_and_b32_e32 v14, 7, v2
	v_lshrrev_b32_e32 v16, 3, v0
	v_cmp_gt_u32_e32 vcc, 8, v0
	v_ffbh_u32_e32 v0, v14
	v_min_u32_e32 v26, 32, v0
	v_subrev_u32_e32 v0, 28, v26
	v_lshlrev_b64 v[0:1], v0, v[2:3]
	v_sub_u32_e32 v1, 29, v26
	v_and_b32_e32 v0, 7, v0
	v_cndmask_b32_e32 v1, v16, v1, vcc
	v_cndmask_b32_e32 v0, v14, v0, vcc
	v_lshlrev_b32_e32 v2, 24, v23
	v_lshlrev_b32_e32 v0, 20, v0
	v_and_b32_e32 v2, 0x80000000, v2
	v_lshl_add_u32 v1, v1, 23, v54
	v_or3_b32 v14, v2, v1, v0
.LBB4_9276:                             ;   in Loop: Header=BB4_8585 Depth=3
	s_or_b64 exec, exec, s[50:51]
.LBB4_9277:                             ;   in Loop: Header=BB4_8585 Depth=3
	s_or_b64 exec, exec, s[40:41]
.LBB4_9278:                             ;   in Loop: Header=BB4_8585 Depth=3
	s_or_b64 exec, exec, s[48:49]
	v_and_b32_e32 v2, 0xff, v22
	v_cmp_ne_u16_e32 vcc, 0, v2
	s_and_saveexec_b64 s[40:41], vcc
	s_cbranch_execz .LBB4_9284
; %bb.9279:                             ;   in Loop: Header=BB4_8585 Depth=3
	v_cmp_ne_u16_e32 vcc, s80, v2
	v_bfrev_b32_e32 v15, 1
	s_and_saveexec_b64 s[48:49], vcc
	s_cbranch_execz .LBB4_9283
; %bb.9280:                             ;   in Loop: Header=BB4_8585 Depth=3
	v_and_b32_e32 v0, 0x7f, v22
	v_cmp_ne_u32_e32 vcc, s81, v0
	v_mov_b32_e32 v15, 0x7f800001
	s_and_saveexec_b64 s[50:51], vcc
	s_cbranch_execz .LBB4_9282
; %bb.9281:                             ;   in Loop: Header=BB4_8585 Depth=3
	v_and_b32_e32 v15, 7, v2
	v_lshrrev_b32_e32 v16, 3, v0
	v_cmp_gt_u32_e32 vcc, 8, v0
	v_ffbh_u32_e32 v0, v15
	v_min_u32_e32 v23, 32, v0
	v_subrev_u32_e32 v0, 28, v23
	v_lshlrev_b64 v[0:1], v0, v[2:3]
	v_sub_u32_e32 v1, 29, v23
	v_and_b32_e32 v0, 7, v0
	v_cndmask_b32_e32 v1, v16, v1, vcc
	v_cndmask_b32_e32 v0, v15, v0, vcc
	v_lshlrev_b32_e32 v2, 24, v22
	v_lshlrev_b32_e32 v0, 20, v0
	v_and_b32_e32 v2, 0x80000000, v2
	v_lshl_add_u32 v1, v1, 23, v54
	v_or3_b32 v15, v2, v1, v0
.LBB4_9282:                             ;   in Loop: Header=BB4_8585 Depth=3
	s_or_b64 exec, exec, s[50:51]
.LBB4_9283:                             ;   in Loop: Header=BB4_8585 Depth=3
	s_or_b64 exec, exec, s[48:49]
.LBB4_9284:                             ;   in Loop: Header=BB4_8585 Depth=3
	s_or_b64 exec, exec, s[40:41]
	v_max_f32_e32 v0, v15, v15
	v_max_f32_e32 v1, v14, v14
	v_min_f32_e32 v14, v1, v0
.LBB4_9285:                             ;   in Loop: Header=BB4_8585 Depth=3
	v_and_b32_e32 v2, 0x7f800000, v14
	v_cmp_ne_u64_e32 vcc, s[76:77], v[2:3]
                                        ; implicit-def: $vgpr22
	s_and_saveexec_b64 s[40:41], vcc
	s_xor_b64 s[48:49], exec, s[40:41]
	s_cbranch_execz .LBB4_9303
; %bb.9286:                             ;   in Loop: Header=BB4_8585 Depth=3
	v_and_b32_e32 v2, 0x7fffffff, v14
	v_cmp_gt_u64_e32 vcc, s[78:79], v[2:3]
	v_and_b32_sdwa v23, v14, s80 dst_sel:DWORD dst_unused:UNUSED_PAD src0_sel:BYTE_3 src1_sel:DWORD
                                        ; implicit-def: $vgpr22
	s_and_saveexec_b64 s[40:41], vcc
	s_xor_b64 s[50:51], exec, s[40:41]
	s_cbranch_execz .LBB4_9300
; %bb.9287:                             ;   in Loop: Header=BB4_8585 Depth=3
	v_cmp_ne_u32_e32 vcc, 0, v14
	v_mov_b32_e32 v22, 0
	s_and_saveexec_b64 s[52:53], vcc
	s_cbranch_execz .LBB4_9299
; %bb.9288:                             ;   in Loop: Header=BB4_8585 Depth=3
	v_bfe_u32 v22, v14, 23, 8
	v_cmp_gt_u32_e64 s[40:41], s83, v22
	v_sub_u32_e32 v1, 0x79, v22
	v_and_b32_e32 v0, 0x7fffff, v14
	v_cmp_eq_u32_e32 vcc, 0, v22
	v_cndmask_b32_e64 v1, 0, v1, s[40:41]
	v_mov_b32_e32 v14, 0x78
	v_or_b32_e32 v2, 0x800000, v0
	v_cndmask_b32_e32 v26, v1, v14, vcc
	v_cndmask_b32_e32 v2, v2, v0, vcc
	v_add_u32_e32 v0, 20, v26
	v_lshlrev_b64 v[0:1], v0, -1
	v_add_u32_e32 v14, 19, v26
	v_lshlrev_b64 v[14:15], v14, 1
	v_bfi_b32 v1, v1, 0, 0
	v_bfi_b32 v0, v0, 0, v2
	v_cmp_eq_u64_e64 s[40:41], v[0:1], v[14:15]
	v_lshrrev_b64 v[14:15], v26, v[2:3]
	v_mov_b32_e32 v16, v15
	v_mov_b32_e32 v15, v14
	s_and_saveexec_b64 s[54:55], s[40:41]
; %bb.9289:                             ;   in Loop: Header=BB4_8585 Depth=3
	v_bfe_u32 v0, v14, 20, 1
	v_add_co_u32_e64 v0, s[40:41], v14, v0
	v_add_co_u32_e64 v15, s[40:41], -1, v0
; %bb.9290:                             ;   in Loop: Header=BB4_8585 Depth=3
	s_or_b64 exec, exec, s[54:55]
	v_add_u32_e32 v0, 0xffffff81, v22
	v_mov_b32_e32 v1, 0xffffff82
	v_cndmask_b32_e32 v0, v0, v1, vcc
	v_lshrrev_b32_e32 v1, 23, v14
	v_add3_u32 v22, v26, v0, v1
	v_add_u32_e32 v0, 6, v22
	v_and_b32_e32 v1, 0xfffff, v15
	v_add_u32_e32 v2, v1, v14
	v_cmp_ne_u32_e32 vcc, 0, v0
                                        ; implicit-def: $vgpr14_vgpr15
                                        ; implicit-def: $vgpr16
	s_and_saveexec_b64 s[40:41], vcc
	s_xor_b64 s[40:41], exec, s[40:41]
; %bb.9291:                             ;   in Loop: Header=BB4_8585 Depth=3
	v_cmp_lt_u64_e32 vcc, s[88:89], v[2:3]
	v_add_u32_e32 v1, 7, v22
	v_cndmask_b32_e32 v16, v0, v1, vcc
	v_cndmask_b32_e64 v0, 0, 1, vcc
	v_lshrrev_b64 v[14:15], v0, v[2:3]
; %bb.9292:                             ;   in Loop: Header=BB4_8585 Depth=3
	s_andn2_saveexec_b64 s[40:41], s[40:41]
; %bb.9293:                             ;   in Loop: Header=BB4_8585 Depth=3
	v_mov_b32_e32 v15, v3
	v_bfe_u32 v16, v2, 23, 1
	v_mov_b32_e32 v14, v2
; %bb.9294:                             ;   in Loop: Header=BB4_8585 Depth=3
	s_or_b64 exec, exec, s[40:41]
	v_lshrrev_b64 v[0:1], 20, v[14:15]
	v_cmp_gt_i32_e32 vcc, 16, v16
	v_cndmask_b32_e32 v15, 0, v1, vcc
	v_cndmask_b32_e32 v14, 7, v0, vcc
	v_cmp_ne_u64_e32 vcc, 0, v[14:15]
	v_cmp_ne_u32_e64 s[40:41], 0, v16
	s_or_b64 s[40:41], s[40:41], vcc
                                        ; implicit-def: $vgpr22
	s_and_saveexec_b64 vcc, s[40:41]
	s_xor_b64 s[40:41], exec, vcc
; %bb.9295:                             ;   in Loop: Header=BB4_8585 Depth=3
	v_min_i32_e32 v0, 15, v16
	v_lshl_or_b32 v0, v0, 3, v23
	v_and_or_b32 v22, v14, 7, v0
                                        ; implicit-def: $vgpr23
; %bb.9296:                             ;   in Loop: Header=BB4_8585 Depth=3
	s_andn2_saveexec_b64 s[40:41], s[40:41]
; %bb.9297:                             ;   in Loop: Header=BB4_8585 Depth=3
	v_mov_b32_e32 v22, v23
; %bb.9298:                             ;   in Loop: Header=BB4_8585 Depth=3
	s_or_b64 exec, exec, s[40:41]
.LBB4_9299:                             ;   in Loop: Header=BB4_8585 Depth=3
	s_or_b64 exec, exec, s[52:53]
                                        ; implicit-def: $vgpr23
.LBB4_9300:                             ;   in Loop: Header=BB4_8585 Depth=3
	s_andn2_saveexec_b64 s[40:41], s[50:51]
; %bb.9301:                             ;   in Loop: Header=BB4_8585 Depth=3
	v_or_b32_e32 v22, 0x7e, v23
; %bb.9302:                             ;   in Loop: Header=BB4_8585 Depth=3
	s_or_b64 exec, exec, s[40:41]
                                        ; implicit-def: $vgpr14
.LBB4_9303:                             ;   in Loop: Header=BB4_8585 Depth=3
	s_andn2_saveexec_b64 s[40:41], s[48:49]
; %bb.9304:                             ;   in Loop: Header=BB4_8585 Depth=3
	v_or_b32_sdwa v22, v14, s81 dst_sel:DWORD dst_unused:UNUSED_PAD src0_sel:BYTE_3 src1_sel:DWORD
; %bb.9305:                             ;   in Loop: Header=BB4_8585 Depth=3
	s_or_b64 exec, exec, s[40:41]
	v_and_b32_e32 v2, 0xff, v20
	v_cmp_ne_u16_e64 s[40:41], 0, v2
	s_and_b64 vcc, exec, s[28:29]
	s_mov_b64 s[28:29], -1
                                        ; implicit-def: $vgpr14
	s_cbranch_vccnz .LBB4_9319
; %bb.9306:                             ;   in Loop: Header=BB4_8585 Depth=3
	v_mov_b32_e32 v16, 0
	v_mov_b32_e32 v15, 0
	s_and_saveexec_b64 s[28:29], s[40:41]
	s_cbranch_execz .LBB4_9312
; %bb.9307:                             ;   in Loop: Header=BB4_8585 Depth=3
	v_cmp_ne_u16_e32 vcc, s80, v2
	v_bfrev_b32_e32 v15, 1
	s_and_saveexec_b64 s[48:49], vcc
	s_cbranch_execz .LBB4_9311
; %bb.9308:                             ;   in Loop: Header=BB4_8585 Depth=3
	v_and_b32_e32 v0, 0x7f, v20
	v_cmp_ne_u32_e32 vcc, s81, v0
	v_mov_b32_e32 v15, 0x7f800001
	s_and_saveexec_b64 s[50:51], vcc
	s_cbranch_execz .LBB4_9310
; %bb.9309:                             ;   in Loop: Header=BB4_8585 Depth=3
	v_and_b32_e32 v14, 7, v2
	v_lshrrev_b32_e32 v15, 3, v0
	v_cmp_gt_u32_e32 vcc, 8, v0
	v_ffbh_u32_e32 v0, v14
	v_min_u32_e32 v23, 32, v0
	v_subrev_u32_e32 v0, 28, v23
	v_lshlrev_b64 v[0:1], v0, v[2:3]
	v_sub_u32_e32 v1, 29, v23
	v_and_b32_e32 v0, 7, v0
	v_cndmask_b32_e32 v1, v15, v1, vcc
	v_cndmask_b32_e32 v0, v14, v0, vcc
	v_lshlrev_b32_e32 v14, 24, v20
	v_lshlrev_b32_e32 v0, 20, v0
	v_and_b32_e32 v14, 0x80000000, v14
	v_lshl_add_u32 v1, v1, 23, v54
	v_or3_b32 v15, v14, v1, v0
.LBB4_9310:                             ;   in Loop: Header=BB4_8585 Depth=3
	s_or_b64 exec, exec, s[50:51]
.LBB4_9311:                             ;   in Loop: Header=BB4_8585 Depth=3
	s_or_b64 exec, exec, s[48:49]
.LBB4_9312:                             ;   in Loop: Header=BB4_8585 Depth=3
	s_or_b64 exec, exec, s[28:29]
	v_and_b32_e32 v14, 0xff, v19
	v_cmp_ne_u16_e32 vcc, 0, v14
	s_and_saveexec_b64 s[28:29], vcc
	s_cbranch_execz .LBB4_9318
; %bb.9313:                             ;   in Loop: Header=BB4_8585 Depth=3
	v_cmp_ne_u16_e32 vcc, s80, v14
	v_bfrev_b32_e32 v16, 1
	s_and_saveexec_b64 s[48:49], vcc
	s_cbranch_execz .LBB4_9317
; %bb.9314:                             ;   in Loop: Header=BB4_8585 Depth=3
	v_and_b32_e32 v0, 0x7f, v19
	v_cmp_ne_u32_e32 vcc, s81, v0
	v_mov_b32_e32 v16, 0x7f800001
	s_and_saveexec_b64 s[50:51], vcc
	s_cbranch_execz .LBB4_9316
; %bb.9315:                             ;   in Loop: Header=BB4_8585 Depth=3
	v_and_b32_e32 v16, 7, v14
	v_lshrrev_b32_e32 v23, 3, v0
	v_cmp_gt_u32_e32 vcc, 8, v0
	v_ffbh_u32_e32 v0, v16
	v_min_u32_e32 v26, 32, v0
	v_subrev_u32_e32 v0, 28, v26
	v_lshlrev_b64 v[0:1], v0, v[14:15]
	v_sub_u32_e32 v1, 29, v26
	v_and_b32_e32 v0, 7, v0
	v_cndmask_b32_e32 v1, v23, v1, vcc
	v_cndmask_b32_e32 v0, v16, v0, vcc
	v_lshlrev_b32_e32 v14, 24, v19
	v_lshlrev_b32_e32 v0, 20, v0
	v_and_b32_e32 v14, 0x80000000, v14
	v_lshl_add_u32 v1, v1, 23, v54
	v_or3_b32 v16, v14, v1, v0
.LBB4_9316:                             ;   in Loop: Header=BB4_8585 Depth=3
	s_or_b64 exec, exec, s[50:51]
.LBB4_9317:                             ;   in Loop: Header=BB4_8585 Depth=3
	s_or_b64 exec, exec, s[48:49]
.LBB4_9318:                             ;   in Loop: Header=BB4_8585 Depth=3
	s_or_b64 exec, exec, s[28:29]
	v_max_f32_e32 v0, v16, v16
	v_max_f32_e32 v1, v15, v15
	;; [unrolled: 1-line block ×3, first 2 shown]
	s_mov_b64 s[28:29], 0
.LBB4_9319:                             ;   in Loop: Header=BB4_8585 Depth=3
	s_and_b64 vcc, exec, s[28:29]
	s_cbranch_vccz .LBB4_9333
; %bb.9320:                             ;   in Loop: Header=BB4_8585 Depth=3
	v_mov_b32_e32 v15, 0
	v_mov_b32_e32 v14, 0
	s_and_saveexec_b64 s[28:29], s[40:41]
	s_cbranch_execz .LBB4_9326
; %bb.9321:                             ;   in Loop: Header=BB4_8585 Depth=3
	v_cmp_ne_u16_e32 vcc, s80, v2
	v_bfrev_b32_e32 v14, 1
	s_and_saveexec_b64 s[40:41], vcc
	s_cbranch_execz .LBB4_9325
; %bb.9322:                             ;   in Loop: Header=BB4_8585 Depth=3
	v_and_b32_e32 v0, 0x7f, v20
	v_cmp_ne_u32_e32 vcc, s81, v0
	v_mov_b32_e32 v14, 0x7f800001
	s_and_saveexec_b64 s[48:49], vcc
	s_cbranch_execz .LBB4_9324
; %bb.9323:                             ;   in Loop: Header=BB4_8585 Depth=3
	v_and_b32_e32 v14, 7, v2
	v_lshrrev_b32_e32 v16, 3, v0
	v_cmp_gt_u32_e32 vcc, 8, v0
	v_ffbh_u32_e32 v0, v14
	v_min_u32_e32 v23, 32, v0
	v_subrev_u32_e32 v0, 28, v23
	v_lshlrev_b64 v[0:1], v0, v[2:3]
	v_sub_u32_e32 v1, 29, v23
	v_and_b32_e32 v0, 7, v0
	v_cndmask_b32_e32 v1, v16, v1, vcc
	v_cndmask_b32_e32 v0, v14, v0, vcc
	v_lshlrev_b32_e32 v2, 24, v20
	v_lshlrev_b32_e32 v0, 20, v0
	v_and_b32_e32 v2, 0x80000000, v2
	v_lshl_add_u32 v1, v1, 23, v54
	v_or3_b32 v14, v2, v1, v0
.LBB4_9324:                             ;   in Loop: Header=BB4_8585 Depth=3
	s_or_b64 exec, exec, s[48:49]
.LBB4_9325:                             ;   in Loop: Header=BB4_8585 Depth=3
	s_or_b64 exec, exec, s[40:41]
.LBB4_9326:                             ;   in Loop: Header=BB4_8585 Depth=3
	s_or_b64 exec, exec, s[28:29]
	v_and_b32_e32 v2, 0xff, v19
	v_cmp_ne_u16_e32 vcc, 0, v2
	s_and_saveexec_b64 s[28:29], vcc
	s_cbranch_execz .LBB4_9332
; %bb.9327:                             ;   in Loop: Header=BB4_8585 Depth=3
	v_cmp_ne_u16_e32 vcc, s80, v2
	v_bfrev_b32_e32 v15, 1
	s_and_saveexec_b64 s[40:41], vcc
	s_cbranch_execz .LBB4_9331
; %bb.9328:                             ;   in Loop: Header=BB4_8585 Depth=3
	v_and_b32_e32 v0, 0x7f, v19
	v_cmp_ne_u32_e32 vcc, s81, v0
	v_mov_b32_e32 v15, 0x7f800001
	s_and_saveexec_b64 s[48:49], vcc
	s_cbranch_execz .LBB4_9330
; %bb.9329:                             ;   in Loop: Header=BB4_8585 Depth=3
	v_and_b32_e32 v15, 7, v2
	v_lshrrev_b32_e32 v16, 3, v0
	v_cmp_gt_u32_e32 vcc, 8, v0
	v_ffbh_u32_e32 v0, v15
	v_min_u32_e32 v20, 32, v0
	v_subrev_u32_e32 v0, 28, v20
	v_lshlrev_b64 v[0:1], v0, v[2:3]
	v_sub_u32_e32 v1, 29, v20
	v_and_b32_e32 v0, 7, v0
	v_cndmask_b32_e32 v1, v16, v1, vcc
	v_cndmask_b32_e32 v0, v15, v0, vcc
	v_lshlrev_b32_e32 v2, 24, v19
	v_lshlrev_b32_e32 v0, 20, v0
	v_and_b32_e32 v2, 0x80000000, v2
	v_lshl_add_u32 v1, v1, 23, v54
	v_or3_b32 v15, v2, v1, v0
.LBB4_9330:                             ;   in Loop: Header=BB4_8585 Depth=3
	s_or_b64 exec, exec, s[48:49]
.LBB4_9331:                             ;   in Loop: Header=BB4_8585 Depth=3
	s_or_b64 exec, exec, s[40:41]
.LBB4_9332:                             ;   in Loop: Header=BB4_8585 Depth=3
	s_or_b64 exec, exec, s[28:29]
	v_max_f32_e32 v0, v15, v15
	v_max_f32_e32 v1, v14, v14
	v_min_f32_e32 v14, v1, v0
.LBB4_9333:                             ;   in Loop: Header=BB4_8585 Depth=3
	v_and_b32_e32 v2, 0x7f800000, v14
	v_cmp_ne_u64_e32 vcc, s[76:77], v[2:3]
                                        ; implicit-def: $vgpr2
	s_and_saveexec_b64 s[28:29], vcc
	s_xor_b64 s[40:41], exec, s[28:29]
	s_cbranch_execz .LBB4_9351
; %bb.9334:                             ;   in Loop: Header=BB4_8585 Depth=3
	v_and_b32_e32 v2, 0x7fffffff, v14
	v_cmp_gt_u64_e32 vcc, s[78:79], v[2:3]
	v_and_b32_sdwa v19, v14, s80 dst_sel:DWORD dst_unused:UNUSED_PAD src0_sel:BYTE_3 src1_sel:DWORD
                                        ; implicit-def: $vgpr2
	s_and_saveexec_b64 s[28:29], vcc
	s_xor_b64 s[48:49], exec, s[28:29]
	s_cbranch_execz .LBB4_9348
; %bb.9335:                             ;   in Loop: Header=BB4_8585 Depth=3
	v_cmp_ne_u32_e32 vcc, 0, v14
	v_mov_b32_e32 v2, 0
	s_and_saveexec_b64 s[50:51], vcc
	s_cbranch_execz .LBB4_9347
; %bb.9336:                             ;   in Loop: Header=BB4_8585 Depth=3
	v_bfe_u32 v20, v14, 23, 8
	v_cmp_gt_u32_e64 s[28:29], s83, v20
	v_sub_u32_e32 v1, 0x79, v20
	v_and_b32_e32 v0, 0x7fffff, v14
	v_cmp_eq_u32_e32 vcc, 0, v20
	v_cndmask_b32_e64 v1, 0, v1, s[28:29]
	v_mov_b32_e32 v14, 0x78
	v_or_b32_e32 v2, 0x800000, v0
	v_cndmask_b32_e32 v23, v1, v14, vcc
	v_cndmask_b32_e32 v2, v2, v0, vcc
	v_add_u32_e32 v0, 20, v23
	v_lshlrev_b64 v[0:1], v0, -1
	v_add_u32_e32 v14, 19, v23
	v_lshlrev_b64 v[14:15], v14, 1
	v_bfi_b32 v1, v1, 0, 0
	v_bfi_b32 v0, v0, 0, v2
	v_cmp_eq_u64_e64 s[28:29], v[0:1], v[14:15]
	v_lshrrev_b64 v[14:15], v23, v[2:3]
	v_mov_b32_e32 v16, v15
	v_mov_b32_e32 v15, v14
	s_and_saveexec_b64 s[52:53], s[28:29]
; %bb.9337:                             ;   in Loop: Header=BB4_8585 Depth=3
	v_bfe_u32 v0, v14, 20, 1
	v_add_co_u32_e64 v0, s[28:29], v14, v0
	v_add_co_u32_e64 v15, s[28:29], -1, v0
; %bb.9338:                             ;   in Loop: Header=BB4_8585 Depth=3
	s_or_b64 exec, exec, s[52:53]
	v_add_u32_e32 v0, 0xffffff81, v20
	v_mov_b32_e32 v1, 0xffffff82
	v_cndmask_b32_e32 v0, v0, v1, vcc
	v_lshrrev_b32_e32 v1, 23, v14
	v_add3_u32 v20, v23, v0, v1
	v_add_u32_e32 v0, 6, v20
	v_and_b32_e32 v1, 0xfffff, v15
	v_add_u32_e32 v2, v1, v14
	v_cmp_ne_u32_e32 vcc, 0, v0
                                        ; implicit-def: $vgpr14_vgpr15
                                        ; implicit-def: $vgpr16
	s_and_saveexec_b64 s[28:29], vcc
	s_xor_b64 s[28:29], exec, s[28:29]
; %bb.9339:                             ;   in Loop: Header=BB4_8585 Depth=3
	v_cmp_lt_u64_e32 vcc, s[88:89], v[2:3]
	v_add_u32_e32 v1, 7, v20
	v_cndmask_b32_e32 v16, v0, v1, vcc
	v_cndmask_b32_e64 v0, 0, 1, vcc
	v_lshrrev_b64 v[14:15], v0, v[2:3]
; %bb.9340:                             ;   in Loop: Header=BB4_8585 Depth=3
	s_andn2_saveexec_b64 s[28:29], s[28:29]
; %bb.9341:                             ;   in Loop: Header=BB4_8585 Depth=3
	v_mov_b32_e32 v15, v3
	v_bfe_u32 v16, v2, 23, 1
	v_mov_b32_e32 v14, v2
; %bb.9342:                             ;   in Loop: Header=BB4_8585 Depth=3
	s_or_b64 exec, exec, s[28:29]
	v_lshrrev_b64 v[0:1], 20, v[14:15]
	v_cmp_gt_i32_e32 vcc, 16, v16
	v_cndmask_b32_e32 v15, 0, v1, vcc
	v_cndmask_b32_e32 v14, 7, v0, vcc
	v_cmp_ne_u64_e32 vcc, 0, v[14:15]
	v_cmp_ne_u32_e64 s[28:29], 0, v16
	s_or_b64 s[28:29], s[28:29], vcc
                                        ; implicit-def: $vgpr2
	s_and_saveexec_b64 vcc, s[28:29]
	s_xor_b64 s[28:29], exec, vcc
; %bb.9343:                             ;   in Loop: Header=BB4_8585 Depth=3
	v_min_i32_e32 v0, 15, v16
	v_lshl_or_b32 v0, v0, 3, v19
	v_and_or_b32 v2, v14, 7, v0
                                        ; implicit-def: $vgpr19
; %bb.9344:                             ;   in Loop: Header=BB4_8585 Depth=3
	s_andn2_saveexec_b64 s[28:29], s[28:29]
; %bb.9345:                             ;   in Loop: Header=BB4_8585 Depth=3
	v_mov_b32_e32 v2, v19
; %bb.9346:                             ;   in Loop: Header=BB4_8585 Depth=3
	s_or_b64 exec, exec, s[28:29]
.LBB4_9347:                             ;   in Loop: Header=BB4_8585 Depth=3
	s_or_b64 exec, exec, s[50:51]
                                        ; implicit-def: $vgpr19
.LBB4_9348:                             ;   in Loop: Header=BB4_8585 Depth=3
	s_andn2_saveexec_b64 s[28:29], s[48:49]
; %bb.9349:                             ;   in Loop: Header=BB4_8585 Depth=3
	v_or_b32_e32 v2, 0x7e, v19
; %bb.9350:                             ;   in Loop: Header=BB4_8585 Depth=3
	s_or_b64 exec, exec, s[28:29]
                                        ; implicit-def: $vgpr14
.LBB4_9351:                             ;   in Loop: Header=BB4_8585 Depth=3
	s_andn2_saveexec_b64 s[28:29], s[40:41]
	s_cbranch_execz .LBB4_8584
; %bb.9352:                             ;   in Loop: Header=BB4_8585 Depth=3
	v_or_b32_sdwa v2, v14, s81 dst_sel:DWORD dst_unused:UNUSED_PAD src0_sel:BYTE_3 src1_sel:DWORD
	s_branch .LBB4_8584
.LBB4_9353:                             ;   in Loop: Header=BB4_3419 Depth=2
	s_or_b64 exec, exec, s[38:39]
	buffer_load_dword v46, off, s[0:3], s33 offset:76 ; 4-byte Folded Reload
	buffer_load_dword v21, off, s[0:3], s33 offset:244 ; 4-byte Folded Reload
	;; [unrolled: 1-line block ×3, first 2 shown]
.LBB4_9354:                             ;   in Loop: Header=BB4_3419 Depth=2
	s_or_b64 exec, exec, s[42:43]
	v_lshlrev_b32_e32 v0, 10, v4
	v_cmp_ne_u32_e32 vcc, v5, v0
	s_and_b64 exec, exec, vcc
	s_cbranch_execz .LBB4_9406
; %bb.9355:                             ;   in Loop: Header=BB4_3419 Depth=2
	s_waitcnt vmcnt(0)
	v_lshlrev_b32_e32 v1, 6, v2
	v_sub_u32_e32 v1, v7, v1
	v_lshlrev_b32_e32 v2, 6, v17
	v_sub_u32_e32 v1, v1, v2
	v_add_u32_e32 v0, v0, v1
	v_sub_u32_e32 v4, v5, v0
	v_cmp_lt_i32_e32 vcc, 0, v4
	s_and_b64 exec, exec, vcc
	s_cbranch_execz .LBB4_9406
; %bb.9356:                             ;   in Loop: Header=BB4_3419 Depth=2
	s_trap 2
	ds_read_b128 v[8:11], v0
	v_add_u32_e32 v2, v0, v18
	ds_read_b64 v[0:1], v0
	v_ashrrev_i32_e32 v5, 31, v2
	s_bitcmp1_b32 s84, 0
	s_waitcnt lgkmcnt(0)
	v_add_co_u32_e32 v8, vcc, v8, v2
	v_addc_co_u32_e32 v9, vcc, v9, v5, vcc
	v_add_co_u32_e32 v10, vcc, v10, v2
	v_addc_co_u32_e32 v11, vcc, v11, v5, vcc
	;; [unrolled: 2-line block ×3, first 2 shown]
	s_mov_b64 s[46:47], 0
	s_cselect_b64 s[38:39], -1, 0
	s_branch .LBB4_9358
.LBB4_9357:                             ;   in Loop: Header=BB4_9358 Depth=3
	s_or_b64 exec, exec, s[28:29]
	buffer_load_dword v0, off, s[0:3], s33 offset:72 ; 4-byte Folded Reload
	s_waitcnt vmcnt(0)
	v_add_co_u32_e32 v8, vcc, v8, v0
	v_addc_co_u32_e32 v9, vcc, 0, v9, vcc
	v_add_co_u32_e32 v10, vcc, v10, v0
	v_addc_co_u32_e32 v11, vcc, 0, v11, vcc
	v_sub_u32_e32 v4, v4, v0
	v_cmp_gt_i32_e32 vcc, 1, v4
	flat_store_byte v[12:13], v2 glc slc
	s_or_b64 s[46:47], vcc, s[46:47]
	v_add_co_u32_e32 v12, vcc, v12, v0
	v_addc_co_u32_e32 v13, vcc, 0, v13, vcc
	s_andn2_b64 exec, exec, s[46:47]
	s_cbranch_execz .LBB4_9406
.LBB4_9358:                             ;   Parent Loop BB4_47 Depth=1
                                        ;     Parent Loop BB4_3419 Depth=2
                                        ; =>    This Inner Loop Header: Depth=3
	flat_load_ubyte v5, v[10:11] glc slc
	flat_load_ubyte v6, v[8:9] glc slc
	s_mov_b64 s[48:49], -1
	s_and_b64 vcc, exec, s[38:39]
                                        ; implicit-def: $vgpr7
	s_waitcnt vmcnt(0) lgkmcnt(0)
	v_cmp_ne_u16_e64 s[40:41], 0, v5
	v_cmp_ne_u16_e64 s[28:29], s80, v5
	v_and_b32_sdwa v1, sext(v5), s82 dst_sel:DWORD dst_unused:UNUSED_PAD src0_sel:BYTE_0 src1_sel:DWORD
	v_cmp_ne_u16_e64 s[42:43], 0, v6
	s_cbranch_vccz .LBB4_9372
; %bb.9359:                             ;   in Loop: Header=BB4_9358 Depth=3
	v_mov_b32_e32 v7, 0
	v_mov_b32_e32 v14, 0
	s_and_saveexec_b64 s[48:49], s[42:43]
	s_cbranch_execz .LBB4_9365
; %bb.9360:                             ;   in Loop: Header=BB4_9358 Depth=3
	v_cmp_ne_u16_e32 vcc, s80, v6
	v_bfrev_b32_e32 v14, 1
	s_and_saveexec_b64 s[50:51], vcc
	s_cbranch_execz .LBB4_9364
; %bb.9361:                             ;   in Loop: Header=BB4_9358 Depth=3
	v_and_b32_e32 v2, 0xffff, v6
	v_and_b32_e32 v0, 0x7f, v2
	v_cmp_ne_u32_e32 vcc, s81, v0
	v_mov_b32_e32 v14, 0x7f800001
	s_and_saveexec_b64 s[52:53], vcc
	s_cbranch_execz .LBB4_9363
; %bb.9362:                             ;   in Loop: Header=BB4_9358 Depth=3
	v_and_b32_e32 v16, 7, v2
	v_lshrrev_b32_e32 v17, 3, v0
	v_cmp_gt_u32_e32 vcc, 8, v0
	v_ffbh_u32_e32 v0, v16
	v_min_u32_e32 v0, 32, v0
	v_subrev_u32_e32 v14, 28, v0
	v_lshlrev_b64 v[14:15], v14, v[2:3]
	v_sub_u32_e32 v0, 29, v0
	v_and_b32_e32 v2, 7, v14
	v_cndmask_b32_e32 v0, v17, v0, vcc
	v_cndmask_b32_e32 v2, v16, v2, vcc
	v_lshlrev_b32_e32 v14, 24, v6
	v_lshlrev_b32_e32 v2, 20, v2
	v_and_b32_e32 v14, 0x80000000, v14
	v_lshl_add_u32 v0, v0, 23, v54
	v_or3_b32 v14, v14, v0, v2
.LBB4_9363:                             ;   in Loop: Header=BB4_9358 Depth=3
	s_or_b64 exec, exec, s[52:53]
.LBB4_9364:                             ;   in Loop: Header=BB4_9358 Depth=3
	s_or_b64 exec, exec, s[50:51]
.LBB4_9365:                             ;   in Loop: Header=BB4_9358 Depth=3
	s_or_b64 exec, exec, s[48:49]
	s_and_saveexec_b64 s[48:49], s[40:41]
	s_cbranch_execz .LBB4_9371
; %bb.9366:                             ;   in Loop: Header=BB4_9358 Depth=3
	v_bfrev_b32_e32 v7, 1
	s_and_saveexec_b64 s[50:51], s[28:29]
	s_cbranch_execz .LBB4_9370
; %bb.9367:                             ;   in Loop: Header=BB4_9358 Depth=3
	v_and_b32_e32 v2, 0xffff, v5
	v_and_b32_e32 v0, 0x7f, v2
	v_cmp_ne_u32_e32 vcc, s81, v0
	v_mov_b32_e32 v7, 0x7f800001
	s_and_saveexec_b64 s[52:53], vcc
	s_cbranch_execz .LBB4_9369
; %bb.9368:                             ;   in Loop: Header=BB4_9358 Depth=3
	v_and_b32_e32 v7, 7, v2
	v_lshrrev_b32_e32 v17, 3, v0
	v_cmp_gt_u32_e32 vcc, 8, v0
	v_ffbh_u32_e32 v0, v7
	v_min_u32_e32 v0, 32, v0
	v_subrev_u32_e32 v15, 28, v0
	v_lshlrev_b64 v[15:16], v15, v[2:3]
	v_sub_u32_e32 v0, 29, v0
	v_and_b32_e32 v2, 7, v15
	v_cndmask_b32_e32 v2, v7, v2, vcc
	v_cndmask_b32_e32 v0, v17, v0, vcc
	v_lshlrev_b32_e32 v2, 20, v2
	v_lshl_or_b32 v0, v0, 23, v2
	v_add_u32_e32 v0, 0x3c000000, v0
	v_or_b32_e32 v7, v0, v1
.LBB4_9369:                             ;   in Loop: Header=BB4_9358 Depth=3
	s_or_b64 exec, exec, s[52:53]
.LBB4_9370:                             ;   in Loop: Header=BB4_9358 Depth=3
	s_or_b64 exec, exec, s[50:51]
.LBB4_9371:                             ;   in Loop: Header=BB4_9358 Depth=3
	s_or_b64 exec, exec, s[48:49]
	v_max_f32_e32 v0, v7, v7
	v_max_f32_e32 v2, v14, v14
	;; [unrolled: 1-line block ×3, first 2 shown]
	s_mov_b64 s[48:49], 0
.LBB4_9372:                             ;   in Loop: Header=BB4_9358 Depth=3
	s_and_b64 vcc, exec, s[48:49]
	s_cbranch_vccz .LBB4_9386
; %bb.9373:                             ;   in Loop: Header=BB4_9358 Depth=3
	v_mov_b32_e32 v7, 0
	v_mov_b32_e32 v14, 0
	s_and_saveexec_b64 s[48:49], s[42:43]
	s_cbranch_execz .LBB4_9379
; %bb.9374:                             ;   in Loop: Header=BB4_9358 Depth=3
	v_cmp_ne_u16_e32 vcc, s80, v6
	v_bfrev_b32_e32 v14, 1
	s_and_saveexec_b64 s[42:43], vcc
	s_cbranch_execz .LBB4_9378
; %bb.9375:                             ;   in Loop: Header=BB4_9358 Depth=3
	v_and_b32_e32 v2, 0xffff, v6
	v_and_b32_e32 v0, 0x7f, v2
	v_cmp_ne_u32_e32 vcc, s81, v0
	v_mov_b32_e32 v14, 0x7f800001
	s_and_saveexec_b64 s[50:51], vcc
	s_cbranch_execz .LBB4_9377
; %bb.9376:                             ;   in Loop: Header=BB4_9358 Depth=3
	v_and_b32_e32 v16, 7, v2
	v_lshrrev_b32_e32 v17, 3, v0
	v_cmp_gt_u32_e32 vcc, 8, v0
	v_ffbh_u32_e32 v0, v16
	v_min_u32_e32 v0, 32, v0
	v_subrev_u32_e32 v14, 28, v0
	v_lshlrev_b64 v[14:15], v14, v[2:3]
	v_sub_u32_e32 v0, 29, v0
	v_and_b32_e32 v2, 7, v14
	v_cndmask_b32_e32 v0, v17, v0, vcc
	v_cndmask_b32_e32 v2, v16, v2, vcc
	v_lshlrev_b32_e32 v6, 24, v6
	v_lshlrev_b32_e32 v2, 20, v2
	v_and_b32_e32 v6, 0x80000000, v6
	v_lshl_add_u32 v0, v0, 23, v54
	v_or3_b32 v14, v6, v0, v2
.LBB4_9377:                             ;   in Loop: Header=BB4_9358 Depth=3
	s_or_b64 exec, exec, s[50:51]
.LBB4_9378:                             ;   in Loop: Header=BB4_9358 Depth=3
	s_or_b64 exec, exec, s[42:43]
.LBB4_9379:                             ;   in Loop: Header=BB4_9358 Depth=3
	s_or_b64 exec, exec, s[48:49]
	s_and_saveexec_b64 s[42:43], s[40:41]
	s_cbranch_execz .LBB4_9385
; %bb.9380:                             ;   in Loop: Header=BB4_9358 Depth=3
	v_bfrev_b32_e32 v7, 1
	s_and_saveexec_b64 s[40:41], s[28:29]
	s_cbranch_execz .LBB4_9384
; %bb.9381:                             ;   in Loop: Header=BB4_9358 Depth=3
	v_and_b32_e32 v2, 0xffff, v5
	v_and_b32_e32 v0, 0x7f, v2
	v_cmp_ne_u32_e32 vcc, s81, v0
	v_mov_b32_e32 v7, 0x7f800001
	s_and_saveexec_b64 s[28:29], vcc
	s_cbranch_execz .LBB4_9383
; %bb.9382:                             ;   in Loop: Header=BB4_9358 Depth=3
	v_and_b32_e32 v7, 7, v2
	v_lshrrev_b32_e32 v15, 3, v0
	v_cmp_gt_u32_e32 vcc, 8, v0
	v_ffbh_u32_e32 v0, v7
	v_min_u32_e32 v0, 32, v0
	v_subrev_u32_e32 v5, 28, v0
	v_lshlrev_b64 v[5:6], v5, v[2:3]
	v_sub_u32_e32 v0, 29, v0
	v_and_b32_e32 v2, 7, v5
	v_cndmask_b32_e32 v2, v7, v2, vcc
	v_cndmask_b32_e32 v0, v15, v0, vcc
	v_lshlrev_b32_e32 v2, 20, v2
	v_lshl_or_b32 v0, v0, 23, v2
	v_add_u32_e32 v0, 0x3c000000, v0
	v_or_b32_e32 v7, v0, v1
.LBB4_9383:                             ;   in Loop: Header=BB4_9358 Depth=3
	s_or_b64 exec, exec, s[28:29]
.LBB4_9384:                             ;   in Loop: Header=BB4_9358 Depth=3
	s_or_b64 exec, exec, s[40:41]
.LBB4_9385:                             ;   in Loop: Header=BB4_9358 Depth=3
	s_or_b64 exec, exec, s[42:43]
	v_max_f32_e32 v0, v7, v7
	v_max_f32_e32 v1, v14, v14
	v_min_f32_e32 v7, v1, v0
.LBB4_9386:                             ;   in Loop: Header=BB4_9358 Depth=3
	v_and_b32_e32 v2, 0x7f800000, v7
	v_cmp_ne_u64_e32 vcc, s[76:77], v[2:3]
                                        ; implicit-def: $vgpr2
	s_and_saveexec_b64 s[28:29], vcc
	s_xor_b64 s[40:41], exec, s[28:29]
	s_cbranch_execz .LBB4_9404
; %bb.9387:                             ;   in Loop: Header=BB4_9358 Depth=3
	v_and_b32_e32 v2, 0x7fffffff, v7
	v_cmp_gt_u64_e32 vcc, s[78:79], v[2:3]
	v_and_b32_sdwa v1, v7, s80 dst_sel:DWORD dst_unused:UNUSED_PAD src0_sel:BYTE_3 src1_sel:DWORD
                                        ; implicit-def: $vgpr2
	s_and_saveexec_b64 s[28:29], vcc
	s_xor_b64 s[42:43], exec, s[28:29]
	s_cbranch_execz .LBB4_9401
; %bb.9388:                             ;   in Loop: Header=BB4_9358 Depth=3
	v_cmp_ne_u32_e32 vcc, 0, v7
	v_mov_b32_e32 v2, 0
	s_and_saveexec_b64 s[48:49], vcc
	s_cbranch_execz .LBB4_9400
; %bb.9389:                             ;   in Loop: Header=BB4_9358 Depth=3
	v_bfe_u32 v5, v7, 23, 8
	v_cmp_gt_u32_e64 s[28:29], s83, v5
	v_sub_u32_e32 v2, 0x79, v5
	v_and_b32_e32 v0, 0x7fffff, v7
	v_cmp_eq_u32_e32 vcc, 0, v5
	v_cndmask_b32_e64 v2, 0, v2, s[28:29]
	v_mov_b32_e32 v6, 0x78
	v_or_b32_e32 v7, 0x800000, v0
	v_cndmask_b32_e32 v6, v2, v6, vcc
	v_cndmask_b32_e32 v2, v7, v0, vcc
	v_add_u32_e32 v0, 20, v6
	v_lshlrev_b64 v[14:15], v0, -1
	v_add_u32_e32 v0, 19, v6
	v_lshlrev_b64 v[16:17], v0, 1
	v_bfi_b32 v15, v15, 0, 0
	v_bfi_b32 v14, v14, 0, v2
	v_cmp_eq_u64_e64 s[28:29], v[14:15], v[16:17]
	v_lshrrev_b64 v[14:15], v6, v[2:3]
	v_mov_b32_e32 v16, v15
	v_mov_b32_e32 v15, v14
	s_and_saveexec_b64 s[50:51], s[28:29]
; %bb.9390:                             ;   in Loop: Header=BB4_9358 Depth=3
	v_bfe_u32 v0, v14, 20, 1
	v_add_co_u32_e64 v0, s[28:29], v14, v0
	v_add_co_u32_e64 v15, s[28:29], -1, v0
; %bb.9391:                             ;   in Loop: Header=BB4_9358 Depth=3
	s_or_b64 exec, exec, s[50:51]
	v_add_u32_e32 v0, 0xffffff81, v5
	v_mov_b32_e32 v2, 0xffffff82
	v_cndmask_b32_e32 v0, v0, v2, vcc
	v_lshrrev_b32_e32 v2, 23, v14
	v_add3_u32 v6, v6, v0, v2
	v_add_u32_e32 v0, 6, v6
	v_and_b32_e32 v2, 0xfffff, v15
	v_add_u32_e32 v2, v2, v14
	v_cmp_ne_u32_e32 vcc, 0, v0
                                        ; implicit-def: $vgpr14_vgpr15
                                        ; implicit-def: $vgpr5
	s_and_saveexec_b64 s[28:29], vcc
	s_xor_b64 s[28:29], exec, s[28:29]
; %bb.9392:                             ;   in Loop: Header=BB4_9358 Depth=3
	v_cmp_lt_u64_e32 vcc, s[88:89], v[2:3]
	v_add_u32_e32 v5, 7, v6
	v_cndmask_b32_e32 v5, v0, v5, vcc
	v_cndmask_b32_e64 v0, 0, 1, vcc
	v_lshrrev_b64 v[14:15], v0, v[2:3]
; %bb.9393:                             ;   in Loop: Header=BB4_9358 Depth=3
	s_andn2_saveexec_b64 s[28:29], s[28:29]
; %bb.9394:                             ;   in Loop: Header=BB4_9358 Depth=3
	v_mov_b32_e32 v15, v3
	v_bfe_u32 v5, v2, 23, 1
	v_mov_b32_e32 v14, v2
; %bb.9395:                             ;   in Loop: Header=BB4_9358 Depth=3
	s_or_b64 exec, exec, s[28:29]
	v_lshrrev_b64 v[6:7], 20, v[14:15]
	v_cmp_gt_i32_e32 vcc, 16, v5
	v_cndmask_b32_e32 v15, 0, v7, vcc
	v_cndmask_b32_e32 v14, 7, v6, vcc
	v_cmp_ne_u64_e32 vcc, 0, v[14:15]
	v_cmp_ne_u32_e64 s[28:29], 0, v5
	s_or_b64 s[28:29], s[28:29], vcc
                                        ; implicit-def: $vgpr2
	s_and_saveexec_b64 vcc, s[28:29]
	s_xor_b64 s[28:29], exec, vcc
; %bb.9396:                             ;   in Loop: Header=BB4_9358 Depth=3
	v_min_i32_e32 v0, 15, v5
	v_lshl_or_b32 v0, v0, 3, v1
	v_and_or_b32 v2, v14, 7, v0
                                        ; implicit-def: $vgpr1
; %bb.9397:                             ;   in Loop: Header=BB4_9358 Depth=3
	s_andn2_saveexec_b64 s[28:29], s[28:29]
; %bb.9398:                             ;   in Loop: Header=BB4_9358 Depth=3
	v_mov_b32_e32 v2, v1
; %bb.9399:                             ;   in Loop: Header=BB4_9358 Depth=3
	s_or_b64 exec, exec, s[28:29]
.LBB4_9400:                             ;   in Loop: Header=BB4_9358 Depth=3
	s_or_b64 exec, exec, s[48:49]
                                        ; implicit-def: $vgpr1
.LBB4_9401:                             ;   in Loop: Header=BB4_9358 Depth=3
	s_andn2_saveexec_b64 s[28:29], s[42:43]
; %bb.9402:                             ;   in Loop: Header=BB4_9358 Depth=3
	v_or_b32_e32 v2, 0x7e, v1
; %bb.9403:                             ;   in Loop: Header=BB4_9358 Depth=3
	s_or_b64 exec, exec, s[28:29]
                                        ; implicit-def: $vgpr7
.LBB4_9404:                             ;   in Loop: Header=BB4_9358 Depth=3
	s_andn2_saveexec_b64 s[28:29], s[40:41]
	s_cbranch_execz .LBB4_9357
; %bb.9405:                             ;   in Loop: Header=BB4_9358 Depth=3
	v_or_b32_sdwa v2, v7, s81 dst_sel:DWORD dst_unused:UNUSED_PAD src0_sel:BYTE_3 src1_sel:DWORD
	s_branch .LBB4_9357
.LBB4_9406:                             ;   in Loop: Header=BB4_3419 Depth=2
	s_or_b64 exec, exec, s[44:45]
	s_waitcnt vmcnt(0)
	v_cmp_lt_i32_e64 s[28:29], 0, v21
	s_and_saveexec_b64 s[40:41], s[10:11]
	s_cbranch_execz .LBB4_4905
.LBB4_9407:                             ;   in Loop: Header=BB4_3419 Depth=2
	s_and_saveexec_b64 s[42:43], s[72:73]
	s_xor_b64 s[42:43], exec, s[42:43]
	s_cbranch_execz .LBB4_9422
; %bb.9408:                             ;   in Loop: Header=BB4_3419 Depth=2
	s_and_saveexec_b64 s[44:45], s[16:17]
	s_cbranch_execz .LBB4_9421
; %bb.9409:                             ;   in Loop: Header=BB4_3419 Depth=2
	s_mov_b64 s[38:39], exec
	v_mbcnt_lo_u32_b32 v0, s38, 0
	v_mbcnt_hi_u32_b32 v0, s39, v0
	v_cmp_eq_u32_e32 vcc, 0, v0
	s_waitcnt vmcnt(0) lgkmcnt(0)
	buffer_wbinvl1_vol
	s_and_saveexec_b64 s[46:47], vcc
	s_cbranch_execz .LBB4_9411
; %bb.9410:                             ;   in Loop: Header=BB4_3419 Depth=2
	s_bcnt1_i32_b64 s9, s[38:39]
	v_mov_b32_e32 v2, s9
	ds_add_u64 v0, v[2:3]
	s_trap 2
.LBB4_9411:                             ;   in Loop: Header=BB4_3419 Depth=2
	s_or_b64 exec, exec, s[46:47]
	s_trap 2
	ds_read_b64 v[0:1], v0
	s_waitcnt lgkmcnt(0)
	v_add_co_u32_e32 v38, vcc, v38, v57
	v_addc_co_u32_e32 v39, vcc, 0, v39, vcc
	v_cmp_lt_u64_e32 vcc, v[0:1], v[38:39]
	s_and_saveexec_b64 s[46:47], vcc
	s_cbranch_execz .LBB4_9420
; %bb.9412:                             ;   in Loop: Header=BB4_3419 Depth=2
	s_mov_b32 s9, 0
	s_mov_b64 s[38:39], 0
                                        ; implicit-def: $sgpr48_sgpr49
                                        ; implicit-def: $sgpr50_sgpr51
	s_branch .LBB4_9414
.LBB4_9413:                             ;   in Loop: Header=BB4_9414 Depth=3
	s_or_b64 exec, exec, s[54:55]
	s_and_b64 vcc, exec, vcc
	s_or_b64 s[38:39], vcc, s[38:39]
	s_andn2_b64 vcc, s[48:49], exec
	s_and_b64 s[48:49], s[50:51], exec
	s_or_b64 s[48:49], vcc, s[48:49]
	s_andn2_b64 exec, exec, s[38:39]
	s_cbranch_execz .LBB4_9418
.LBB4_9414:                             ;   Parent Loop BB4_47 Depth=1
                                        ;     Parent Loop BB4_3419 Depth=2
                                        ; =>    This Inner Loop Header: Depth=3
	s_add_i32 s9, s9, 1
	s_cmpk_lg_i32 s9, 0x2710
	s_cselect_b64 s[52:53], -1, 0
	s_and_b64 vcc, exec, s[52:53]
	s_cbranch_vccz .LBB4_9416
; %bb.9415:                             ;   in Loop: Header=BB4_9414 Depth=3
	s_mov_b64 vcc, -1
	s_or_b64 s[50:51], s[50:51], exec
	s_and_saveexec_b64 s[54:55], s[52:53]
	s_cbranch_execz .LBB4_9413
	s_branch .LBB4_9417
.LBB4_9416:                             ;   in Loop: Header=BB4_9414 Depth=3
	s_trap 2
	ds_read_b64 v[0:1], v0
	s_andn2_b64 s[52:53], s[52:53], exec
	s_mov_b32 s9, 0
	s_waitcnt lgkmcnt(0)
	flat_load_dword v0, v[0:1] glc
	s_waitcnt vmcnt(0) lgkmcnt(0)
	buffer_wbinvl1_vol
	v_cmp_eq_u32_e32 vcc, 0, v0
	s_and_b64 vcc, vcc, exec
	s_or_b64 s[52:53], s[52:53], vcc
	s_mov_b64 vcc, -1
	s_or_b64 s[50:51], s[50:51], exec
	s_and_saveexec_b64 s[54:55], s[52:53]
	s_cbranch_execz .LBB4_9413
.LBB4_9417:                             ;   in Loop: Header=BB4_9414 Depth=3
	s_sleep 1
	s_trap 2
	ds_read_b64 v[0:1], v0
	s_waitcnt lgkmcnt(0)
	s_andn2_b64 s[50:51], s[50:51], exec
	v_cmp_ge_u64_e32 vcc, v[0:1], v[38:39]
	s_orn2_b64 vcc, vcc, exec
	s_branch .LBB4_9413
.LBB4_9418:                             ;   in Loop: Header=BB4_3419 Depth=2
	s_or_b64 exec, exec, s[38:39]
	s_and_saveexec_b64 vcc, s[48:49]
	s_xor_b64 vcc, exec, vcc
	s_cbranch_execz .LBB4_9420
; %bb.9419:                             ;   in Loop: Header=BB4_3419 Depth=2
	v_mov_b32_e32 v0, 1
	ds_write_b32 v0, v0
	s_trap 2
.LBB4_9420:                             ;   in Loop: Header=BB4_3419 Depth=2
	s_or_b64 exec, exec, s[46:47]
	;;#ASMSTART
	s_wakeup
	;;#ASMEND
.LBB4_9421:                             ;   in Loop: Header=BB4_3419 Depth=2
	s_or_b64 exec, exec, s[44:45]
.LBB4_9422:                             ;   in Loop: Header=BB4_3419 Depth=2
	s_andn2_saveexec_b64 s[42:43], s[42:43]
	s_cbranch_execz .LBB4_9424
; %bb.9423:                             ;   in Loop: Header=BB4_3419 Depth=2
	s_waitcnt vmcnt(0) lgkmcnt(0)
	buffer_wbinvl1_vol
	s_barrier
.LBB4_9424:                             ;   in Loop: Header=BB4_3419 Depth=2
	s_or_b64 exec, exec, s[42:43]
	s_or_b64 exec, exec, s[40:41]
                                        ; implicit-def: $vgpr0
	s_and_saveexec_b64 s[40:41], s[24:25]
	s_xor_b64 s[40:41], exec, s[40:41]
	s_cbranch_execnz .LBB4_4906
.LBB4_9425:                             ;   in Loop: Header=BB4_3419 Depth=2
	s_andn2_saveexec_b64 s[28:29], s[40:41]
	s_cbranch_execz .LBB4_9444
.LBB4_9426:                             ;   in Loop: Header=BB4_3419 Depth=2
	s_and_saveexec_b64 s[40:41], s[72:73]
	s_xor_b64 s[40:41], exec, s[40:41]
	s_cbranch_execz .LBB4_9441
; %bb.9427:                             ;   in Loop: Header=BB4_3419 Depth=2
	s_and_saveexec_b64 s[42:43], s[16:17]
	s_cbranch_execz .LBB4_9440
; %bb.9428:                             ;   in Loop: Header=BB4_3419 Depth=2
	s_mov_b64 s[46:47], exec
	v_mbcnt_lo_u32_b32 v0, s46, 0
	v_mbcnt_hi_u32_b32 v0, s47, v0
	v_cmp_eq_u32_e32 vcc, 0, v0
	;;#ASMSTART
	s_waitcnt lgkmcnt(0) vmcnt(0)
	;;#ASMEND
	s_and_saveexec_b64 s[44:45], vcc
	s_cbranch_execz .LBB4_9430
; %bb.9429:                             ;   in Loop: Header=BB4_3419 Depth=2
	s_bcnt1_i32_b64 s9, s[46:47]
	v_mov_b32_e32 v2, s9
	s_waitcnt lgkmcnt(0)
	ds_add_u64 v0, v[2:3]
	s_trap 2
.LBB4_9430:                             ;   in Loop: Header=BB4_3419 Depth=2
	s_or_b64 exec, exec, s[44:45]
	s_trap 2
	s_waitcnt vmcnt(0)
	ds_read_b64 v[0:1], v0
	s_waitcnt lgkmcnt(0)
	v_add_co_u32_e32 v38, vcc, v38, v57
	v_addc_co_u32_e32 v39, vcc, 0, v39, vcc
	v_cmp_lt_u64_e32 vcc, v[0:1], v[38:39]
	s_and_saveexec_b64 s[44:45], vcc
	s_cbranch_execz .LBB4_9439
; %bb.9431:                             ;   in Loop: Header=BB4_3419 Depth=2
	s_mov_b32 s9, 0
	s_mov_b64 s[46:47], 0
                                        ; implicit-def: $sgpr38_sgpr39
                                        ; implicit-def: $sgpr48_sgpr49
	s_branch .LBB4_9433
.LBB4_9432:                             ;   in Loop: Header=BB4_9433 Depth=3
	s_or_b64 exec, exec, s[52:53]
	s_and_b64 vcc, exec, vcc
	s_or_b64 s[46:47], vcc, s[46:47]
	s_andn2_b64 vcc, s[38:39], exec
	s_and_b64 s[38:39], s[48:49], exec
	s_or_b64 s[38:39], vcc, s[38:39]
	s_andn2_b64 exec, exec, s[46:47]
	s_cbranch_execz .LBB4_9437
.LBB4_9433:                             ;   Parent Loop BB4_47 Depth=1
                                        ;     Parent Loop BB4_3419 Depth=2
                                        ; =>    This Inner Loop Header: Depth=3
	s_add_i32 s9, s9, 1
	s_cmpk_lg_i32 s9, 0x2710
	s_cselect_b64 s[50:51], -1, 0
	s_and_b64 vcc, exec, s[50:51]
	s_cbranch_vccz .LBB4_9435
; %bb.9434:                             ;   in Loop: Header=BB4_9433 Depth=3
	s_mov_b64 vcc, -1
	s_or_b64 s[48:49], s[48:49], exec
	s_and_saveexec_b64 s[52:53], s[50:51]
	s_cbranch_execz .LBB4_9432
	s_branch .LBB4_9436
.LBB4_9435:                             ;   in Loop: Header=BB4_9433 Depth=3
	s_trap 2
	ds_read_b64 v[0:1], v0
	s_andn2_b64 s[50:51], s[50:51], exec
	s_mov_b32 s9, 0
	s_waitcnt lgkmcnt(0)
	flat_load_dword v0, v[0:1] glc
	s_waitcnt vmcnt(0) lgkmcnt(0)
	buffer_wbinvl1_vol
	v_cmp_eq_u32_e32 vcc, 0, v0
	s_and_b64 vcc, vcc, exec
	s_or_b64 s[50:51], s[50:51], vcc
	s_mov_b64 vcc, -1
	s_or_b64 s[48:49], s[48:49], exec
	s_and_saveexec_b64 s[52:53], s[50:51]
	s_cbranch_execz .LBB4_9432
.LBB4_9436:                             ;   in Loop: Header=BB4_9433 Depth=3
	s_sleep 1
	s_trap 2
	ds_read_b64 v[0:1], v0
	s_waitcnt lgkmcnt(0)
	s_andn2_b64 s[48:49], s[48:49], exec
	v_cmp_ge_u64_e32 vcc, v[0:1], v[38:39]
	s_orn2_b64 vcc, vcc, exec
	s_branch .LBB4_9432
.LBB4_9437:                             ;   in Loop: Header=BB4_3419 Depth=2
	s_or_b64 exec, exec, s[46:47]
	s_and_saveexec_b64 s[46:47], s[38:39]
	s_xor_b64 s[46:47], exec, s[46:47]
	s_cbranch_execz .LBB4_9439
; %bb.9438:                             ;   in Loop: Header=BB4_3419 Depth=2
	v_mov_b32_e32 v0, 1
	ds_write_b32 v0, v0
	s_trap 2
.LBB4_9439:                             ;   in Loop: Header=BB4_3419 Depth=2
	s_or_b64 exec, exec, s[44:45]
	;;#ASMSTART
	s_wakeup
	;;#ASMEND
.LBB4_9440:                             ;   in Loop: Header=BB4_3419 Depth=2
	s_or_b64 exec, exec, s[42:43]
.LBB4_9441:                             ;   in Loop: Header=BB4_3419 Depth=2
	s_andn2_saveexec_b64 s[40:41], s[40:41]
	s_cbranch_execz .LBB4_9443
; %bb.9442:                             ;   in Loop: Header=BB4_3419 Depth=2
	;;#ASMSTART
	s_waitcnt lgkmcnt(0) vmcnt(0)
	;;#ASMEND
	s_waitcnt vmcnt(0) lgkmcnt(0)
	s_barrier
.LBB4_9443:                             ;   in Loop: Header=BB4_3419 Depth=2
	s_or_b64 exec, exec, s[40:41]
	v_and_b32_e32 v0, 16, v52
.LBB4_9444:                             ;   in Loop: Header=BB4_3419 Depth=2
	s_or_b64 exec, exec, s[28:29]
	v_cmp_ne_u32_e32 vcc, 0, v0
	s_xor_b64 s[28:29], s[12:13], -1
	s_and_b64 s[40:41], vcc, s[28:29]
	s_and_saveexec_b64 s[28:29], s[40:41]
	s_cbranch_execz .LBB4_9446
; %bb.9445:                             ;   in Loop: Header=BB4_3419 Depth=2
	buffer_load_dword v0, off, s[0:3], s33 offset:104 ; 4-byte Folded Reload
	buffer_load_dword v1, off, s[0:3], s33 offset:108 ; 4-byte Folded Reload
	v_mov_b32_e32 v2, 1
	s_waitcnt vmcnt(0)
	flat_store_dword v[0:1], v2
.LBB4_9446:                             ;   in Loop: Header=BB4_3419 Depth=2
	s_or_b64 exec, exec, s[28:29]
	v_and_b32_e32 v0, 48, v52
	v_cmp_ne_u32_e32 vcc, 0, v0
	s_and_saveexec_b64 s[28:29], vcc
	s_cbranch_execnz .LBB4_9447
; %bb.10039:                            ;   in Loop: Header=BB4_3419 Depth=2
	s_getpc_b64 s[98:99]
.Lpost_getpc11:
	s_add_u32 s98, s98, (.LBB4_3418-.Lpost_getpc11)&4294967295
	s_addc_u32 s99, s99, (.LBB4_3418-.Lpost_getpc11)>>32
	s_setpc_b64 s[98:99]
.LBB4_9447:                             ;   in Loop: Header=BB4_3419 Depth=2
	buffer_load_dword v0, off, s[0:3], s33 offset:56 ; 4-byte Folded Reload
	buffer_load_dword v1, off, s[0:3], s33 offset:60 ; 4-byte Folded Reload
	s_waitcnt vmcnt(0)
	v_add_co_u32_e32 v0, vcc, 2, v0
	v_addc_co_u32_e32 v1, vcc, 0, v1, vcc
	buffer_store_dword v0, off, s[0:3], s33 offset:56 ; 4-byte Folded Spill
	s_nop 0
	buffer_store_dword v1, off, s[0:3], s33 offset:60 ; 4-byte Folded Spill
	flat_store_dwordx2 v[32:33], v[0:1]
; %bb.10027:                            ;   in Loop: Header=BB4_3419 Depth=2
	s_getpc_b64 s[98:99]
.Lpost_getpc5:
	s_add_u32 s98, s98, (.LBB4_3418-.Lpost_getpc5)&4294967295
	s_addc_u32 s99, s99, (.LBB4_3418-.Lpost_getpc5)>>32
	s_setpc_b64 s[98:99]
.LBB4_9448:                             ;   in Loop: Header=BB4_47 Depth=1
	s_or_b64 exec, exec, s[30:31]
	v_cmp_gt_i32_e32 vcc, 2, v1
	s_and_saveexec_b64 s[40:41], vcc
	s_cbranch_execz .LBB4_9524
.LBB4_9449:                             ;   in Loop: Header=BB4_47 Depth=1
	buffer_load_dword v12, off, s[0:3], s33 offset:164 ; 4-byte Folded Reload
	buffer_load_dword v13, off, s[0:3], s33 offset:168 ; 4-byte Folded Reload
	v_cmp_eq_u32_e64 s[44:45], 0, v1
	s_mov_b64 s[42:43], 0
	s_branch .LBB4_9451
.LBB4_9450:                             ;   in Loop: Header=BB4_9451 Depth=2
	s_or_b64 exec, exec, s[28:29]
	v_add_u32_e32 v56, v12, v56
	s_mov_b64 s[44:45], 0
	s_andn2_b64 exec, exec, s[42:43]
	s_cbranch_execz .LBB4_9525
.LBB4_9451:                             ;   Parent Loop BB4_47 Depth=1
                                        ; =>  This Loop Header: Depth=2
                                        ;       Child Loop BB4_9457 Depth 3
                                        ;       Child Loop BB4_9485 Depth 3
                                        ;       Child Loop BB4_9508 Depth 3
	v_sub_u32_e32 v0, v41, v56
	s_waitcnt vmcnt(0)
	v_min_i32_e32 v12, v12, v0
	v_and_b32_e32 v0, 12, v52
	v_cmp_ne_u32_e32 vcc, 0, v0
	s_and_saveexec_b64 s[46:47], vcc
	s_cbranch_execz .LBB4_9477
; %bb.9452:                             ;   in Loop: Header=BB4_9451 Depth=2
	buffer_load_dword v6, off, s[0:3], s33 offset:56 ; 4-byte Folded Reload
	buffer_load_dword v7, off, s[0:3], s33 offset:60 ; 4-byte Folded Reload
	v_and_b32_e32 v1, 8, v52
	s_waitcnt lgkmcnt(0)
	v_add_co_u32_e32 v4, vcc, v48, v1
	v_addc_co_u32_e32 v5, vcc, 0, v49, vcc
	s_waitcnt vmcnt(1)
	v_add_co_u32_e32 v8, vcc, 2, v6
	s_waitcnt vmcnt(0)
	v_addc_co_u32_e32 v9, vcc, 0, v7, vcc
	v_cmp_lt_u64_e32 vcc, v[4:5], v[8:9]
	s_and_saveexec_b64 s[30:31], vcc
	s_cbranch_execz .LBB4_9464
; %bb.9453:                             ;   in Loop: Header=BB4_9451 Depth=2
	v_and_b32_e32 v0, 64, v52
	s_mov_b32 s9, 0
	v_cmp_eq_u32_e32 vcc, 0, v0
	s_mov_b64 s[34:35], 0
                                        ; implicit-def: $sgpr36_sgpr37
                                        ; implicit-def: $sgpr38_sgpr39
                                        ; implicit-def: $sgpr48_sgpr49
	s_branch .LBB4_9457
.LBB4_9454:                             ;   in Loop: Header=BB4_9457 Depth=3
	s_waitcnt vmcnt(0) lgkmcnt(0)
	v_add_co_u32_e64 v4, s[28:29], v48, v1
	v_addc_co_u32_e64 v5, s[28:29], 0, v49, s[28:29]
	v_cmp_ge_u64_e64 s[28:29], v[4:5], v[8:9]
	s_or_b64 s[54:55], s[54:55], exec
	s_orn2_b64 s[52:53], s[28:29], exec
.LBB4_9455:                             ;   in Loop: Header=BB4_9457 Depth=3
	s_or_b64 exec, exec, s[66:67]
	s_andn2_b64 s[28:29], s[48:49], exec
	s_and_b64 s[48:49], s[54:55], exec
	s_or_b64 s[48:49], s[28:29], s[48:49]
	s_andn2_b64 s[28:29], s[38:39], exec
	s_and_b64 s[38:39], s[52:53], exec
	s_or_b64 s[38:39], s[28:29], s[38:39]
.LBB4_9456:                             ;   in Loop: Header=BB4_9457 Depth=3
	s_or_b64 exec, exec, s[50:51]
	s_and_b64 s[28:29], exec, s[38:39]
	s_or_b64 s[34:35], s[28:29], s[34:35]
	s_andn2_b64 s[28:29], s[36:37], exec
	s_and_b64 s[36:37], s[48:49], exec
	s_or_b64 s[36:37], s[28:29], s[36:37]
	s_andn2_b64 exec, exec, s[34:35]
	s_cbranch_execz .LBB4_9461
.LBB4_9457:                             ;   Parent Loop BB4_47 Depth=1
                                        ;     Parent Loop BB4_9451 Depth=2
                                        ; =>    This Inner Loop Header: Depth=3
	s_sleep 1
	s_waitcnt vmcnt(0) lgkmcnt(0)
	flat_load_dwordx2 v[48:49], v[32:33] glc
	s_or_b64 s[48:49], s[48:49], exec
	s_or_b64 s[38:39], s[38:39], exec
                                        ; implicit-def: $vgpr2
	s_and_saveexec_b64 s[50:51], vcc
	s_cbranch_execz .LBB4_9456
; %bb.9458:                             ;   in Loop: Header=BB4_9457 Depth=3
	s_cmpk_lt_i32 s9, 0x270f
	s_cselect_b64 s[64:65], -1, 0
	s_cmpk_gt_i32 s9, 0x270e
	s_mov_b64 s[52:53], -1
	s_cbranch_scc0 .LBB4_9460
; %bb.9459:                             ;   in Loop: Header=BB4_9457 Depth=3
	s_trap 2
	ds_read_b64 v[4:5], v0
	s_andn2_b64 s[64:65], s[64:65], exec
	s_mov_b32 s9, 0
	s_mov_b64 s[54:55], 0
	s_waitcnt vmcnt(0) lgkmcnt(0)
	flat_load_dword v2, v[4:5] glc
	s_waitcnt vmcnt(0) lgkmcnt(0)
	buffer_wbinvl1_vol
	v_cmp_eq_u32_e64 s[28:29], 0, v2
	s_and_b64 s[28:29], s[28:29], exec
	s_or_b64 s[64:65], s[64:65], s[28:29]
	s_and_saveexec_b64 s[66:67], s[64:65]
	s_cbranch_execz .LBB4_9455
	s_branch .LBB4_9454
.LBB4_9460:                             ;   in Loop: Header=BB4_9457 Depth=3
	s_add_i32 s9, s9, 1
	s_mov_b64 s[54:55], -1
                                        ; implicit-def: $vgpr2
	s_and_saveexec_b64 s[66:67], s[64:65]
	s_cbranch_execz .LBB4_9455
	s_branch .LBB4_9454
.LBB4_9461:                             ;   in Loop: Header=BB4_9451 Depth=2
	s_or_b64 exec, exec, s[34:35]
	s_xor_b64 s[28:29], s[36:37], -1
	s_and_saveexec_b64 vcc, s[28:29]
	s_xor_b64 s[28:29], exec, vcc
	s_cbranch_execz .LBB4_9463
; %bb.9462:                             ;   in Loop: Header=BB4_9451 Depth=2
	v_or_b32_e32 v52, 64, v52
	s_waitcnt lgkmcnt(0)
	ds_write_b32 v0, v2
	s_trap 2
.LBB4_9463:                             ;   in Loop: Header=BB4_9451 Depth=2
	s_or_b64 exec, exec, s[28:29]
.LBB4_9464:                             ;   in Loop: Header=BB4_9451 Depth=2
	s_or_b64 exec, exec, s[30:31]
	v_and_b32_e32 v0, 0x108, v52
	v_cmp_ne_u32_e32 vcc, s71, v0
	;;#ASMSTART
	s_wakeup
	;;#ASMEND
	s_and_saveexec_b64 s[28:29], vcc
	s_xor_b64 s[28:29], exec, s[28:29]
                                        ; implicit-def: $vgpr2
	s_cbranch_execz .LBB4_9466
; %bb.9465:                             ;   in Loop: Header=BB4_9451 Depth=2
	buffer_load_dword v4, off, s[0:3], s33 offset:56 ; 4-byte Folded Reload
	buffer_load_dword v5, off, s[0:3], s33 offset:60 ; 4-byte Folded Reload
	s_waitcnt vmcnt(0)
	v_and_b32_e32 v2, 7, v4
                                        ; implicit-def: $vgpr4_vgpr5
                                        ; kill: killed $vgpr4_vgpr5
.LBB4_9466:                             ;   in Loop: Header=BB4_9451 Depth=2
	s_andn2_saveexec_b64 s[28:29], s[28:29]
	s_cbranch_execz .LBB4_9468
; %bb.9467:                             ;   in Loop: Header=BB4_9451 Depth=2
	buffer_load_dword v4, off, s[0:3], s33 offset:56 ; 4-byte Folded Reload
	buffer_load_dword v5, off, s[0:3], s33 offset:60 ; 4-byte Folded Reload
	s_waitcnt vmcnt(0)
	v_and_b32_e32 v2, 7, v4
	buffer_load_dword v4, off, s[0:3], s33 offset:88 ; 4-byte Folded Reload
	buffer_load_dword v5, off, s[0:3], s33 offset:92 ; 4-byte Folded Reload
	;; [unrolled: 1-line block ×4, first 2 shown]
	s_waitcnt vmcnt(0)
	v_mov_b32_e32 v6, v12
	v_ashrrev_i32_e32 v7, 31, v6
	v_mad_u64_u32 v[4:5], vcc, v2, 24, v[4:5]
	flat_store_dwordx2 v[4:5], v[6:7] offset:8
.LBB4_9468:                             ;   in Loop: Header=BB4_9451 Depth=2
	s_or_b64 exec, exec, s[28:29]
	v_and_b32_e32 v0, 0x100, v52
	v_cmp_ne_u32_e32 vcc, 0, v0
	s_mov_b64 s[28:29], -1
                                        ; implicit-def: $vgpr10_vgpr11
	s_and_saveexec_b64 s[30:31], vcc
	s_cbranch_execz .LBB4_9472
; %bb.9469:                             ;   in Loop: Header=BB4_9451 Depth=2
	buffer_load_dword v4, off, s[0:3], s33 offset:88 ; 4-byte Folded Reload
	buffer_load_dword v5, off, s[0:3], s33 offset:92 ; 4-byte Folded Reload
	buffer_load_dword v6, off, s[0:3], s33 offset:96 ; 4-byte Folded Reload
	buffer_load_dword v7, off, s[0:3], s33 offset:100 ; 4-byte Folded Reload
                                        ; implicit-def: $vgpr10_vgpr11
	s_waitcnt vmcnt(0)
	v_mad_u64_u32 v[4:5], s[28:29], v2, 24, v[4:5]
	v_mov_b32_e32 v0, v5
	v_mad_u64_u32 v[5:6], s[28:29], v3, 24, v[0:1]
	flat_load_dword v0, v[4:5]
	s_waitcnt vmcnt(0) lgkmcnt(0)
	v_cmp_ne_u32_e32 vcc, 1, v0
	v_cmp_eq_u32_e64 s[28:29], 1, v0
	s_and_saveexec_b64 s[34:35], s[28:29]
	s_cbranch_execz .LBB4_9471
; %bb.9470:                             ;   in Loop: Header=BB4_9451 Depth=2
	flat_load_dword v10, v[4:5] offset:4 glc
	s_waitcnt vmcnt(0) lgkmcnt(0)
	v_ashrrev_i32_e32 v11, 31, v10
.LBB4_9471:                             ;   in Loop: Header=BB4_9451 Depth=2
	s_or_b64 exec, exec, s[34:35]
	s_orn2_b64 s[28:29], vcc, exec
.LBB4_9472:                             ;   in Loop: Header=BB4_9451 Depth=2
	s_or_b64 exec, exec, s[30:31]
	s_and_saveexec_b64 vcc, s[28:29]
	s_cbranch_execz .LBB4_9474
; %bb.9473:                             ;   in Loop: Header=BB4_9451 Depth=2
	buffer_load_dword v5, off, s[0:3], s33 offset:112 ; 4-byte Folded Reload
	buffer_load_dword v4, off, s[0:3], s33 offset:132 ; 4-byte Folded Reload
	s_waitcnt vmcnt(0)
	v_mul_lo_u32 v0, v3, v5
	v_mul_lo_u32 v4, v2, v4
	v_mad_u64_u32 v[10:11], s[28:29], v2, v5, 0
	v_add3_u32 v11, v11, v4, v0
.LBB4_9474:                             ;   in Loop: Header=BB4_9451 Depth=2
	s_or_b64 exec, exec, vcc
	v_cmp_eq_u32_e32 vcc, 0, v1
	v_mov_b32_e32 v0, 0x90
	v_mov_b32_e32 v1, 0xd0
	v_cndmask_b32_e32 v2, v1, v0, vcc
	buffer_load_dword v0, off, s[0:3], s33 offset:80 ; 4-byte Folded Reload
	buffer_load_dword v1, off, s[0:3], s33 offset:84 ; 4-byte Folded Reload
	s_waitcnt vmcnt(0)
	v_add_co_u32_e32 v0, vcc, v0, v10
	v_addc_co_u32_e32 v1, vcc, v1, v11, vcc
	v_add_u32_e32 v2, v0, v2
	ds_write_b64 v2, v[0:1] offset:584
	v_and_b32_e32 v0, 0x2000, v52
	v_cmp_ne_u32_e32 vcc, 0, v0
	s_and_saveexec_b64 s[28:29], vcc
	s_cbranch_execz .LBB4_9476
; %bb.9475:                             ;   in Loop: Header=BB4_9451 Depth=2
	ds_read_b64 v[0:1], v0 offset:872
	s_waitcnt lgkmcnt(0)
	v_add_co_u32_e32 v0, vcc, 1, v0
	v_addc_co_u32_e32 v1, vcc, 0, v1, vcc
	ds_write_b64 v0, v[0:1] offset:872
.LBB4_9476:                             ;   in Loop: Header=BB4_9451 Depth=2
	s_or_b64 exec, exec, s[28:29]
	buffer_store_dword v8, off, s[0:3], s33 offset:56 ; 4-byte Folded Spill
	s_nop 0
	buffer_store_dword v9, off, s[0:3], s33 offset:60 ; 4-byte Folded Spill
.LBB4_9477:                             ;   in Loop: Header=BB4_9451 Depth=2
	s_or_b64 exec, exec, s[46:47]
	s_xor_b64 s[28:29], s[44:45], -1
	s_and_b64 s[28:29], exec, s[28:29]
	s_or_b64 s[42:43], s[28:29], s[42:43]
	s_and_saveexec_b64 s[28:29], s[10:11]
	s_cbranch_execz .LBB4_9496
; %bb.9478:                             ;   in Loop: Header=BB4_9451 Depth=2
	s_and_saveexec_b64 s[44:45], s[72:73]
	s_xor_b64 s[44:45], exec, s[44:45]
	s_cbranch_execz .LBB4_9493
; %bb.9479:                             ;   in Loop: Header=BB4_9451 Depth=2
	s_and_saveexec_b64 s[46:47], s[16:17]
	s_cbranch_execz .LBB4_9492
; %bb.9480:                             ;   in Loop: Header=BB4_9451 Depth=2
	s_mov_b64 s[34:35], exec
	v_mbcnt_lo_u32_b32 v0, s34, 0
	v_mbcnt_hi_u32_b32 v0, s35, v0
	v_cmp_eq_u32_e32 vcc, 0, v0
	s_waitcnt vmcnt(0) lgkmcnt(0)
	buffer_wbinvl1_vol
	s_and_saveexec_b64 s[30:31], vcc
	s_cbranch_execz .LBB4_9482
; %bb.9481:                             ;   in Loop: Header=BB4_9451 Depth=2
	s_bcnt1_i32_b64 s9, s[34:35]
	v_mov_b32_e32 v2, s9
	ds_add_u64 v0, v[2:3]
	s_trap 2
.LBB4_9482:                             ;   in Loop: Header=BB4_9451 Depth=2
	s_or_b64 exec, exec, s[30:31]
	s_trap 2
	ds_read_b64 v[0:1], v0
	s_waitcnt lgkmcnt(0)
	v_add_co_u32_e32 v38, vcc, v38, v57
	v_addc_co_u32_e32 v39, vcc, 0, v39, vcc
	v_cmp_lt_u64_e32 vcc, v[0:1], v[38:39]
	s_and_saveexec_b64 s[30:31], vcc
	s_cbranch_execz .LBB4_9491
; %bb.9483:                             ;   in Loop: Header=BB4_9451 Depth=2
	s_mov_b32 s9, 0
	s_mov_b64 s[34:35], 0
                                        ; implicit-def: $sgpr36_sgpr37
                                        ; implicit-def: $sgpr38_sgpr39
	s_branch .LBB4_9485
.LBB4_9484:                             ;   in Loop: Header=BB4_9485 Depth=3
	s_or_b64 exec, exec, s[50:51]
	s_and_b64 vcc, exec, vcc
	s_or_b64 s[34:35], vcc, s[34:35]
	s_andn2_b64 vcc, s[36:37], exec
	s_and_b64 s[36:37], s[38:39], exec
	s_or_b64 s[36:37], vcc, s[36:37]
	s_andn2_b64 exec, exec, s[34:35]
	s_cbranch_execz .LBB4_9489
.LBB4_9485:                             ;   Parent Loop BB4_47 Depth=1
                                        ;     Parent Loop BB4_9451 Depth=2
                                        ; =>    This Inner Loop Header: Depth=3
	s_add_i32 s9, s9, 1
	s_cmpk_lg_i32 s9, 0x2710
	s_cselect_b64 s[48:49], -1, 0
	s_and_b64 vcc, exec, s[48:49]
	s_cbranch_vccz .LBB4_9487
; %bb.9486:                             ;   in Loop: Header=BB4_9485 Depth=3
	s_mov_b64 vcc, -1
	s_or_b64 s[38:39], s[38:39], exec
	s_and_saveexec_b64 s[50:51], s[48:49]
	s_cbranch_execz .LBB4_9484
	s_branch .LBB4_9488
.LBB4_9487:                             ;   in Loop: Header=BB4_9485 Depth=3
	s_trap 2
	ds_read_b64 v[0:1], v0
	s_andn2_b64 s[48:49], s[48:49], exec
	s_mov_b32 s9, 0
	s_waitcnt lgkmcnt(0)
	flat_load_dword v0, v[0:1] glc
	s_waitcnt vmcnt(0) lgkmcnt(0)
	buffer_wbinvl1_vol
	v_cmp_eq_u32_e32 vcc, 0, v0
	s_and_b64 vcc, vcc, exec
	s_or_b64 s[48:49], s[48:49], vcc
	s_mov_b64 vcc, -1
	s_or_b64 s[38:39], s[38:39], exec
	s_and_saveexec_b64 s[50:51], s[48:49]
	s_cbranch_execz .LBB4_9484
.LBB4_9488:                             ;   in Loop: Header=BB4_9485 Depth=3
	s_sleep 1
	s_trap 2
	ds_read_b64 v[0:1], v0
	s_waitcnt lgkmcnt(0)
	s_andn2_b64 s[38:39], s[38:39], exec
	v_cmp_ge_u64_e32 vcc, v[0:1], v[38:39]
	s_orn2_b64 vcc, vcc, exec
	s_branch .LBB4_9484
.LBB4_9489:                             ;   in Loop: Header=BB4_9451 Depth=2
	s_or_b64 exec, exec, s[34:35]
	s_and_saveexec_b64 vcc, s[36:37]
	s_xor_b64 vcc, exec, vcc
	s_cbranch_execz .LBB4_9491
; %bb.9490:                             ;   in Loop: Header=BB4_9451 Depth=2
	v_mov_b32_e32 v0, 1
	ds_write_b32 v0, v0
	s_trap 2
.LBB4_9491:                             ;   in Loop: Header=BB4_9451 Depth=2
	s_or_b64 exec, exec, s[30:31]
	;;#ASMSTART
	s_wakeup
	;;#ASMEND
.LBB4_9492:                             ;   in Loop: Header=BB4_9451 Depth=2
	s_or_b64 exec, exec, s[46:47]
.LBB4_9493:                             ;   in Loop: Header=BB4_9451 Depth=2
	s_andn2_saveexec_b64 s[44:45], s[44:45]
	s_cbranch_execz .LBB4_9495
; %bb.9494:                             ;   in Loop: Header=BB4_9451 Depth=2
	s_waitcnt vmcnt(0) lgkmcnt(0)
	buffer_wbinvl1_vol
	s_barrier
.LBB4_9495:                             ;   in Loop: Header=BB4_9451 Depth=2
	s_or_b64 exec, exec, s[44:45]
.LBB4_9496:                             ;   in Loop: Header=BB4_9451 Depth=2
	s_or_b64 exec, exec, s[28:29]
                                        ; implicit-def: $vgpr1
	s_and_saveexec_b64 s[28:29], s[24:25]
	s_xor_b64 s[28:29], exec, s[28:29]
	s_cbranch_execz .LBB4_9500
; %bb.9497:                             ;   in Loop: Header=BB4_9451 Depth=2
	s_trap 2
	ds_read_b32 v0, v0
	v_cmp_lt_i32_e32 vcc, 0, v12
	v_and_b32_e32 v1, 16, v52
	s_waitcnt lgkmcnt(0)
	v_readfirstlane_b32 s9, v0
	s_cmp_eq_u32 s9, 0
	s_cselect_b64 s[44:45], -1, 0
	v_and_b32_e32 v0, 16, v52
	s_and_b64 s[44:45], vcc, s[44:45]
	v_cmp_ne_u32_e32 vcc, 0, v0
	s_and_b64 s[46:47], vcc, s[44:45]
	s_and_saveexec_b64 s[44:45], s[46:47]
	s_cbranch_execz .LBB4_9499
; %bb.9498:                             ;   in Loop: Header=BB4_9451 Depth=2
	v_mov_b32_e32 v1, 1
	s_waitcnt vmcnt(0)
	buffer_wbinvl1_vol
.LBB4_9499:                             ;   in Loop: Header=BB4_9451 Depth=2
	s_or_b64 exec, exec, s[44:45]
	s_andn2_saveexec_b64 s[28:29], s[28:29]
	s_cbranch_execz .LBB4_9519
	s_branch .LBB4_9501
.LBB4_9500:                             ;   in Loop: Header=BB4_9451 Depth=2
	s_andn2_saveexec_b64 s[28:29], s[28:29]
	s_cbranch_execz .LBB4_9519
.LBB4_9501:                             ;   in Loop: Header=BB4_9451 Depth=2
	s_and_saveexec_b64 s[44:45], s[72:73]
	s_xor_b64 s[44:45], exec, s[44:45]
	s_cbranch_execz .LBB4_9516
; %bb.9502:                             ;   in Loop: Header=BB4_9451 Depth=2
	s_and_saveexec_b64 s[46:47], s[16:17]
	s_cbranch_execz .LBB4_9515
; %bb.9503:                             ;   in Loop: Header=BB4_9451 Depth=2
	s_mov_b64 s[34:35], exec
	v_mbcnt_lo_u32_b32 v0, s34, 0
	v_mbcnt_hi_u32_b32 v0, s35, v0
	v_cmp_eq_u32_e32 vcc, 0, v0
	;;#ASMSTART
	s_waitcnt lgkmcnt(0) vmcnt(0)
	;;#ASMEND
	s_and_saveexec_b64 s[30:31], vcc
	s_cbranch_execz .LBB4_9505
; %bb.9504:                             ;   in Loop: Header=BB4_9451 Depth=2
	s_bcnt1_i32_b64 s9, s[34:35]
	v_mov_b32_e32 v2, s9
	s_waitcnt lgkmcnt(0)
	ds_add_u64 v0, v[2:3]
	s_trap 2
.LBB4_9505:                             ;   in Loop: Header=BB4_9451 Depth=2
	s_or_b64 exec, exec, s[30:31]
	s_trap 2
	ds_read_b64 v[0:1], v0
	s_waitcnt lgkmcnt(0)
	v_add_co_u32_e32 v38, vcc, v38, v57
	v_addc_co_u32_e32 v39, vcc, 0, v39, vcc
	v_cmp_lt_u64_e32 vcc, v[0:1], v[38:39]
	s_and_saveexec_b64 s[30:31], vcc
	s_cbranch_execz .LBB4_9514
; %bb.9506:                             ;   in Loop: Header=BB4_9451 Depth=2
	s_mov_b32 s9, 0
	s_mov_b64 s[34:35], 0
                                        ; implicit-def: $sgpr36_sgpr37
                                        ; implicit-def: $sgpr38_sgpr39
	s_branch .LBB4_9508
.LBB4_9507:                             ;   in Loop: Header=BB4_9508 Depth=3
	s_or_b64 exec, exec, s[50:51]
	s_and_b64 vcc, exec, vcc
	s_or_b64 s[34:35], vcc, s[34:35]
	s_andn2_b64 vcc, s[36:37], exec
	s_and_b64 s[36:37], s[38:39], exec
	s_or_b64 s[36:37], vcc, s[36:37]
	s_andn2_b64 exec, exec, s[34:35]
	s_cbranch_execz .LBB4_9512
.LBB4_9508:                             ;   Parent Loop BB4_47 Depth=1
                                        ;     Parent Loop BB4_9451 Depth=2
                                        ; =>    This Inner Loop Header: Depth=3
	s_add_i32 s9, s9, 1
	s_cmpk_lg_i32 s9, 0x2710
	s_cselect_b64 s[48:49], -1, 0
	s_and_b64 vcc, exec, s[48:49]
	s_cbranch_vccz .LBB4_9510
; %bb.9509:                             ;   in Loop: Header=BB4_9508 Depth=3
	s_mov_b64 vcc, -1
	s_or_b64 s[38:39], s[38:39], exec
	s_and_saveexec_b64 s[50:51], s[48:49]
	s_cbranch_execz .LBB4_9507
	s_branch .LBB4_9511
.LBB4_9510:                             ;   in Loop: Header=BB4_9508 Depth=3
	s_trap 2
	ds_read_b64 v[0:1], v0
	s_andn2_b64 s[48:49], s[48:49], exec
	s_mov_b32 s9, 0
	s_waitcnt vmcnt(0) lgkmcnt(0)
	flat_load_dword v0, v[0:1] glc
	s_waitcnt vmcnt(0) lgkmcnt(0)
	buffer_wbinvl1_vol
	v_cmp_eq_u32_e32 vcc, 0, v0
	s_and_b64 vcc, vcc, exec
	s_or_b64 s[48:49], s[48:49], vcc
	s_mov_b64 vcc, -1
	s_or_b64 s[38:39], s[38:39], exec
	s_and_saveexec_b64 s[50:51], s[48:49]
	s_cbranch_execz .LBB4_9507
.LBB4_9511:                             ;   in Loop: Header=BB4_9508 Depth=3
	s_sleep 1
	s_trap 2
	ds_read_b64 v[0:1], v0
	s_waitcnt lgkmcnt(0)
	s_andn2_b64 s[38:39], s[38:39], exec
	v_cmp_ge_u64_e32 vcc, v[0:1], v[38:39]
	s_orn2_b64 vcc, vcc, exec
	s_branch .LBB4_9507
.LBB4_9512:                             ;   in Loop: Header=BB4_9451 Depth=2
	s_or_b64 exec, exec, s[34:35]
	s_and_saveexec_b64 vcc, s[36:37]
	s_xor_b64 vcc, exec, vcc
	s_cbranch_execz .LBB4_9514
; %bb.9513:                             ;   in Loop: Header=BB4_9451 Depth=2
	v_mov_b32_e32 v0, 1
	ds_write_b32 v0, v0
	s_trap 2
.LBB4_9514:                             ;   in Loop: Header=BB4_9451 Depth=2
	s_or_b64 exec, exec, s[30:31]
	;;#ASMSTART
	s_wakeup
	;;#ASMEND
.LBB4_9515:                             ;   in Loop: Header=BB4_9451 Depth=2
	s_or_b64 exec, exec, s[46:47]
.LBB4_9516:                             ;   in Loop: Header=BB4_9451 Depth=2
	s_andn2_saveexec_b64 s[44:45], s[44:45]
	s_cbranch_execz .LBB4_9518
; %bb.9517:                             ;   in Loop: Header=BB4_9451 Depth=2
	;;#ASMSTART
	s_waitcnt lgkmcnt(0) vmcnt(0)
	;;#ASMEND
	s_waitcnt vmcnt(0) lgkmcnt(0)
	s_barrier
.LBB4_9518:                             ;   in Loop: Header=BB4_9451 Depth=2
	s_or_b64 exec, exec, s[44:45]
	v_and_b32_e32 v1, 16, v52
.LBB4_9519:                             ;   in Loop: Header=BB4_9451 Depth=2
	s_or_b64 exec, exec, s[28:29]
	v_cmp_ne_u32_e32 vcc, 0, v1
	s_xor_b64 s[28:29], s[12:13], -1
	s_and_b64 s[44:45], vcc, s[28:29]
	s_and_saveexec_b64 s[28:29], s[44:45]
	s_cbranch_execz .LBB4_9521
; %bb.9520:                             ;   in Loop: Header=BB4_9451 Depth=2
	buffer_load_dword v0, off, s[0:3], s33 offset:104 ; 4-byte Folded Reload
	buffer_load_dword v1, off, s[0:3], s33 offset:108 ; 4-byte Folded Reload
	v_mov_b32_e32 v2, 1
	s_waitcnt vmcnt(0)
	flat_store_dword v[0:1], v2
.LBB4_9521:                             ;   in Loop: Header=BB4_9451 Depth=2
	s_or_b64 exec, exec, s[28:29]
	v_and_b32_e32 v0, 48, v52
	v_cmp_ne_u32_e32 vcc, 0, v0
	s_and_saveexec_b64 s[28:29], vcc
	s_cbranch_execz .LBB4_9450
; %bb.9522:                             ;   in Loop: Header=BB4_9451 Depth=2
	buffer_load_dword v0, off, s[0:3], s33 offset:56 ; 4-byte Folded Reload
	buffer_load_dword v1, off, s[0:3], s33 offset:60 ; 4-byte Folded Reload
	s_waitcnt vmcnt(0)
	v_add_co_u32_e32 v0, vcc, 2, v0
	v_addc_co_u32_e32 v1, vcc, 0, v1, vcc
	buffer_store_dword v0, off, s[0:3], s33 offset:56 ; 4-byte Folded Spill
	s_nop 0
	buffer_store_dword v1, off, s[0:3], s33 offset:60 ; 4-byte Folded Spill
	flat_store_dwordx2 v[32:33], v[0:1]
	s_branch .LBB4_9450
.LBB4_9523:                             ;   in Loop: Header=BB4_47 Depth=1
	s_or_b64 exec, exec, s[34:35]
	s_or_b64 exec, exec, s[30:31]
	v_cmp_gt_i32_e32 vcc, 2, v1
	s_and_saveexec_b64 s[40:41], vcc
	s_cbranch_execnz .LBB4_9449
.LBB4_9524:                             ;   in Loop: Header=BB4_47 Depth=1
	s_or_b64 exec, exec, s[40:41]
	s_and_b64 vcc, exec, s[26:27]
	s_cbranch_vccz .LBB4_9526
	s_branch .LBB4_9782
.LBB4_9525:                             ;   in Loop: Header=BB4_47 Depth=1
	s_or_b64 exec, exec, s[42:43]
	s_or_b64 exec, exec, s[40:41]
	s_and_b64 vcc, exec, s[26:27]
	s_cbranch_vccnz .LBB4_9782
.LBB4_9526:                             ;   in Loop: Header=BB4_47 Depth=1
	s_mov_b32 s9, 1
.LBB4_9527:                             ;   Parent Loop BB4_47 Depth=1
                                        ; =>  This Loop Header: Depth=2
                                        ;       Child Loop BB4_9530 Depth 3
                                        ;         Child Loop BB4_9538 Depth 4
                                        ;         Child Loop BB4_9566 Depth 4
	;; [unrolled: 1-line block ×9, first 2 shown]
                                        ;           Child Loop BB4_9620 Depth 5
                                        ;         Child Loop BB4_9627 Depth 4
                                        ;         Child Loop BB4_9632 Depth 4
                                        ;           Child Loop BB4_9633 Depth 5
                                        ;         Child Loop BB4_9669 Depth 4
                                        ;         Child Loop BB4_9688 Depth 4
                                        ;       Child Loop BB4_9706 Depth 3
                                        ;         Child Loop BB4_9712 Depth 4
                                        ;         Child Loop BB4_9740 Depth 4
	;; [unrolled: 1-line block ×3, first 2 shown]
	buffer_load_dword v4, off, s[0:3], s33 offset:224 ; 4-byte Folded Reload
	buffer_load_dword v5, off, s[0:3], s33 offset:228 ; 4-byte Folded Reload
	s_sub_i32 s26, s86, s9
	s_cmp_ge_i32 s26, s68
	s_cselect_b32 s27, s68, 0
	s_sub_i32 s26, s26, s27
	s_ashr_i32 s28, s26, 31
	v_mov_b32_e32 v6, 0
	s_waitcnt vmcnt(0)
	v_mul_lo_u32 v1, v4, s28
	v_mul_lo_u32 v0, v5, s26
	v_mad_u64_u32 v[8:9], s[26:27], v4, s26, 0
	v_add3_u32 v9, v9, v1, v0
	buffer_load_dword v0, off, s[0:3], s33 offset:216 ; 4-byte Folded Reload
	buffer_load_dword v1, off, s[0:3], s33 offset:220 ; 4-byte Folded Reload
	s_waitcnt vmcnt(0)
	v_sub_co_u32_e32 v0, vcc, v0, v8
	v_subb_co_u32_e32 v1, vcc, v1, v9, vcc
	v_cmp_lt_i64_e32 vcc, v[4:5], v[0:1]
	v_cndmask_b32_e32 v0, v0, v4, vcc
	v_max_i32_e32 v1, 0, v0
	v_add_u32_e32 v2, 31, v1
	v_lshrrev_b32_e32 v2, 1, v2
	v_and_b32_e32 v2, 0x3ffffff0, v2
	v_cmp_lt_i32_e32 vcc, 0, v0
	v_max_i32_e32 v12, s97, v2
	s_and_b64 s[26:27], s[94:95], vcc
	v_mov_b32_e32 v2, 0
	s_and_saveexec_b64 s[42:43], s[26:27]
	s_cbranch_execz .LBB4_9703
; %bb.9528:                             ;   in Loop: Header=BB4_9527 Depth=2
	buffer_load_dword v0, off, s[0:3], s33 offset:156 ; 4-byte Folded Reload
	s_mov_b32 s57, 1
	s_mov_b64 s[46:47], -1
	v_mov_b32_e32 v6, 0
	s_mov_b64 s[44:45], 0
	s_waitcnt vmcnt(0)
	v_add_co_u32_e32 v7, vcc, v8, v0
	buffer_load_dword v0, off, s[0:3], s33 offset:160 ; 4-byte Folded Reload
	s_waitcnt vmcnt(0)
	v_addc_co_u32_e32 v21, vcc, v9, v0, vcc
	s_branch .LBB4_9530
.LBB4_9529:                             ;   in Loop: Header=BB4_9530 Depth=3
	s_or_b64 exec, exec, s[26:27]
	v_add_u32_e32 v6, v12, v6
	v_cmp_ge_i32_e32 vcc, v6, v1
	s_xor_b64 s[26:27], s[46:47], -1
	s_or_b64 s[26:27], s[26:27], vcc
	s_and_b64 s[26:27], exec, s[26:27]
	s_or_b64 s[44:45], s[26:27], s[44:45]
	s_mov_b64 s[46:47], 0
	v_mov_b32_e32 v2, s57
	s_mov_b32 s57, 2
	s_andn2_b64 exec, exec, s[44:45]
	s_cbranch_execz .LBB4_9778
.LBB4_9530:                             ;   Parent Loop BB4_47 Depth=1
                                        ;     Parent Loop BB4_9527 Depth=2
                                        ; =>    This Loop Header: Depth=3
                                        ;         Child Loop BB4_9538 Depth 4
                                        ;         Child Loop BB4_9566 Depth 4
	;; [unrolled: 1-line block ×9, first 2 shown]
                                        ;           Child Loop BB4_9620 Depth 5
                                        ;         Child Loop BB4_9627 Depth 4
                                        ;         Child Loop BB4_9632 Depth 4
                                        ;           Child Loop BB4_9633 Depth 5
                                        ;         Child Loop BB4_9669 Depth 4
                                        ;         Child Loop BB4_9688 Depth 4
	s_and_saveexec_b64 s[26:27], s[4:5]
	s_cbranch_execz .LBB4_9532
; %bb.9531:                             ;   in Loop: Header=BB4_9530 Depth=3
	s_trap 2
	ds_read_b128 v[8:11], v0
	s_waitcnt lgkmcnt(0)
	v_add_co_u32_e32 v0, vcc, v8, v7
	v_addc_co_u32_e32 v2, vcc, v9, v21, vcc
	v_ashrrev_i32_e32 v8, 31, v6
	v_add_co_u32_e32 v4, vcc, v0, v6
	v_addc_co_u32_e32 v5, vcc, v2, v8, vcc
	ds_write_b64 v0, v[4:5]
	v_add_co_u32_e32 v0, vcc, v10, v7
	v_addc_co_u32_e32 v2, vcc, v11, v21, vcc
	v_add_co_u32_e32 v0, vcc, v0, v6
	v_addc_co_u32_e32 v2, vcc, v2, v8, vcc
	v_cmp_ne_u64_e32 vcc, 0, v[10:11]
	v_cndmask_b32_e32 v5, 0, v2, vcc
	v_cndmask_b32_e32 v4, 0, v0, vcc
	ds_write_b64 v0, v[4:5]
.LBB4_9532:                             ;   in Loop: Header=BB4_9530 Depth=3
	s_or_b64 exec, exec, s[26:27]
	v_sub_u32_e32 v0, v1, v6
	v_min_i32_e32 v12, v12, v0
	v_and_b32_e32 v0, 12, v52
	v_cmp_ne_u32_e32 vcc, 0, v0
	s_and_saveexec_b64 s[28:29], vcc
	s_cbranch_execz .LBB4_9558
; %bb.9533:                             ;   in Loop: Header=BB4_9530 Depth=3
	buffer_load_dword v8, off, s[0:3], s33 offset:56 ; 4-byte Folded Reload
	buffer_load_dword v9, off, s[0:3], s33 offset:60 ; 4-byte Folded Reload
	v_and_b32_e32 v2, 8, v52
	s_waitcnt lgkmcnt(0)
	v_add_co_u32_e32 v4, vcc, v48, v2
	v_addc_co_u32_e32 v5, vcc, 0, v49, vcc
	s_waitcnt vmcnt(0)
	v_add_co_u32_e32 v8, vcc, 2, v8
	s_waitcnt vmcnt(0)
	v_addc_co_u32_e32 v9, vcc, 0, v9, vcc
	v_cmp_lt_u64_e32 vcc, v[4:5], v[8:9]
	s_and_saveexec_b64 s[40:41], vcc
	s_cbranch_execz .LBB4_9545
; %bb.9534:                             ;   in Loop: Header=BB4_9530 Depth=3
	v_and_b32_e32 v0, 64, v52
	s_mov_b32 s66, 0
	v_cmp_eq_u32_e32 vcc, 0, v0
	s_mov_b64 s[30:31], 0
                                        ; implicit-def: $sgpr34_sgpr35
                                        ; implicit-def: $sgpr36_sgpr37
                                        ; implicit-def: $sgpr38_sgpr39
	s_branch .LBB4_9538
.LBB4_9535:                             ;   in Loop: Header=BB4_9538 Depth=4
	s_waitcnt vmcnt(0) lgkmcnt(0)
	v_add_co_u32_e64 v10, s[26:27], v48, v2
	v_addc_co_u32_e64 v11, s[26:27], 0, v49, s[26:27]
	v_cmp_ge_u64_e64 s[26:27], v[10:11], v[8:9]
	s_or_b64 s[52:53], s[52:53], exec
	s_orn2_b64 s[50:51], s[26:27], exec
.LBB4_9536:                             ;   in Loop: Header=BB4_9538 Depth=4
	s_or_b64 exec, exec, s[64:65]
	s_andn2_b64 s[26:27], s[38:39], exec
	s_and_b64 s[38:39], s[52:53], exec
	s_or_b64 s[38:39], s[26:27], s[38:39]
	s_andn2_b64 s[26:27], s[36:37], exec
	s_and_b64 s[36:37], s[50:51], exec
	s_or_b64 s[36:37], s[26:27], s[36:37]
.LBB4_9537:                             ;   in Loop: Header=BB4_9538 Depth=4
	s_or_b64 exec, exec, s[48:49]
	s_and_b64 s[26:27], exec, s[36:37]
	s_or_b64 s[30:31], s[26:27], s[30:31]
	s_andn2_b64 s[26:27], s[34:35], exec
	s_and_b64 s[34:35], s[38:39], exec
	s_or_b64 s[34:35], s[26:27], s[34:35]
	s_andn2_b64 exec, exec, s[30:31]
	s_cbranch_execz .LBB4_9542
.LBB4_9538:                             ;   Parent Loop BB4_47 Depth=1
                                        ;     Parent Loop BB4_9527 Depth=2
                                        ;       Parent Loop BB4_9530 Depth=3
                                        ; =>      This Inner Loop Header: Depth=4
	s_sleep 1
	s_waitcnt vmcnt(0) lgkmcnt(0)
	flat_load_dwordx2 v[48:49], v[32:33] glc
	s_or_b64 s[38:39], s[38:39], exec
	s_or_b64 s[36:37], s[36:37], exec
                                        ; implicit-def: $vgpr4
	s_and_saveexec_b64 s[48:49], vcc
	s_cbranch_execz .LBB4_9537
; %bb.9539:                             ;   in Loop: Header=BB4_9538 Depth=4
	s_cmpk_lt_i32 s66, 0x270f
	s_cselect_b64 s[54:55], -1, 0
	s_cmpk_gt_i32 s66, 0x270e
	s_mov_b64 s[50:51], -1
	s_cbranch_scc0 .LBB4_9541
; %bb.9540:                             ;   in Loop: Header=BB4_9538 Depth=4
	s_trap 2
	ds_read_b64 v[4:5], v0
	s_andn2_b64 s[54:55], s[54:55], exec
	s_mov_b32 s66, 0
	s_mov_b64 s[52:53], 0
	s_waitcnt vmcnt(0) lgkmcnt(0)
	flat_load_dword v4, v[4:5] glc
	s_waitcnt vmcnt(0) lgkmcnt(0)
	buffer_wbinvl1_vol
	v_cmp_eq_u32_e64 s[26:27], 0, v4
	s_and_b64 s[26:27], s[26:27], exec
	s_or_b64 s[54:55], s[54:55], s[26:27]
	s_and_saveexec_b64 s[64:65], s[54:55]
	s_cbranch_execz .LBB4_9536
	s_branch .LBB4_9535
.LBB4_9541:                             ;   in Loop: Header=BB4_9538 Depth=4
	s_add_i32 s66, s66, 1
	s_mov_b64 s[52:53], -1
                                        ; implicit-def: $vgpr4
	s_and_saveexec_b64 s[64:65], s[54:55]
	s_cbranch_execz .LBB4_9536
	s_branch .LBB4_9535
.LBB4_9542:                             ;   in Loop: Header=BB4_9530 Depth=3
	s_or_b64 exec, exec, s[30:31]
	s_xor_b64 s[26:27], s[34:35], -1
	s_and_saveexec_b64 vcc, s[26:27]
	s_xor_b64 s[26:27], exec, vcc
	s_cbranch_execz .LBB4_9544
; %bb.9543:                             ;   in Loop: Header=BB4_9530 Depth=3
	v_or_b32_e32 v52, 64, v52
	s_waitcnt lgkmcnt(0)
	ds_write_b32 v0, v4
	s_trap 2
.LBB4_9544:                             ;   in Loop: Header=BB4_9530 Depth=3
	s_or_b64 exec, exec, s[26:27]
.LBB4_9545:                             ;   in Loop: Header=BB4_9530 Depth=3
	s_or_b64 exec, exec, s[40:41]
	v_and_b32_e32 v0, 0x108, v52
	v_cmp_ne_u32_e32 vcc, s71, v0
	;;#ASMSTART
	s_wakeup
	;;#ASMEND
	s_and_saveexec_b64 s[26:27], vcc
	s_xor_b64 s[26:27], exec, s[26:27]
                                        ; implicit-def: $vgpr14
	s_cbranch_execz .LBB4_9547
; %bb.9546:                             ;   in Loop: Header=BB4_9530 Depth=3
	buffer_load_dword v4, off, s[0:3], s33 offset:56 ; 4-byte Folded Reload
	buffer_load_dword v5, off, s[0:3], s33 offset:60 ; 4-byte Folded Reload
	s_waitcnt vmcnt(0)
	v_and_b32_e32 v14, 7, v4
                                        ; implicit-def: $vgpr4_vgpr5
                                        ; kill: killed $vgpr4_vgpr5
.LBB4_9547:                             ;   in Loop: Header=BB4_9530 Depth=3
	s_andn2_saveexec_b64 s[26:27], s[26:27]
	s_cbranch_execz .LBB4_9549
; %bb.9548:                             ;   in Loop: Header=BB4_9530 Depth=3
	buffer_load_dword v4, off, s[0:3], s33 offset:56 ; 4-byte Folded Reload
	buffer_load_dword v5, off, s[0:3], s33 offset:60 ; 4-byte Folded Reload
	;; [unrolled: 1-line block ×6, first 2 shown]
	v_ashrrev_i32_e32 v13, 31, v12
	s_waitcnt vmcnt(0)
	v_and_b32_e32 v14, 7, v4
	v_mad_u64_u32 v[4:5], s[40:41], v14, 24, v[15:16]
	flat_store_dwordx2 v[4:5], v[12:13] offset:8
.LBB4_9549:                             ;   in Loop: Header=BB4_9530 Depth=3
	s_or_b64 exec, exec, s[26:27]
	v_and_b32_e32 v0, 0x100, v52
	v_cmp_ne_u32_e32 vcc, 0, v0
	s_mov_b64 s[26:27], -1
                                        ; implicit-def: $vgpr10_vgpr11
	s_and_saveexec_b64 s[40:41], vcc
	s_cbranch_execz .LBB4_9553
; %bb.9550:                             ;   in Loop: Header=BB4_9530 Depth=3
	buffer_load_dword v15, off, s[0:3], s33 offset:88 ; 4-byte Folded Reload
	buffer_load_dword v16, off, s[0:3], s33 offset:92 ; 4-byte Folded Reload
	buffer_load_dword v17, off, s[0:3], s33 offset:96 ; 4-byte Folded Reload
	buffer_load_dword v18, off, s[0:3], s33 offset:100 ; 4-byte Folded Reload
	s_waitcnt vmcnt(0)
	v_mad_u64_u32 v[4:5], s[26:27], v14, 24, v[15:16]
	v_mov_b32_e32 v0, v5
	v_mad_u64_u32 v[10:11], s[26:27], v3, 24, v[0:1]
	v_mov_b32_e32 v5, v10
	flat_load_dword v0, v[4:5]
                                        ; implicit-def: $vgpr10_vgpr11
	s_waitcnt vmcnt(0) lgkmcnt(0)
	v_cmp_ne_u32_e32 vcc, 1, v0
	v_cmp_eq_u32_e64 s[26:27], 1, v0
	s_and_saveexec_b64 s[30:31], s[26:27]
	s_cbranch_execz .LBB4_9552
; %bb.9551:                             ;   in Loop: Header=BB4_9530 Depth=3
	flat_load_dword v10, v[4:5] offset:4 glc
	s_waitcnt vmcnt(0) lgkmcnt(0)
	v_ashrrev_i32_e32 v11, 31, v10
.LBB4_9552:                             ;   in Loop: Header=BB4_9530 Depth=3
	s_or_b64 exec, exec, s[30:31]
	s_orn2_b64 s[26:27], vcc, exec
.LBB4_9553:                             ;   in Loop: Header=BB4_9530 Depth=3
	s_or_b64 exec, exec, s[40:41]
	s_and_saveexec_b64 s[40:41], s[26:27]
	s_cbranch_execz .LBB4_9555
; %bb.9554:                             ;   in Loop: Header=BB4_9530 Depth=3
	buffer_load_dword v5, off, s[0:3], s33 offset:112 ; 4-byte Folded Reload
	buffer_load_dword v4, off, s[0:3], s33 offset:132 ; 4-byte Folded Reload
	s_waitcnt vmcnt(0)
	v_mul_lo_u32 v0, v3, v5
	v_mul_lo_u32 v4, v14, v4
	v_mad_u64_u32 v[10:11], s[26:27], v14, v5, 0
	v_add3_u32 v11, v11, v4, v0
.LBB4_9555:                             ;   in Loop: Header=BB4_9530 Depth=3
	s_or_b64 exec, exec, s[40:41]
	buffer_load_dword v4, off, s[0:3], s33 offset:80 ; 4-byte Folded Reload
	buffer_load_dword v5, off, s[0:3], s33 offset:84 ; 4-byte Folded Reload
	v_cmp_eq_u32_e32 vcc, 0, v2
	v_mov_b32_e32 v0, 0xd0
	v_mov_b32_e32 v2, 0x88
	v_cndmask_b32_e32 v0, v0, v2, vcc
	v_add_u32_e32 v0, v0, v0
	s_waitcnt vmcnt(0)
	v_add_co_u32_e32 v4, vcc, v4, v10
	v_addc_co_u32_e32 v5, vcc, v5, v11, vcc
	ds_write_b64 v0, v[4:5] offset:584
	v_and_b32_e32 v0, 0x2000, v52
	v_cmp_ne_u32_e32 vcc, 0, v0
	s_and_saveexec_b64 s[26:27], vcc
	s_cbranch_execz .LBB4_9557
; %bb.9556:                             ;   in Loop: Header=BB4_9530 Depth=3
	ds_read_b64 v[4:5], v0 offset:872
	s_waitcnt lgkmcnt(0)
	v_add_co_u32_e32 v4, vcc, 1, v4
	v_addc_co_u32_e32 v5, vcc, 0, v5, vcc
	ds_write_b64 v0, v[4:5] offset:872
.LBB4_9557:                             ;   in Loop: Header=BB4_9530 Depth=3
	s_or_b64 exec, exec, s[26:27]
	buffer_store_dword v8, off, s[0:3], s33 offset:56 ; 4-byte Folded Spill
	s_nop 0
	buffer_store_dword v9, off, s[0:3], s33 offset:60 ; 4-byte Folded Spill
.LBB4_9558:                             ;   in Loop: Header=BB4_9530 Depth=3
	s_or_b64 exec, exec, s[28:29]
	s_and_saveexec_b64 s[26:27], s[10:11]
	s_cbranch_execz .LBB4_9577
; %bb.9559:                             ;   in Loop: Header=BB4_9530 Depth=3
	s_and_saveexec_b64 s[28:29], s[72:73]
	s_xor_b64 s[28:29], exec, s[28:29]
	s_cbranch_execz .LBB4_9574
; %bb.9560:                             ;   in Loop: Header=BB4_9530 Depth=3
	s_and_saveexec_b64 s[40:41], s[16:17]
	s_cbranch_execz .LBB4_9573
; %bb.9561:                             ;   in Loop: Header=BB4_9530 Depth=3
	s_mov_b64 s[34:35], exec
	v_mbcnt_lo_u32_b32 v0, s34, 0
	v_mbcnt_hi_u32_b32 v0, s35, v0
	v_cmp_eq_u32_e32 vcc, 0, v0
	s_waitcnt vmcnt(0) lgkmcnt(0)
	buffer_wbinvl1_vol
	s_and_saveexec_b64 s[30:31], vcc
	s_cbranch_execz .LBB4_9563
; %bb.9562:                             ;   in Loop: Header=BB4_9530 Depth=3
	s_bcnt1_i32_b64 vcc_lo, s[34:35]
	v_mov_b32_e32 v2, vcc_lo
	ds_add_u64 v0, v[2:3]
	s_trap 2
.LBB4_9563:                             ;   in Loop: Header=BB4_9530 Depth=3
	s_or_b64 exec, exec, s[30:31]
	s_trap 2
	ds_read_b64 v[4:5], v0
	s_waitcnt lgkmcnt(0)
	v_add_co_u32_e32 v38, vcc, v38, v57
	v_addc_co_u32_e32 v39, vcc, 0, v39, vcc
	v_cmp_lt_u64_e32 vcc, v[4:5], v[38:39]
	s_and_saveexec_b64 s[30:31], vcc
	s_cbranch_execz .LBB4_9572
; %bb.9564:                             ;   in Loop: Header=BB4_9530 Depth=3
	s_mov_b32 s52, 0
	s_mov_b64 s[34:35], 0
                                        ; implicit-def: $sgpr36_sgpr37
                                        ; implicit-def: $sgpr38_sgpr39
	s_branch .LBB4_9566
.LBB4_9565:                             ;   in Loop: Header=BB4_9566 Depth=4
	s_or_b64 exec, exec, s[50:51]
	s_and_b64 vcc, exec, vcc
	s_or_b64 s[34:35], vcc, s[34:35]
	s_andn2_b64 vcc, s[36:37], exec
	s_and_b64 s[36:37], s[38:39], exec
	s_or_b64 s[36:37], vcc, s[36:37]
	s_andn2_b64 exec, exec, s[34:35]
	s_cbranch_execz .LBB4_9570
.LBB4_9566:                             ;   Parent Loop BB4_47 Depth=1
                                        ;     Parent Loop BB4_9527 Depth=2
                                        ;       Parent Loop BB4_9530 Depth=3
                                        ; =>      This Inner Loop Header: Depth=4
	s_add_i32 s52, s52, 1
	s_cmpk_lg_i32 s52, 0x2710
	s_cselect_b64 s[48:49], -1, 0
	s_and_b64 vcc, exec, s[48:49]
	s_cbranch_vccz .LBB4_9568
; %bb.9567:                             ;   in Loop: Header=BB4_9566 Depth=4
	s_mov_b64 vcc, -1
	s_or_b64 s[38:39], s[38:39], exec
	s_and_saveexec_b64 s[50:51], s[48:49]
	s_cbranch_execz .LBB4_9565
	s_branch .LBB4_9569
.LBB4_9568:                             ;   in Loop: Header=BB4_9566 Depth=4
	s_trap 2
	ds_read_b64 v[4:5], v0
	s_andn2_b64 s[48:49], s[48:49], exec
	s_mov_b32 s52, 0
	s_waitcnt lgkmcnt(0)
	flat_load_dword v0, v[4:5] glc
	s_waitcnt vmcnt(0) lgkmcnt(0)
	buffer_wbinvl1_vol
	v_cmp_eq_u32_e32 vcc, 0, v0
	s_and_b64 vcc, vcc, exec
	s_or_b64 s[48:49], s[48:49], vcc
	s_mov_b64 vcc, -1
	s_or_b64 s[38:39], s[38:39], exec
	s_and_saveexec_b64 s[50:51], s[48:49]
	s_cbranch_execz .LBB4_9565
.LBB4_9569:                             ;   in Loop: Header=BB4_9566 Depth=4
	s_sleep 1
	s_trap 2
	ds_read_b64 v[4:5], v0
	s_waitcnt lgkmcnt(0)
	s_andn2_b64 s[38:39], s[38:39], exec
	v_cmp_ge_u64_e32 vcc, v[4:5], v[38:39]
	s_orn2_b64 vcc, vcc, exec
	s_branch .LBB4_9565
.LBB4_9570:                             ;   in Loop: Header=BB4_9530 Depth=3
	s_or_b64 exec, exec, s[34:35]
	s_and_saveexec_b64 vcc, s[36:37]
	s_xor_b64 vcc, exec, vcc
	s_cbranch_execz .LBB4_9572
; %bb.9571:                             ;   in Loop: Header=BB4_9530 Depth=3
	v_mov_b32_e32 v0, 1
	ds_write_b32 v0, v0
	s_trap 2
.LBB4_9572:                             ;   in Loop: Header=BB4_9530 Depth=3
	s_or_b64 exec, exec, s[30:31]
	;;#ASMSTART
	s_wakeup
	;;#ASMEND
.LBB4_9573:                             ;   in Loop: Header=BB4_9530 Depth=3
	s_or_b64 exec, exec, s[40:41]
.LBB4_9574:                             ;   in Loop: Header=BB4_9530 Depth=3
	s_andn2_saveexec_b64 s[28:29], s[28:29]
	s_cbranch_execz .LBB4_9576
; %bb.9575:                             ;   in Loop: Header=BB4_9530 Depth=3
	s_waitcnt vmcnt(0) lgkmcnt(0)
	buffer_wbinvl1_vol
	s_barrier
.LBB4_9576:                             ;   in Loop: Header=BB4_9530 Depth=3
	s_or_b64 exec, exec, s[28:29]
.LBB4_9577:                             ;   in Loop: Header=BB4_9530 Depth=3
	s_or_b64 exec, exec, s[26:27]
	s_trap 2
	ds_read_b32 v4, v0
	v_and_b32_e32 v0, 0x4000, v52
	v_cmp_ne_u32_e32 vcc, 0, v0
	s_xor_b64 s[26:27], s[6:7], -1
	s_and_b64 s[28:29], s[26:27], vcc
	s_and_saveexec_b64 s[26:27], s[28:29]
	s_cbranch_execz .LBB4_9596
; %bb.9578:                             ;   in Loop: Header=BB4_9530 Depth=3
	s_and_saveexec_b64 s[28:29], s[72:73]
	s_xor_b64 s[28:29], exec, s[28:29]
	s_cbranch_execz .LBB4_9593
; %bb.9579:                             ;   in Loop: Header=BB4_9530 Depth=3
	s_and_saveexec_b64 s[40:41], s[16:17]
	s_cbranch_execz .LBB4_9592
; %bb.9580:                             ;   in Loop: Header=BB4_9530 Depth=3
	s_mov_b64 s[34:35], exec
	v_mbcnt_lo_u32_b32 v0, s34, 0
	v_mbcnt_hi_u32_b32 v0, s35, v0
	v_cmp_eq_u32_e32 vcc, 0, v0
	s_waitcnt vmcnt(0) lgkmcnt(0)
	buffer_wbinvl1_vol
	s_and_saveexec_b64 s[30:31], vcc
	s_cbranch_execz .LBB4_9582
; %bb.9581:                             ;   in Loop: Header=BB4_9530 Depth=3
	s_bcnt1_i32_b64 vcc_lo, s[34:35]
	v_mov_b32_e32 v2, vcc_lo
	ds_add_u64 v0, v[2:3]
	s_trap 2
.LBB4_9582:                             ;   in Loop: Header=BB4_9530 Depth=3
	s_or_b64 exec, exec, s[30:31]
	s_trap 2
	ds_read_b64 v[8:9], v0
	s_waitcnt lgkmcnt(0)
	v_add_co_u32_e32 v38, vcc, v38, v57
	v_addc_co_u32_e32 v39, vcc, 0, v39, vcc
	v_cmp_lt_u64_e32 vcc, v[8:9], v[38:39]
	s_and_saveexec_b64 s[30:31], vcc
	s_cbranch_execz .LBB4_9591
; %bb.9583:                             ;   in Loop: Header=BB4_9530 Depth=3
	s_mov_b32 s52, 0
	s_mov_b64 s[34:35], 0
                                        ; implicit-def: $sgpr36_sgpr37
                                        ; implicit-def: $sgpr38_sgpr39
	s_branch .LBB4_9585
.LBB4_9584:                             ;   in Loop: Header=BB4_9585 Depth=4
	s_or_b64 exec, exec, s[50:51]
	s_and_b64 vcc, exec, vcc
	s_or_b64 s[34:35], vcc, s[34:35]
	s_andn2_b64 vcc, s[36:37], exec
	s_and_b64 s[36:37], s[38:39], exec
	s_or_b64 s[36:37], vcc, s[36:37]
	s_andn2_b64 exec, exec, s[34:35]
	s_cbranch_execz .LBB4_9589
.LBB4_9585:                             ;   Parent Loop BB4_47 Depth=1
                                        ;     Parent Loop BB4_9527 Depth=2
                                        ;       Parent Loop BB4_9530 Depth=3
                                        ; =>      This Inner Loop Header: Depth=4
	s_add_i32 s52, s52, 1
	s_cmpk_lg_i32 s52, 0x2710
	s_cselect_b64 s[48:49], -1, 0
	s_and_b64 vcc, exec, s[48:49]
	s_cbranch_vccz .LBB4_9587
; %bb.9586:                             ;   in Loop: Header=BB4_9585 Depth=4
	s_mov_b64 vcc, -1
	s_or_b64 s[38:39], s[38:39], exec
	s_and_saveexec_b64 s[50:51], s[48:49]
	s_cbranch_execz .LBB4_9584
	s_branch .LBB4_9588
.LBB4_9587:                             ;   in Loop: Header=BB4_9585 Depth=4
	s_trap 2
	ds_read_b64 v[8:9], v0
	s_andn2_b64 s[48:49], s[48:49], exec
	s_mov_b32 s52, 0
	s_waitcnt lgkmcnt(0)
	flat_load_dword v0, v[8:9] glc
	s_waitcnt vmcnt(0) lgkmcnt(0)
	buffer_wbinvl1_vol
	v_cmp_eq_u32_e32 vcc, 0, v0
	s_and_b64 vcc, vcc, exec
	s_or_b64 s[48:49], s[48:49], vcc
	s_mov_b64 vcc, -1
	s_or_b64 s[38:39], s[38:39], exec
	s_and_saveexec_b64 s[50:51], s[48:49]
	s_cbranch_execz .LBB4_9584
.LBB4_9588:                             ;   in Loop: Header=BB4_9585 Depth=4
	s_sleep 1
	s_trap 2
	ds_read_b64 v[8:9], v0
	s_waitcnt lgkmcnt(0)
	s_andn2_b64 s[38:39], s[38:39], exec
	v_cmp_ge_u64_e32 vcc, v[8:9], v[38:39]
	s_orn2_b64 vcc, vcc, exec
	s_branch .LBB4_9584
.LBB4_9589:                             ;   in Loop: Header=BB4_9530 Depth=3
	s_or_b64 exec, exec, s[34:35]
	s_and_saveexec_b64 vcc, s[36:37]
	s_xor_b64 vcc, exec, vcc
	s_cbranch_execz .LBB4_9591
; %bb.9590:                             ;   in Loop: Header=BB4_9530 Depth=3
	v_mov_b32_e32 v0, 1
	ds_write_b32 v0, v0
	s_trap 2
.LBB4_9591:                             ;   in Loop: Header=BB4_9530 Depth=3
	s_or_b64 exec, exec, s[30:31]
	;;#ASMSTART
	s_wakeup
	;;#ASMEND
.LBB4_9592:                             ;   in Loop: Header=BB4_9530 Depth=3
	s_or_b64 exec, exec, s[40:41]
.LBB4_9593:                             ;   in Loop: Header=BB4_9530 Depth=3
	s_andn2_saveexec_b64 s[28:29], s[28:29]
	s_cbranch_execz .LBB4_9595
; %bb.9594:                             ;   in Loop: Header=BB4_9530 Depth=3
	s_waitcnt vmcnt(0) lgkmcnt(0)
	buffer_wbinvl1_vol
	s_barrier
.LBB4_9595:                             ;   in Loop: Header=BB4_9530 Depth=3
	s_or_b64 exec, exec, s[28:29]
.LBB4_9596:                             ;   in Loop: Header=BB4_9530 Depth=3
	s_or_b64 exec, exec, s[26:27]
	s_trap 2
	ds_read_b64 v[13:14], v0
	s_waitcnt lgkmcnt(0)
	v_cmp_eq_u64_e32 vcc, 0, v[13:14]
	s_cbranch_vccnz .LBB4_9605
; %bb.9597:                             ;   in Loop: Header=BB4_9530 Depth=3
	s_trap 2
	ds_read_b64 v[15:16], v0
	s_waitcnt lgkmcnt(0)
	v_cmp_eq_u64_e32 vcc, 0, v[15:16]
	s_cbranch_vccnz .LBB4_9605
; %bb.9598:                             ;   in Loop: Header=BB4_9530 Depth=3
	s_trap 2
	ds_read_b64 v[17:18], v0
	v_cmp_eq_u32_e64 s[26:27], 0, v4
	v_cndmask_b32_e64 v2, 0, v12, s[26:27]
	s_waitcnt lgkmcnt(0)
	v_cmp_ne_u64_e32 vcc, 0, v[17:18]
	s_cbranch_vccz .LBB4_9610
; %bb.9599:                             ;   in Loop: Header=BB4_9530 Depth=3
	s_mov_b64 s[28:29], -1
	s_and_saveexec_b64 s[26:27], s[20:21]
	s_cbranch_execz .LBB4_9601
; %bb.9600:                             ;   in Loop: Header=BB4_9530 Depth=3
	ds_read_b32 v0, v0 offset:720
	s_waitcnt lgkmcnt(0)
	v_and_b32_e32 v0, 15, v0
	v_cmp_eq_u32_e32 vcc, 0, v0
	s_orn2_b64 s[28:29], vcc, exec
.LBB4_9601:                             ;   in Loop: Header=BB4_9530 Depth=3
	s_or_b64 exec, exec, s[26:27]
	s_and_saveexec_b64 s[26:27], s[22:23]
	s_cbranch_execz .LBB4_9603
; %bb.9602:                             ;   in Loop: Header=BB4_9530 Depth=3
	ds_read_b32 v0, v0 offset:784
	s_waitcnt lgkmcnt(0)
	v_and_b32_e32 v0, 15, v0
	v_cmp_eq_u32_e32 vcc, 0, v0
	s_and_b64 s[40:41], s[28:29], vcc
	s_andn2_b64 s[28:29], s[28:29], exec
	s_and_b64 s[40:41], s[40:41], exec
	s_or_b64 s[28:29], s[28:29], s[40:41]
.LBB4_9603:                             ;   in Loop: Header=BB4_9530 Depth=3
	s_or_b64 exec, exec, s[26:27]
	buffer_load_dword v19, off, s[0:3], s33 offset:136 ; 4-byte Folded Reload
	s_xor_b64 s[28:29], s[28:29], -1
	v_cndmask_b32_e64 v0, 0, 1, s[28:29]
	s_mov_b64 s[26:27], -1
	v_mov_b32_e32 v4, 0
	v_cmp_ne_u32_e32 vcc, 0, v0
	v_mov_b32_e32 v5, v2
	s_cbranch_vccz .LBB4_9612
; %bb.9604:                             ;   in Loop: Header=BB4_9530 Depth=3
	s_and_saveexec_b64 s[40:41], s[26:27]
	s_cbranch_execnz .LBB4_9625
	s_branch .LBB4_9635
.LBB4_9605:                             ;   in Loop: Header=BB4_9530 Depth=3
	s_mov_b64 s[26:27], 0
	s_and_saveexec_b64 s[28:29], s[10:11]
	s_cbranch_execnz .LBB4_9662
.LBB4_9606:                             ;   in Loop: Header=BB4_9530 Depth=3
	s_or_b64 exec, exec, s[28:29]
                                        ; implicit-def: $vgpr0
	s_and_saveexec_b64 s[28:29], s[24:25]
	s_xor_b64 s[28:29], exec, s[28:29]
	s_cbranch_execz .LBB4_9680
.LBB4_9607:                             ;   in Loop: Header=BB4_9530 Depth=3
	v_and_b32_e32 v2, 16, v52
	v_cmp_ne_u32_e32 vcc, 0, v2
	s_waitcnt vmcnt(0)
	v_and_b32_e32 v0, 16, v52
	s_and_b64 s[40:41], vcc, s[26:27]
	s_and_saveexec_b64 s[26:27], s[40:41]
	s_cbranch_execz .LBB4_9609
; %bb.9608:                             ;   in Loop: Header=BB4_9530 Depth=3
	v_mov_b32_e32 v0, 1
	s_waitcnt lgkmcnt(0)
	buffer_wbinvl1_vol
.LBB4_9609:                             ;   in Loop: Header=BB4_9530 Depth=3
	s_or_b64 exec, exec, s[26:27]
	s_andn2_saveexec_b64 s[26:27], s[28:29]
	s_cbranch_execz .LBB4_9699
	s_branch .LBB4_9681
.LBB4_9610:                             ;   in Loop: Header=BB4_9530 Depth=3
	s_cbranch_execnz .LBB4_9636
.LBB4_9611:                             ;   in Loop: Header=BB4_9530 Depth=3
	v_cmp_lt_i32_e64 s[26:27], 0, v2
	s_and_saveexec_b64 s[28:29], s[10:11]
	s_cbranch_execnz .LBB4_9662
	s_branch .LBB4_9606
.LBB4_9612:                             ;   in Loop: Header=BB4_9530 Depth=3
	v_ashrrev_i32_e32 v0, 31, v2
	v_lshrrev_b32_e32 v0, 21, v0
	v_add_u32_e32 v0, v2, v0
	v_ashrrev_i32_e32 v4, 11, v0
	buffer_load_dword v0, off, s[0:3], s33 offset:184 ; 4-byte Folded Reload
	s_waitcnt vmcnt(0)
	v_sub_u32_e32 v23, v4, v0
	v_cmp_lt_i32_e32 vcc, 0, v23
	s_and_saveexec_b64 s[26:27], vcc
	s_cbranch_execz .LBB4_9616
; %bb.9613:                             ;   in Loop: Header=BB4_9530 Depth=3
	buffer_load_dword v0, off, s[0:3], s33 offset:232 ; 4-byte Folded Reload
	s_mov_b64 s[28:29], 0
	s_waitcnt vmcnt(0)
	v_add_co_u32_e32 v8, vcc, v13, v0
	v_addc_co_u32_e32 v9, vcc, 0, v14, vcc
	v_add_co_u32_e32 v10, vcc, v15, v0
	v_addc_co_u32_e32 v11, vcc, 0, v16, vcc
	v_add_co_u32_e32 v19, vcc, v17, v0
	v_addc_co_u32_e32 v20, vcc, 0, v18, vcc
.LBB4_9614:                             ;   Parent Loop BB4_47 Depth=1
                                        ;     Parent Loop BB4_9527 Depth=2
                                        ;       Parent Loop BB4_9530 Depth=3
                                        ; =>      This Inner Loop Header: Depth=4
	global_load_dwordx4 v[24:27], v[8:9], off glc slc
	global_load_dwordx4 v[28:31], v[8:9], off offset:1024 glc slc
	v_add_co_u32_e32 v8, vcc, v8, v46
	v_addc_co_u32_e32 v9, vcc, 0, v9, vcc
	v_sub_u32_e32 v23, v23, v57
	v_cmp_gt_i32_e32 vcc, 1, v23
	s_or_b64 s[28:29], vcc, s[28:29]
	s_waitcnt vmcnt(1)
	global_store_dwordx4 v[10:11], v[24:27], off glc slc
	s_waitcnt vmcnt(1)
	global_store_dwordx4 v[10:11], v[28:31], off offset:1024 glc slc
	global_store_dwordx4 v[19:20], v[24:27], off glc slc
	global_store_dwordx4 v[19:20], v[28:31], off offset:1024 glc slc
	v_add_co_u32_e32 v10, vcc, v10, v46
	v_addc_co_u32_e32 v11, vcc, 0, v11, vcc
	v_add_co_u32_e32 v19, vcc, v19, v46
	v_addc_co_u32_e32 v20, vcc, 0, v20, vcc
	s_andn2_b64 exec, exec, s[28:29]
	s_cbranch_execnz .LBB4_9614
; %bb.9615:                             ;   in Loop: Header=BB4_9530 Depth=3
	s_or_b64 exec, exec, s[28:29]
	buffer_load_dword v30, off, s[0:3], s33 offset:64 ; 4-byte Folded Reload
.LBB4_9616:                             ;   in Loop: Header=BB4_9530 Depth=3
	s_or_b64 exec, exec, s[26:27]
	v_lshlrev_b32_e32 v22, 11, v4
	v_cmp_ne_u32_e32 vcc, v2, v22
	s_mov_b64 s[26:27], 0
	v_mov_b32_e32 v4, 0
                                        ; implicit-def: $vgpr5
                                        ; implicit-def: $vgpr19
	s_and_saveexec_b64 s[30:31], vcc
	s_cbranch_execz .LBB4_9624
; %bb.9617:                             ;   in Loop: Header=BB4_9530 Depth=3
	buffer_load_dword v4, off, s[0:3], s33 offset:196 ; 4-byte Folded Reload
	v_lshlrev_b32_e32 v0, 6, v23
	v_sub_u32_e32 v5, v2, v22
	s_waitcnt vmcnt(0)
	v_sub_u32_e32 v0, v4, v0
	v_ashrrev_i32_e32 v4, 31, v0
	v_lshrrev_b32_e32 v4, 26, v4
	v_add_u32_e32 v4, v0, v4
	v_ashrrev_i32_e32 v8, 6, v4
	v_and_b32_e32 v4, 0xffffffc0, v4
	v_sub_u32_e32 v23, v0, v4
	v_ashrrev_i32_e32 v4, 31, v5
	v_lshrrev_b32_e32 v4, 22, v4
	v_lshlrev_b32_e32 v0, 4, v23
	v_add_u32_e32 v4, v5, v4
	v_lshl_add_u32 v0, v8, 10, v0
	v_ashrrev_i32_e32 v9, 10, v4
	v_and_b32_e32 v4, 0xfffffc00, v4
	v_sub_u32_e32 v25, v5, v0
	v_sub_u32_e32 v5, v5, v4
	v_cmp_lt_i32_e64 s[26:27], 15, v5
	v_addc_co_u32_e64 v9, vcc, 0, v9, s[26:27]
	v_sub_u32_e32 v24, v9, v8
	v_cmp_lt_i32_e32 vcc, 15, v25
	s_and_saveexec_b64 s[34:35], vcc
	s_cbranch_execz .LBB4_9623
; %bb.9618:                             ;   in Loop: Header=BB4_9530 Depth=3
	v_add_u32_e32 v0, v0, v22
	v_ashrrev_i32_e32 v8, 31, v0
	v_add_co_u32_e32 v19, vcc, v0, v13
	v_addc_co_u32_e32 v20, vcc, v8, v14, vcc
	v_add_co_u32_e32 v26, vcc, v0, v15
	v_addc_co_u32_e32 v27, vcc, v8, v16, vcc
	;; [unrolled: 2-line block ×3, first 2 shown]
	s_mov_b64 s[36:37], 0
.LBB4_9619:                             ;   Parent Loop BB4_47 Depth=1
                                        ;     Parent Loop BB4_9527 Depth=2
                                        ;       Parent Loop BB4_9530 Depth=3
                                        ; =>      This Loop Header: Depth=4
                                        ;           Child Loop BB4_9620 Depth 5
	global_load_dwordx4 v[8:11], v[19:20], off glc slc
	s_mov_b64 s[38:39], -1
	s_mov_b64 s[48:49], 0
	s_waitcnt vmcnt(0)
.LBB4_9620:                             ;   Parent Loop BB4_47 Depth=1
                                        ;     Parent Loop BB4_9527 Depth=2
                                        ;       Parent Loop BB4_9530 Depth=3
                                        ;         Parent Loop BB4_9619 Depth=4
                                        ; =>        This Inner Loop Header: Depth=5
	s_cmp_eq_u32 s48, 1
	s_cselect_b64 s[28:29], -1, 0
	v_cndmask_b32_e64 v30, v26, v28, s[28:29]
	v_cndmask_b32_e64 v31, v27, v29, s[28:29]
	v_add_co_u32_e32 v0, vcc, 0x400, v30
	s_cmp_eq_u32 s48, 0
	global_store_dwordx4 v[30:31], v[8:11], off glc slc
	v_addc_co_u32_e32 v30, vcc, 0, v31, vcc
	s_cselect_b64 vcc, -1, 0
	s_and_b64 s[40:41], exec, s[38:39]
	s_mov_b64 s[48:49], 1
	v_cndmask_b32_e64 v28, v28, v0, s[28:29]
	s_mov_b64 s[38:39], 0
	v_cndmask_b32_e64 v29, v29, v30, s[28:29]
	v_cndmask_b32_e32 v27, v27, v30, vcc
	v_cndmask_b32_e32 v26, v26, v0, vcc
	s_mov_b64 vcc, s[40:41]
	s_cbranch_vccnz .LBB4_9620
; %bb.9621:                             ;   in Loop: Header=BB4_9619 Depth=4
	buffer_load_dword v0, off, s[0:3], s33 offset:140 ; 4-byte Folded Reload
	buffer_load_dword v8, off, s[0:3], s33 offset:144 ; 4-byte Folded Reload
	;; [unrolled: 1-line block ×3, first 2 shown]
	v_sub_u32_e32 v24, v24, v57
	s_waitcnt vmcnt(2)
	v_add_co_u32_e32 v26, vcc, v26, v0
	s_waitcnt vmcnt(1)
	v_addc_co_u32_e32 v27, vcc, v27, v8, vcc
	v_add_co_u32_e32 v28, vcc, v28, v0
	buffer_load_dword v0, off, s[0:3], s33 offset:148 ; 4-byte Folded Reload
	v_addc_co_u32_e32 v29, vcc, v29, v8, vcc
	s_waitcnt vmcnt(1)
	v_sub_u32_e32 v25, v25, v30
	s_waitcnt vmcnt(0)
	v_add_co_u32_e32 v19, vcc, v0, v19
	buffer_load_dword v0, off, s[0:3], s33 offset:152 ; 4-byte Folded Reload
	s_waitcnt vmcnt(0)
	v_addc_co_u32_e32 v20, vcc, v0, v20, vcc
	v_cmp_gt_i32_e32 vcc, 16, v25
	s_or_b64 s[36:37], vcc, s[36:37]
	s_andn2_b64 exec, exec, s[36:37]
	s_cbranch_execnz .LBB4_9619
; %bb.9622:                             ;   in Loop: Header=BB4_9530 Depth=3
	s_or_b64 exec, exec, s[36:37]
.LBB4_9623:                             ;   in Loop: Header=BB4_9530 Depth=3
	s_or_b64 exec, exec, s[34:35]
	v_and_b32_e32 v0, 15, v2
	v_cmp_lt_i32_e32 vcc, 0, v24
	v_sub_u32_e32 v8, v5, v0
	v_cndmask_b32_e64 v5, v5, v0, s[26:27]
	v_cndmask_b32_e32 v0, 0, v57, vcc
	v_cndmask_b32_e64 v8, 0, v8, s[26:27]
	v_sub_u32_e32 v0, v0, v24
	v_cmp_ne_u32_e32 vcc, 0, v5
	v_add3_u32 v4, v4, v22, v8
	v_lshl_add_u32 v19, v0, 6, v23
	s_and_b64 s[26:27], vcc, exec
.LBB4_9624:                             ;   in Loop: Header=BB4_9530 Depth=3
	s_or_b64 exec, exec, s[30:31]
	s_and_saveexec_b64 s[40:41], s[26:27]
	s_cbranch_execz .LBB4_9635
.LBB4_9625:                             ;   in Loop: Header=BB4_9530 Depth=3
	s_waitcnt vmcnt(0)
	v_ashrrev_i32_e32 v0, 31, v19
	v_ashrrev_i32_e32 v8, 31, v5
	v_lshrrev_b32_e32 v0, 26, v0
	v_lshrrev_b32_e32 v8, 22, v8
	v_add_u32_e32 v0, v19, v0
	v_add_u32_e32 v8, v5, v8
	v_ashrrev_i32_e32 v20, 6, v0
	v_ashrrev_i32_e32 v23, 10, v8
	v_sub_u32_e32 v22, v23, v20
	v_cmp_lt_i32_e32 vcc, 0, v22
	s_and_saveexec_b64 s[26:27], vcc
	s_cbranch_execz .LBB4_9629
; %bb.9626:                             ;   in Loop: Header=BB4_9530 Depth=3
	v_and_b32_e32 v0, 0xffffffc0, v0
	v_sub_u32_e32 v0, v19, v0
	v_lshlrev_b32_e32 v8, 10, v20
	v_add3_u32 v0, v4, v0, v8
	v_ashrrev_i32_e32 v24, 31, v0
	v_add_co_u32_e32 v8, vcc, v0, v15
	v_addc_co_u32_e32 v9, vcc, v24, v16, vcc
	v_add_co_u32_e32 v10, vcc, v0, v17
	v_addc_co_u32_e32 v11, vcc, v24, v18, vcc
	;; [unrolled: 2-line block ×4, first 2 shown]
	s_mov_b64 s[28:29], 0
.LBB4_9627:                             ;   Parent Loop BB4_47 Depth=1
                                        ;     Parent Loop BB4_9527 Depth=2
                                        ;       Parent Loop BB4_9530 Depth=3
                                        ; =>      This Inner Loop Header: Depth=4
	v_add_co_u32_e32 v24, vcc, 0xfffffc40, v17
	v_addc_co_u32_e32 v25, vcc, -1, v18, vcc
	flat_load_ubyte v24, v[24:25] glc slc
	v_add_co_u32_e32 v25, vcc, 0xfffffc80, v17
	v_addc_co_u32_e32 v26, vcc, -1, v18, vcc
	flat_load_ubyte v25, v[25:26] glc slc
	;; [unrolled: 3-line block ×6, first 2 shown]
	v_add_co_u32_e32 v30, vcc, 0xfffffdc0, v17
	v_addc_co_u32_e32 v31, vcc, -1, v18, vcc
	v_add_co_u32_e32 v34, vcc, 0xfffffe00, v17
	v_addc_co_u32_e32 v35, vcc, -1, v18, vcc
	flat_load_ubyte v30, v[30:31] glc slc
	v_sub_u32_e32 v22, v22, v57
	flat_load_ubyte v31, v[34:35] glc slc
	v_add_co_u32_e32 v34, vcc, 0xfffffe40, v17
	v_addc_co_u32_e32 v35, vcc, -1, v18, vcc
	flat_load_ubyte v34, v[34:35] glc slc
	v_add_co_u32_e32 v35, vcc, 0xfffffe80, v17
	v_addc_co_u32_e32 v36, vcc, -1, v18, vcc
	;; [unrolled: 3-line block ×3, first 2 shown]
	v_add_co_u32_e32 v50, vcc, 0xffffff00, v17
	v_addc_co_u32_e32 v51, vcc, -1, v18, vcc
	flat_load_ubyte v36, v[36:37] glc slc
	s_nop 0
	flat_load_ubyte v37, v[50:51] glc slc
	v_add_co_u32_e32 v50, vcc, 0xffffff40, v17
	v_addc_co_u32_e32 v51, vcc, -1, v18, vcc
	v_add_co_u32_e32 v40, vcc, 0xffffff80, v17
	v_addc_co_u32_e32 v41, vcc, -1, v18, vcc
	flat_load_ubyte v50, v[50:51] glc slc
	s_nop 0
	flat_load_ubyte v51, v[40:41] glc slc
	v_add_co_u32_e32 v40, vcc, s70, v17
	v_addc_co_u32_e32 v41, vcc, -1, v18, vcc
	flat_load_ubyte v53, v[40:41] glc slc
	flat_load_ubyte v0, v[17:18] glc slc
	s_waitcnt vmcnt(0) lgkmcnt(0)
	flat_store_byte v[8:9], v24 glc slc
	flat_store_byte v[8:9], v25 offset:64 glc slc
	flat_store_byte v[8:9], v26 offset:128 glc slc
	flat_store_byte v[8:9], v27 offset:192 glc slc
	flat_store_byte v[8:9], v28 offset:256 glc slc
	flat_store_byte v[8:9], v29 offset:320 glc slc
	flat_store_byte v[8:9], v30 offset:384 glc slc
	flat_store_byte v[8:9], v31 offset:448 glc slc
	flat_store_byte v[8:9], v34 offset:512 glc slc
	flat_store_byte v[8:9], v35 offset:576 glc slc
	flat_store_byte v[8:9], v36 offset:640 glc slc
	flat_store_byte v[8:9], v37 offset:704 glc slc
	flat_store_byte v[8:9], v50 offset:768 glc slc
	flat_store_byte v[8:9], v51 offset:832 glc slc
	flat_store_byte v[8:9], v53 offset:896 glc slc
	flat_store_byte v[8:9], v0 offset:960 glc slc
	flat_store_byte v[10:11], v24 glc slc
	flat_store_byte v[10:11], v25 offset:64 glc slc
	flat_store_byte v[10:11], v26 offset:128 glc slc
	;; [unrolled: 1-line block ×6, first 2 shown]
	buffer_load_dword v30, off, s[0:3], s33 offset:64 ; 4-byte Folded Reload
	s_nop 0
	flat_store_byte v[10:11], v31 offset:448 glc slc
	flat_store_byte v[10:11], v34 offset:512 glc slc
	flat_store_byte v[10:11], v35 offset:576 glc slc
	flat_store_byte v[10:11], v36 offset:640 glc slc
	flat_store_byte v[10:11], v37 offset:704 glc slc
	flat_store_byte v[10:11], v50 offset:768 glc slc
	flat_store_byte v[10:11], v51 offset:832 glc slc
	flat_store_byte v[10:11], v53 offset:896 glc slc
	flat_store_byte v[10:11], v0 offset:960 glc slc
	s_waitcnt vmcnt(0)
	v_add_co_u32_e32 v8, vcc, v8, v30
	v_addc_co_u32_e32 v9, vcc, 0, v9, vcc
	v_add_co_u32_e32 v10, vcc, v10, v30
	v_addc_co_u32_e32 v11, vcc, 0, v11, vcc
	;; [unrolled: 2-line block ×3, first 2 shown]
	v_cmp_gt_i32_e32 vcc, 1, v22
	s_or_b64 s[28:29], vcc, s[28:29]
	s_andn2_b64 exec, exec, s[28:29]
	s_cbranch_execnz .LBB4_9627
; %bb.9628:                             ;   in Loop: Header=BB4_9530 Depth=3
	s_or_b64 exec, exec, s[28:29]
.LBB4_9629:                             ;   in Loop: Header=BB4_9530 Depth=3
	s_or_b64 exec, exec, s[26:27]
	v_lshlrev_b32_e32 v0, 10, v23
	v_cmp_ne_u32_e32 vcc, v5, v0
	s_and_b64 exec, exec, vcc
	s_cbranch_execz .LBB4_9635
; %bb.9630:                             ;   in Loop: Header=BB4_9530 Depth=3
	v_lshlrev_b32_e32 v8, 6, v20
	v_sub_u32_e32 v8, v19, v8
	v_lshlrev_b32_e32 v9, 6, v22
	v_sub_u32_e32 v8, v8, v9
	v_add_u32_e32 v0, v0, v8
	v_sub_u32_e32 v5, v5, v0
	v_cmp_lt_i32_e32 vcc, 0, v5
	s_and_b64 exec, exec, vcc
	s_cbranch_execz .LBB4_9635
; %bb.9631:                             ;   in Loop: Header=BB4_9530 Depth=3
	v_add_u32_e32 v0, v0, v4
	s_trap 2
	ds_read_b64 v[8:9], v0
	ds_read_b128 v[17:20], v0
	v_ashrrev_i32_e32 v22, 31, v0
	s_mov_b64 s[30:31], 0
	s_waitcnt lgkmcnt(0)
	v_add_co_u32_e32 v8, vcc, v8, v0
	v_addc_co_u32_e32 v9, vcc, v9, v22, vcc
	v_add_co_u32_e32 v4, vcc, v17, v0
	v_addc_co_u32_e32 v10, vcc, v18, v22, vcc
	v_add_co_u32_e32 v11, vcc, v19, v0
	v_addc_co_u32_e32 v17, vcc, v20, v22, vcc
.LBB4_9632:                             ;   Parent Loop BB4_47 Depth=1
                                        ;     Parent Loop BB4_9527 Depth=2
                                        ;       Parent Loop BB4_9530 Depth=3
                                        ; =>      This Loop Header: Depth=4
                                        ;           Child Loop BB4_9633 Depth 5
	flat_load_ubyte v18, v[8:9] glc slc
	s_mov_b64 s[34:35], -1
	s_mov_b64 s[36:37], 0
	s_waitcnt vmcnt(0)
.LBB4_9633:                             ;   Parent Loop BB4_47 Depth=1
                                        ;     Parent Loop BB4_9527 Depth=2
                                        ;       Parent Loop BB4_9530 Depth=3
                                        ;         Parent Loop BB4_9632 Depth=4
                                        ; =>        This Inner Loop Header: Depth=5
	s_cmp_eq_u32 s36, 1
	s_cselect_b64 vcc, -1, 0
	v_cndmask_b32_e32 v19, v4, v11, vcc
	v_cndmask_b32_e32 v20, v10, v17, vcc
	v_add_co_u32_e64 v0, s[26:27], 64, v19
	s_cmp_eq_u32 s36, 0
	s_waitcnt lgkmcnt(0)
	flat_store_byte v[19:20], v18 glc slc
	v_addc_co_u32_e64 v19, s[26:27], 0, v20, s[26:27]
	s_cselect_b64 s[26:27], -1, 0
	s_and_b64 s[28:29], exec, s[34:35]
	s_mov_b64 s[36:37], 1
	s_mov_b64 s[34:35], 0
	v_cndmask_b32_e32 v17, v17, v19, vcc
	v_cndmask_b32_e32 v11, v11, v0, vcc
	v_cndmask_b32_e64 v10, v10, v19, s[26:27]
	v_cndmask_b32_e64 v4, v4, v0, s[26:27]
	s_mov_b64 vcc, s[28:29]
	s_cbranch_vccnz .LBB4_9633
; %bb.9634:                             ;   in Loop: Header=BB4_9632 Depth=4
	buffer_load_dword v0, off, s[0:3], s33 offset:116 ; 4-byte Folded Reload
	buffer_load_dword v18, off, s[0:3], s33 offset:120 ; 4-byte Folded Reload
	s_waitcnt vmcnt(0)
	v_add_co_u32_e32 v4, vcc, v4, v0
	v_addc_co_u32_e32 v10, vcc, v10, v18, vcc
	v_add_co_u32_e32 v11, vcc, v11, v0
	buffer_load_dword v0, off, s[0:3], s33 offset:72 ; 4-byte Folded Reload
	v_addc_co_u32_e32 v17, vcc, v17, v18, vcc
	s_waitcnt vmcnt(0)
	v_sub_u32_e32 v5, v5, v0
	buffer_load_dword v0, off, s[0:3], s33 offset:124 ; 4-byte Folded Reload
	v_cmp_gt_i32_e32 vcc, 1, v5
	s_or_b64 s[30:31], vcc, s[30:31]
	s_waitcnt vmcnt(0)
	v_add_co_u32_e32 v8, vcc, v0, v8
	buffer_load_dword v0, off, s[0:3], s33 offset:128 ; 4-byte Folded Reload
	s_waitcnt vmcnt(0)
	v_addc_co_u32_e32 v9, vcc, v0, v9, vcc
	s_andn2_b64 exec, exec, s[30:31]
	s_cbranch_execnz .LBB4_9632
.LBB4_9635:                             ;   in Loop: Header=BB4_9530 Depth=3
	s_or_b64 exec, exec, s[40:41]
	s_branch .LBB4_9611
.LBB4_9636:                             ;   in Loop: Header=BB4_9530 Depth=3
	s_mov_b64 s[26:27], -1
	s_and_saveexec_b64 s[28:29], s[20:21]
	s_cbranch_execz .LBB4_9638
; %bb.9637:                             ;   in Loop: Header=BB4_9530 Depth=3
	ds_read_b32 v0, v0 offset:720
	s_waitcnt lgkmcnt(0)
	v_and_b32_e32 v0, 15, v0
	v_cmp_eq_u32_e32 vcc, 0, v0
	s_orn2_b64 s[26:27], vcc, exec
.LBB4_9638:                             ;   in Loop: Header=BB4_9530 Depth=3
	s_or_b64 exec, exec, s[28:29]
	s_and_saveexec_b64 s[28:29], s[18:19]
	s_cbranch_execz .LBB4_9640
; %bb.9639:                             ;   in Loop: Header=BB4_9530 Depth=3
	ds_read_b32 v0, v0 offset:784
	s_waitcnt lgkmcnt(0)
	v_and_b32_e32 v0, 15, v0
	v_cmp_eq_u32_e32 vcc, 0, v0
	s_and_b64 s[40:41], s[26:27], vcc
	s_andn2_b64 s[26:27], s[26:27], exec
	s_and_b64 s[40:41], s[40:41], exec
	s_or_b64 s[26:27], s[26:27], s[40:41]
.LBB4_9640:                             ;   in Loop: Header=BB4_9530 Depth=3
	s_or_b64 exec, exec, s[28:29]
	buffer_load_dword v8, off, s[0:3], s33 offset:136 ; 4-byte Folded Reload
	s_xor_b64 s[26:27], s[26:27], -1
	v_cndmask_b32_e64 v0, 0, 1, s[26:27]
	s_mov_b64 s[40:41], -1
	v_mov_b32_e32 v4, 0
	v_cmp_ne_u32_e32 vcc, 0, v0
	v_mov_b32_e32 v5, v2
	s_cbranch_vccz .LBB4_9642
; %bb.9641:                             ;   in Loop: Header=BB4_9530 Depth=3
	s_and_saveexec_b64 s[26:27], s[40:41]
	s_cbranch_execnz .LBB4_9653
	s_branch .LBB4_9661
.LBB4_9642:                             ;   in Loop: Header=BB4_9530 Depth=3
	v_ashrrev_i32_e32 v0, 31, v2
	v_lshrrev_b32_e32 v0, 20, v0
	v_add_u32_e32 v0, v2, v0
	v_ashrrev_i32_e32 v4, 12, v0
	buffer_load_dword v0, off, s[0:3], s33 offset:184 ; 4-byte Folded Reload
	s_waitcnt vmcnt(0)
	v_sub_u32_e32 v17, v4, v0
	v_cmp_lt_i32_e32 vcc, 0, v17
	s_mov_b64 s[26:27], exec
	buffer_load_dword v0, off, s[0:3], s33 offset:236 ; 4-byte Folded Reload
	s_and_b64 s[28:29], s[26:27], vcc
	s_mov_b64 exec, s[28:29]
	s_cbranch_execz .LBB4_9646
; %bb.9643:                             ;   in Loop: Header=BB4_9530 Depth=3
	buffer_load_dword v5, off, s[0:3], s33 offset:240 ; 4-byte Folded Reload
	v_mov_b32_e32 v8, v15
	v_mov_b32_e32 v10, v13
	s_mov_b64 s[28:29], 0
	v_mov_b32_e32 v9, v16
	v_mov_b32_e32 v11, v14
.LBB4_9644:                             ;   Parent Loop BB4_47 Depth=1
                                        ;     Parent Loop BB4_9527 Depth=2
                                        ;       Parent Loop BB4_9530 Depth=3
                                        ; =>      This Inner Loop Header: Depth=4
	s_waitcnt vmcnt(0)
	v_add_co_u32_e32 v18, vcc, v5, v10
	v_addc_co_u32_e32 v19, vcc, 0, v11, vcc
	global_load_dwordx4 v[22:25], v[18:19], off glc slc
	global_load_dwordx4 v[26:29], v[18:19], off offset:1024 glc slc
	global_load_dwordx4 v[34:37], v[18:19], off offset:2048 glc slc
	;; [unrolled: 1-line block ×3, first 2 shown]
	v_add_co_u32_e32 v18, vcc, v5, v8
	v_addc_co_u32_e32 v19, vcc, 0, v9, vcc
	v_add_co_u32_e32 v10, vcc, v10, v0
	v_addc_co_u32_e32 v11, vcc, 0, v11, vcc
	v_add_co_u32_e32 v8, vcc, v8, v0
	v_sub_u32_e32 v17, v17, v57
	v_addc_co_u32_e32 v9, vcc, 0, v9, vcc
	v_cmp_gt_i32_e32 vcc, 1, v17
	s_or_b64 s[28:29], vcc, s[28:29]
	s_waitcnt vmcnt(0)
	global_store_dwordx4 v[18:19], v[22:25], off glc slc
	global_store_dwordx4 v[18:19], v[26:29], off offset:1024 glc slc
	global_store_dwordx4 v[18:19], v[34:37], off offset:2048 glc slc
	;; [unrolled: 1-line block ×3, first 2 shown]
	s_andn2_b64 exec, exec, s[28:29]
	s_cbranch_execnz .LBB4_9644
; %bb.9645:                             ;   in Loop: Header=BB4_9530 Depth=3
	s_or_b64 exec, exec, s[28:29]
.LBB4_9646:                             ;   in Loop: Header=BB4_9530 Depth=3
	s_or_b64 exec, exec, s[26:27]
	v_lshlrev_b32_e32 v9, 12, v4
	v_cmp_ne_u32_e32 vcc, v2, v9
	s_mov_b64 s[40:41], 0
	v_mov_b32_e32 v4, 0
                                        ; implicit-def: $vgpr5
                                        ; implicit-def: $vgpr8
	s_and_saveexec_b64 s[28:29], vcc
	s_cbranch_execz .LBB4_9652
; %bb.9647:                             ;   in Loop: Header=BB4_9530 Depth=3
	buffer_load_dword v4, off, s[0:3], s33 offset:196 ; 4-byte Folded Reload
	s_waitcnt vmcnt(0)
	v_lshlrev_b32_e32 v0, 6, v17
	v_sub_u32_e32 v5, v2, v9
	v_sub_u32_e32 v0, v4, v0
	v_ashrrev_i32_e32 v4, 31, v0
	v_lshrrev_b32_e32 v4, 26, v4
	v_add_u32_e32 v4, v0, v4
	v_ashrrev_i32_e32 v10, 6, v4
	v_and_b32_e32 v4, 0xffffffc0, v4
	v_sub_u32_e32 v8, v0, v4
	v_ashrrev_i32_e32 v4, 31, v5
	v_lshrrev_b32_e32 v4, 22, v4
	v_lshlrev_b32_e32 v0, 4, v8
	v_add_u32_e32 v4, v5, v4
	v_lshl_add_u32 v0, v10, 10, v0
	v_ashrrev_i32_e32 v17, 10, v4
	v_and_b32_e32 v4, 0xfffffc00, v4
	v_sub_u32_e32 v11, v5, v0
	v_sub_u32_e32 v5, v5, v4
	v_cmp_lt_i32_e32 vcc, 15, v5
	v_addc_co_u32_e64 v17, s[26:27], 0, v17, vcc
	v_sub_u32_e32 v10, v17, v10
	v_cmp_lt_i32_e64 s[26:27], 15, v11
	s_and_saveexec_b64 s[40:41], s[26:27]
	s_cbranch_execz .LBB4_9651
; %bb.9648:                             ;   in Loop: Header=BB4_9530 Depth=3
	v_add_u32_e32 v17, v0, v9
	v_ashrrev_i32_e32 v0, 31, v17
	s_mov_b64 s[30:31], 0
.LBB4_9649:                             ;   Parent Loop BB4_47 Depth=1
                                        ;     Parent Loop BB4_9527 Depth=2
                                        ;       Parent Loop BB4_9530 Depth=3
                                        ; =>      This Inner Loop Header: Depth=4
	v_add_co_u32_e64 v18, s[26:27], v13, v17
	v_addc_co_u32_e64 v19, s[26:27], v14, v0, s[26:27]
	global_load_dwordx4 v[22:25], v[18:19], off glc slc
	v_add_co_u32_e64 v18, s[26:27], v15, v17
	v_addc_co_u32_e64 v19, s[26:27], v16, v0, s[26:27]
	v_add_co_u32_e64 v17, s[26:27], v17, v30
	v_sub_u32_e32 v11, v11, v30
	v_addc_co_u32_e64 v0, s[26:27], 0, v0, s[26:27]
	v_cmp_gt_i32_e64 s[26:27], 16, v11
	v_sub_u32_e32 v10, v10, v57
	s_or_b64 s[30:31], s[26:27], s[30:31]
	s_waitcnt vmcnt(0)
	global_store_dwordx4 v[18:19], v[22:25], off glc slc
	s_andn2_b64 exec, exec, s[30:31]
	s_cbranch_execnz .LBB4_9649
; %bb.9650:                             ;   in Loop: Header=BB4_9530 Depth=3
	s_or_b64 exec, exec, s[30:31]
.LBB4_9651:                             ;   in Loop: Header=BB4_9530 Depth=3
	s_or_b64 exec, exec, s[40:41]
	v_and_b32_e32 v0, 15, v2
	v_sub_u32_e32 v11, v5, v0
	v_cndmask_b32_e32 v11, 0, v11, vcc
	v_cndmask_b32_e32 v5, v5, v0, vcc
	v_cmp_lt_i32_e32 vcc, 0, v10
	v_cndmask_b32_e32 v0, 0, v57, vcc
	v_sub_u32_e32 v0, v0, v10
	v_cmp_ne_u32_e32 vcc, 0, v5
	v_add3_u32 v4, v4, v9, v11
	v_lshl_add_u32 v8, v0, 6, v8
	s_and_b64 s[40:41], vcc, exec
.LBB4_9652:                             ;   in Loop: Header=BB4_9530 Depth=3
	s_or_b64 exec, exec, s[28:29]
	s_and_saveexec_b64 s[26:27], s[40:41]
	s_cbranch_execz .LBB4_9661
.LBB4_9653:                             ;   in Loop: Header=BB4_9530 Depth=3
	s_waitcnt vmcnt(0)
	v_ashrrev_i32_e32 v0, 31, v8
	v_ashrrev_i32_e32 v10, 31, v5
	v_lshrrev_b32_e32 v0, 26, v0
	v_lshrrev_b32_e32 v10, 22, v10
	v_add_u32_e32 v0, v8, v0
	v_add_u32_e32 v10, v5, v10
	v_ashrrev_i32_e32 v9, 6, v0
	v_ashrrev_i32_e32 v11, 10, v10
	v_sub_u32_e32 v10, v11, v9
	v_cmp_lt_i32_e32 vcc, 0, v10
	s_and_saveexec_b64 s[28:29], vcc
	s_cbranch_execz .LBB4_9657
; %bb.9654:                             ;   in Loop: Header=BB4_9530 Depth=3
	v_and_b32_e32 v0, 0xffffffc0, v0
	v_sub_u32_e32 v0, v8, v0
	v_lshlrev_b32_e32 v17, 10, v9
	v_add3_u32 v17, v4, v0, v17
	v_ashrrev_i32_e32 v18, 31, v17
	s_mov_b64 s[40:41], 0
	v_mov_b32_e32 v51, v30
.LBB4_9655:                             ;   Parent Loop BB4_47 Depth=1
                                        ;     Parent Loop BB4_9527 Depth=2
                                        ;       Parent Loop BB4_9530 Depth=3
                                        ; =>      This Inner Loop Header: Depth=4
	v_add_co_u32_e32 v19, vcc, v17, v13
	v_addc_co_u32_e32 v20, vcc, v18, v14, vcc
	flat_load_ubyte v0, v[19:20] glc slc
	flat_load_ubyte v22, v[19:20] offset:64 glc slc
	flat_load_ubyte v23, v[19:20] offset:128 glc slc
	;; [unrolled: 1-line block ×15, first 2 shown]
	v_add_co_u32_e32 v19, vcc, v17, v15
	v_addc_co_u32_e32 v20, vcc, v18, v16, vcc
	v_add_co_u32_e32 v13, vcc, v13, v51
	v_addc_co_u32_e32 v14, vcc, 0, v14, vcc
	v_add_co_u32_e32 v15, vcc, v15, v51
	v_sub_u32_e32 v10, v10, v57
	v_addc_co_u32_e32 v16, vcc, 0, v16, vcc
	v_cmp_gt_i32_e32 vcc, 1, v10
	s_or_b64 s[40:41], vcc, s[40:41]
	s_waitcnt vmcnt(0) lgkmcnt(0)
	flat_store_byte v[19:20], v0 glc slc
	flat_store_byte v[19:20], v22 offset:64 glc slc
	flat_store_byte v[19:20], v23 offset:128 glc slc
	;; [unrolled: 1-line block ×15, first 2 shown]
	s_andn2_b64 exec, exec, s[40:41]
	s_cbranch_execnz .LBB4_9655
; %bb.9656:                             ;   in Loop: Header=BB4_9530 Depth=3
	s_or_b64 exec, exec, s[40:41]
	v_mov_b32_e32 v30, v51
.LBB4_9657:                             ;   in Loop: Header=BB4_9530 Depth=3
	s_or_b64 exec, exec, s[28:29]
	buffer_load_dword v14, off, s[0:3], s33 offset:72 ; 4-byte Folded Reload
	v_lshlrev_b32_e32 v0, 10, v11
	v_cmp_ne_u32_e32 vcc, v5, v0
	s_and_b64 s[28:29], exec, vcc
	s_mov_b64 exec, s[28:29]
	s_cbranch_execz .LBB4_9661
; %bb.9658:                             ;   in Loop: Header=BB4_9530 Depth=3
	v_lshlrev_b32_e32 v9, 6, v9
	v_sub_u32_e32 v8, v8, v9
	v_lshlrev_b32_e32 v9, 6, v10
	v_sub_u32_e32 v8, v8, v9
	v_add_u32_e32 v0, v0, v8
	v_sub_u32_e32 v5, v5, v0
	v_cmp_lt_i32_e32 vcc, 0, v5
	s_and_b64 exec, exec, vcc
	s_cbranch_execz .LBB4_9661
; %bb.9659:                             ;   in Loop: Header=BB4_9530 Depth=3
	v_add_u32_e32 v0, v0, v4
	s_trap 2
	ds_read_b64 v[8:9], v0
	v_ashrrev_i32_e32 v4, 31, v0
	s_mov_b64 s[28:29], 0
.LBB4_9660:                             ;   Parent Loop BB4_47 Depth=1
                                        ;     Parent Loop BB4_9527 Depth=2
                                        ;       Parent Loop BB4_9530 Depth=3
                                        ; =>      This Inner Loop Header: Depth=4
	s_waitcnt lgkmcnt(0)
	v_add_co_u32_e32 v10, vcc, v8, v0
	v_addc_co_u32_e32 v11, vcc, v9, v4, vcc
	flat_load_ubyte v13, v[10:11] glc slc
	s_waitcnt vmcnt(0)
	v_add_co_u32_e32 v0, vcc, v0, v14
	v_sub_u32_e32 v5, v5, v14
	v_addc_co_u32_e32 v4, vcc, 0, v4, vcc
	v_cmp_gt_i32_e32 vcc, 1, v5
	s_or_b64 s[28:29], vcc, s[28:29]
	s_waitcnt lgkmcnt(0)
	flat_store_byte v[10:11], v13 glc slc
	s_andn2_b64 exec, exec, s[28:29]
	s_cbranch_execnz .LBB4_9660
.LBB4_9661:                             ;   in Loop: Header=BB4_9530 Depth=3
	s_or_b64 exec, exec, s[26:27]
	v_cmp_lt_i32_e64 s[26:27], 0, v2
	s_and_saveexec_b64 s[28:29], s[10:11]
	s_cbranch_execz .LBB4_9606
.LBB4_9662:                             ;   in Loop: Header=BB4_9530 Depth=3
	s_and_saveexec_b64 s[40:41], s[72:73]
	s_xor_b64 s[40:41], exec, s[40:41]
	s_cbranch_execz .LBB4_9677
; %bb.9663:                             ;   in Loop: Header=BB4_9530 Depth=3
	s_and_saveexec_b64 s[30:31], s[16:17]
	s_cbranch_execz .LBB4_9676
; %bb.9664:                             ;   in Loop: Header=BB4_9530 Depth=3
	s_mov_b64 s[36:37], exec
	s_waitcnt vmcnt(0)
	v_mbcnt_lo_u32_b32 v0, s36, 0
	v_mbcnt_hi_u32_b32 v0, s37, v0
	v_cmp_eq_u32_e32 vcc, 0, v0
	s_waitcnt lgkmcnt(0)
	buffer_wbinvl1_vol
	s_and_saveexec_b64 s[34:35], vcc
	s_cbranch_execz .LBB4_9666
; %bb.9665:                             ;   in Loop: Header=BB4_9530 Depth=3
	s_bcnt1_i32_b64 vcc_lo, s[36:37]
	v_mov_b32_e32 v2, vcc_lo
	ds_add_u64 v0, v[2:3]
	s_trap 2
.LBB4_9666:                             ;   in Loop: Header=BB4_9530 Depth=3
	s_or_b64 exec, exec, s[34:35]
	s_trap 2
	ds_read_b64 v[4:5], v0
	s_waitcnt lgkmcnt(0)
	v_add_co_u32_e32 v38, vcc, v38, v57
	v_addc_co_u32_e32 v39, vcc, 0, v39, vcc
	v_cmp_lt_u64_e32 vcc, v[4:5], v[38:39]
	s_and_saveexec_b64 s[34:35], vcc
	s_cbranch_execz .LBB4_9675
; %bb.9667:                             ;   in Loop: Header=BB4_9530 Depth=3
	s_mov_b32 s54, 0
	s_mov_b64 s[36:37], 0
                                        ; implicit-def: $sgpr38_sgpr39
                                        ; implicit-def: $sgpr48_sgpr49
	s_branch .LBB4_9669
.LBB4_9668:                             ;   in Loop: Header=BB4_9669 Depth=4
	s_or_b64 exec, exec, s[52:53]
	s_and_b64 vcc, exec, vcc
	s_or_b64 s[36:37], vcc, s[36:37]
	s_andn2_b64 vcc, s[38:39], exec
	s_and_b64 s[38:39], s[48:49], exec
	s_or_b64 s[38:39], vcc, s[38:39]
	s_andn2_b64 exec, exec, s[36:37]
	s_cbranch_execz .LBB4_9673
.LBB4_9669:                             ;   Parent Loop BB4_47 Depth=1
                                        ;     Parent Loop BB4_9527 Depth=2
                                        ;       Parent Loop BB4_9530 Depth=3
                                        ; =>      This Inner Loop Header: Depth=4
	s_add_i32 s54, s54, 1
	s_cmpk_lg_i32 s54, 0x2710
	s_cselect_b64 s[50:51], -1, 0
	s_and_b64 vcc, exec, s[50:51]
	s_cbranch_vccz .LBB4_9671
; %bb.9670:                             ;   in Loop: Header=BB4_9669 Depth=4
	s_mov_b64 vcc, -1
	s_or_b64 s[48:49], s[48:49], exec
	s_and_saveexec_b64 s[52:53], s[50:51]
	s_cbranch_execz .LBB4_9668
	s_branch .LBB4_9672
.LBB4_9671:                             ;   in Loop: Header=BB4_9669 Depth=4
	s_trap 2
	ds_read_b64 v[4:5], v0
	s_andn2_b64 s[50:51], s[50:51], exec
	s_mov_b32 s54, 0
	s_waitcnt lgkmcnt(0)
	flat_load_dword v0, v[4:5] glc
	s_waitcnt vmcnt(0) lgkmcnt(0)
	buffer_wbinvl1_vol
	v_cmp_eq_u32_e32 vcc, 0, v0
	s_and_b64 vcc, vcc, exec
	s_or_b64 s[50:51], s[50:51], vcc
	s_mov_b64 vcc, -1
	s_or_b64 s[48:49], s[48:49], exec
	s_and_saveexec_b64 s[52:53], s[50:51]
	s_cbranch_execz .LBB4_9668
.LBB4_9672:                             ;   in Loop: Header=BB4_9669 Depth=4
	s_sleep 1
	s_trap 2
	ds_read_b64 v[4:5], v0
	s_waitcnt lgkmcnt(0)
	s_andn2_b64 s[48:49], s[48:49], exec
	v_cmp_ge_u64_e32 vcc, v[4:5], v[38:39]
	s_orn2_b64 vcc, vcc, exec
	s_branch .LBB4_9668
.LBB4_9673:                             ;   in Loop: Header=BB4_9530 Depth=3
	s_or_b64 exec, exec, s[36:37]
	s_and_saveexec_b64 vcc, s[38:39]
	s_xor_b64 vcc, exec, vcc
	s_cbranch_execz .LBB4_9675
; %bb.9674:                             ;   in Loop: Header=BB4_9530 Depth=3
	v_mov_b32_e32 v0, 1
	ds_write_b32 v0, v0
	s_trap 2
.LBB4_9675:                             ;   in Loop: Header=BB4_9530 Depth=3
	s_or_b64 exec, exec, s[34:35]
	;;#ASMSTART
	s_wakeup
	;;#ASMEND
.LBB4_9676:                             ;   in Loop: Header=BB4_9530 Depth=3
	s_or_b64 exec, exec, s[30:31]
.LBB4_9677:                             ;   in Loop: Header=BB4_9530 Depth=3
	s_andn2_saveexec_b64 s[40:41], s[40:41]
	s_cbranch_execz .LBB4_9679
; %bb.9678:                             ;   in Loop: Header=BB4_9530 Depth=3
	s_waitcnt vmcnt(0) lgkmcnt(0)
	buffer_wbinvl1_vol
	s_barrier
.LBB4_9679:                             ;   in Loop: Header=BB4_9530 Depth=3
	s_or_b64 exec, exec, s[40:41]
	s_or_b64 exec, exec, s[28:29]
                                        ; implicit-def: $vgpr0
	s_and_saveexec_b64 s[28:29], s[24:25]
	s_xor_b64 s[28:29], exec, s[28:29]
	s_cbranch_execnz .LBB4_9607
.LBB4_9680:                             ;   in Loop: Header=BB4_9530 Depth=3
	s_andn2_saveexec_b64 s[26:27], s[28:29]
	s_cbranch_execz .LBB4_9699
.LBB4_9681:                             ;   in Loop: Header=BB4_9530 Depth=3
	s_and_saveexec_b64 s[28:29], s[72:73]
	s_xor_b64 s[28:29], exec, s[28:29]
	s_cbranch_execz .LBB4_9696
; %bb.9682:                             ;   in Loop: Header=BB4_9530 Depth=3
	s_and_saveexec_b64 s[40:41], s[16:17]
	s_cbranch_execz .LBB4_9695
; %bb.9683:                             ;   in Loop: Header=BB4_9530 Depth=3
	s_mov_b64 s[34:35], exec
	s_waitcnt vmcnt(0)
	v_mbcnt_lo_u32_b32 v0, s34, 0
	v_mbcnt_hi_u32_b32 v0, s35, v0
	v_cmp_eq_u32_e32 vcc, 0, v0
	;;#ASMSTART
	s_waitcnt lgkmcnt(0) vmcnt(0)
	;;#ASMEND
	s_and_saveexec_b64 s[30:31], vcc
	s_cbranch_execz .LBB4_9685
; %bb.9684:                             ;   in Loop: Header=BB4_9530 Depth=3
	s_bcnt1_i32_b64 vcc_lo, s[34:35]
	v_mov_b32_e32 v2, vcc_lo
	s_waitcnt lgkmcnt(0)
	ds_add_u64 v0, v[2:3]
	s_trap 2
.LBB4_9685:                             ;   in Loop: Header=BB4_9530 Depth=3
	s_or_b64 exec, exec, s[30:31]
	s_trap 2
	ds_read_b64 v[4:5], v0
	s_waitcnt lgkmcnt(0)
	v_add_co_u32_e32 v38, vcc, v38, v57
	v_addc_co_u32_e32 v39, vcc, 0, v39, vcc
	v_cmp_lt_u64_e32 vcc, v[4:5], v[38:39]
	s_and_saveexec_b64 s[30:31], vcc
	s_cbranch_execz .LBB4_9694
; %bb.9686:                             ;   in Loop: Header=BB4_9530 Depth=3
	s_mov_b32 s52, 0
	s_mov_b64 s[34:35], 0
                                        ; implicit-def: $sgpr36_sgpr37
                                        ; implicit-def: $sgpr38_sgpr39
	s_branch .LBB4_9688
.LBB4_9687:                             ;   in Loop: Header=BB4_9688 Depth=4
	s_or_b64 exec, exec, s[50:51]
	s_and_b64 vcc, exec, vcc
	s_or_b64 s[34:35], vcc, s[34:35]
	s_andn2_b64 vcc, s[36:37], exec
	s_and_b64 s[36:37], s[38:39], exec
	s_or_b64 s[36:37], vcc, s[36:37]
	s_andn2_b64 exec, exec, s[34:35]
	s_cbranch_execz .LBB4_9692
.LBB4_9688:                             ;   Parent Loop BB4_47 Depth=1
                                        ;     Parent Loop BB4_9527 Depth=2
                                        ;       Parent Loop BB4_9530 Depth=3
                                        ; =>      This Inner Loop Header: Depth=4
	s_add_i32 s52, s52, 1
	s_cmpk_lg_i32 s52, 0x2710
	s_cselect_b64 s[48:49], -1, 0
	s_and_b64 vcc, exec, s[48:49]
	s_cbranch_vccz .LBB4_9690
; %bb.9689:                             ;   in Loop: Header=BB4_9688 Depth=4
	s_mov_b64 vcc, -1
	s_or_b64 s[38:39], s[38:39], exec
	s_and_saveexec_b64 s[50:51], s[48:49]
	s_cbranch_execz .LBB4_9687
	s_branch .LBB4_9691
.LBB4_9690:                             ;   in Loop: Header=BB4_9688 Depth=4
	s_trap 2
	ds_read_b64 v[4:5], v0
	s_andn2_b64 s[48:49], s[48:49], exec
	s_mov_b32 s52, 0
	s_waitcnt lgkmcnt(0)
	flat_load_dword v0, v[4:5] glc
	s_waitcnt vmcnt(0) lgkmcnt(0)
	buffer_wbinvl1_vol
	v_cmp_eq_u32_e32 vcc, 0, v0
	s_and_b64 vcc, vcc, exec
	s_or_b64 s[48:49], s[48:49], vcc
	s_mov_b64 vcc, -1
	s_or_b64 s[38:39], s[38:39], exec
	s_and_saveexec_b64 s[50:51], s[48:49]
	s_cbranch_execz .LBB4_9687
.LBB4_9691:                             ;   in Loop: Header=BB4_9688 Depth=4
	s_sleep 1
	s_trap 2
	ds_read_b64 v[4:5], v0
	s_waitcnt lgkmcnt(0)
	s_andn2_b64 s[38:39], s[38:39], exec
	v_cmp_ge_u64_e32 vcc, v[4:5], v[38:39]
	s_orn2_b64 vcc, vcc, exec
	s_branch .LBB4_9687
.LBB4_9692:                             ;   in Loop: Header=BB4_9530 Depth=3
	s_or_b64 exec, exec, s[34:35]
	s_and_saveexec_b64 vcc, s[36:37]
	s_xor_b64 vcc, exec, vcc
	s_cbranch_execz .LBB4_9694
; %bb.9693:                             ;   in Loop: Header=BB4_9530 Depth=3
	v_mov_b32_e32 v0, 1
	ds_write_b32 v0, v0
	s_trap 2
.LBB4_9694:                             ;   in Loop: Header=BB4_9530 Depth=3
	s_or_b64 exec, exec, s[30:31]
	;;#ASMSTART
	s_wakeup
	;;#ASMEND
.LBB4_9695:                             ;   in Loop: Header=BB4_9530 Depth=3
	s_or_b64 exec, exec, s[40:41]
.LBB4_9696:                             ;   in Loop: Header=BB4_9530 Depth=3
	s_andn2_saveexec_b64 s[28:29], s[28:29]
	s_cbranch_execz .LBB4_9698
; %bb.9697:                             ;   in Loop: Header=BB4_9530 Depth=3
	;;#ASMSTART
	s_waitcnt lgkmcnt(0) vmcnt(0)
	;;#ASMEND
	s_waitcnt vmcnt(0) lgkmcnt(0)
	s_barrier
.LBB4_9698:                             ;   in Loop: Header=BB4_9530 Depth=3
	s_or_b64 exec, exec, s[28:29]
	s_waitcnt vmcnt(0)
	v_and_b32_e32 v0, 16, v52
.LBB4_9699:                             ;   in Loop: Header=BB4_9530 Depth=3
	s_or_b64 exec, exec, s[26:27]
	s_waitcnt vmcnt(0)
	v_cmp_ne_u32_e32 vcc, 0, v0
	s_xor_b64 s[26:27], s[12:13], -1
	s_and_b64 s[28:29], vcc, s[26:27]
	s_and_saveexec_b64 s[26:27], s[28:29]
	s_cbranch_execz .LBB4_9701
; %bb.9700:                             ;   in Loop: Header=BB4_9530 Depth=3
	buffer_load_dword v4, off, s[0:3], s33 offset:104 ; 4-byte Folded Reload
	buffer_load_dword v5, off, s[0:3], s33 offset:108 ; 4-byte Folded Reload
	v_mov_b32_e32 v0, 1
	s_waitcnt vmcnt(0)
	flat_store_dword v[4:5], v0
.LBB4_9701:                             ;   in Loop: Header=BB4_9530 Depth=3
	s_or_b64 exec, exec, s[26:27]
	v_and_b32_e32 v0, 48, v52
	v_cmp_ne_u32_e32 vcc, 0, v0
	s_and_saveexec_b64 s[26:27], vcc
	s_cbranch_execz .LBB4_9529
; %bb.9702:                             ;   in Loop: Header=BB4_9530 Depth=3
	buffer_load_dword v4, off, s[0:3], s33 offset:56 ; 4-byte Folded Reload
	buffer_load_dword v5, off, s[0:3], s33 offset:60 ; 4-byte Folded Reload
	s_waitcnt vmcnt(0)
	v_add_co_u32_e32 v4, vcc, 2, v4
	v_addc_co_u32_e32 v5, vcc, 0, v5, vcc
	buffer_store_dword v4, off, s[0:3], s33 offset:56 ; 4-byte Folded Spill
	s_nop 0
	buffer_store_dword v5, off, s[0:3], s33 offset:60 ; 4-byte Folded Spill
	flat_store_dwordx2 v[32:33], v[4:5]
	s_branch .LBB4_9529
.LBB4_9703:                             ;   in Loop: Header=BB4_9527 Depth=2
	s_or_b64 exec, exec, s[42:43]
	v_cmp_gt_i32_e32 vcc, 2, v2
	s_and_saveexec_b64 s[28:29], vcc
	s_cbranch_execz .LBB4_9779
.LBB4_9704:                             ;   in Loop: Header=BB4_9527 Depth=2
	v_cmp_eq_u32_e64 s[42:43], 0, v2
	s_mov_b64 s[40:41], 0
	s_branch .LBB4_9706
.LBB4_9705:                             ;   in Loop: Header=BB4_9706 Depth=3
	s_or_b64 exec, exec, s[26:27]
	v_add_u32_e32 v6, v12, v6
	s_mov_b64 s[42:43], 0
	s_andn2_b64 exec, exec, s[40:41]
	s_cbranch_execz .LBB4_9780
.LBB4_9706:                             ;   Parent Loop BB4_47 Depth=1
                                        ;     Parent Loop BB4_9527 Depth=2
                                        ; =>    This Loop Header: Depth=3
                                        ;         Child Loop BB4_9712 Depth 4
                                        ;         Child Loop BB4_9740 Depth 4
	;; [unrolled: 1-line block ×3, first 2 shown]
	v_sub_u32_e32 v0, v1, v6
	v_min_i32_e32 v12, v12, v0
	v_and_b32_e32 v0, 12, v52
	v_cmp_ne_u32_e32 vcc, 0, v0
	s_and_saveexec_b64 s[44:45], vcc
	s_cbranch_execz .LBB4_9732
; %bb.9707:                             ;   in Loop: Header=BB4_9706 Depth=3
	buffer_load_dword v8, off, s[0:3], s33 offset:56 ; 4-byte Folded Reload
	buffer_load_dword v9, off, s[0:3], s33 offset:60 ; 4-byte Folded Reload
	v_and_b32_e32 v2, 8, v52
	s_waitcnt lgkmcnt(0)
	v_add_co_u32_e32 v4, vcc, v48, v2
	v_addc_co_u32_e32 v5, vcc, 0, v49, vcc
	s_waitcnt vmcnt(0)
	v_add_co_u32_e32 v8, vcc, 2, v8
	v_addc_co_u32_e32 v9, vcc, 0, v9, vcc
	v_cmp_lt_u64_e32 vcc, v[4:5], v[8:9]
	s_and_saveexec_b64 s[46:47], vcc
	s_cbranch_execz .LBB4_9719
; %bb.9708:                             ;   in Loop: Header=BB4_9706 Depth=3
	v_and_b32_e32 v0, 64, v52
	s_mov_b32 s57, 0
	v_cmp_eq_u32_e32 vcc, 0, v0
	s_mov_b64 s[30:31], 0
                                        ; implicit-def: $sgpr34_sgpr35
                                        ; implicit-def: $sgpr36_sgpr37
                                        ; implicit-def: $sgpr38_sgpr39
	s_branch .LBB4_9712
.LBB4_9709:                             ;   in Loop: Header=BB4_9712 Depth=4
	s_waitcnt vmcnt(0) lgkmcnt(0)
	v_add_co_u32_e64 v10, s[26:27], v48, v2
	v_addc_co_u32_e64 v11, s[26:27], 0, v49, s[26:27]
	v_cmp_ge_u64_e64 s[26:27], v[10:11], v[8:9]
	s_or_b64 s[52:53], s[52:53], exec
	s_orn2_b64 s[50:51], s[26:27], exec
.LBB4_9710:                             ;   in Loop: Header=BB4_9712 Depth=4
	s_or_b64 exec, exec, s[64:65]
	s_andn2_b64 s[26:27], s[38:39], exec
	s_and_b64 s[38:39], s[52:53], exec
	s_or_b64 s[38:39], s[26:27], s[38:39]
	s_andn2_b64 s[26:27], s[36:37], exec
	s_and_b64 s[36:37], s[50:51], exec
	s_or_b64 s[36:37], s[26:27], s[36:37]
.LBB4_9711:                             ;   in Loop: Header=BB4_9712 Depth=4
	s_or_b64 exec, exec, s[48:49]
	s_and_b64 s[26:27], exec, s[36:37]
	s_or_b64 s[30:31], s[26:27], s[30:31]
	s_andn2_b64 s[26:27], s[34:35], exec
	s_and_b64 s[34:35], s[38:39], exec
	s_or_b64 s[34:35], s[26:27], s[34:35]
	s_andn2_b64 exec, exec, s[30:31]
	s_cbranch_execz .LBB4_9716
.LBB4_9712:                             ;   Parent Loop BB4_47 Depth=1
                                        ;     Parent Loop BB4_9527 Depth=2
                                        ;       Parent Loop BB4_9706 Depth=3
                                        ; =>      This Inner Loop Header: Depth=4
	s_sleep 1
	s_waitcnt vmcnt(0) lgkmcnt(0)
	flat_load_dwordx2 v[48:49], v[32:33] glc
	s_or_b64 s[38:39], s[38:39], exec
	s_or_b64 s[36:37], s[36:37], exec
                                        ; implicit-def: $vgpr4
	s_and_saveexec_b64 s[48:49], vcc
	s_cbranch_execz .LBB4_9711
; %bb.9713:                             ;   in Loop: Header=BB4_9712 Depth=4
	s_cmpk_lt_i32 s57, 0x270f
	s_cselect_b64 s[54:55], -1, 0
	s_cmpk_gt_i32 s57, 0x270e
	s_mov_b64 s[50:51], -1
	s_cbranch_scc0 .LBB4_9715
; %bb.9714:                             ;   in Loop: Header=BB4_9712 Depth=4
	s_trap 2
	ds_read_b64 v[4:5], v0
	s_andn2_b64 s[54:55], s[54:55], exec
	s_mov_b32 s57, 0
	s_mov_b64 s[52:53], 0
	s_waitcnt vmcnt(0) lgkmcnt(0)
	flat_load_dword v4, v[4:5] glc
	s_waitcnt vmcnt(0) lgkmcnt(0)
	buffer_wbinvl1_vol
	v_cmp_eq_u32_e64 s[26:27], 0, v4
	s_and_b64 s[26:27], s[26:27], exec
	s_or_b64 s[54:55], s[54:55], s[26:27]
	s_and_saveexec_b64 s[64:65], s[54:55]
	s_cbranch_execz .LBB4_9710
	s_branch .LBB4_9709
.LBB4_9715:                             ;   in Loop: Header=BB4_9712 Depth=4
	s_add_i32 s57, s57, 1
	s_mov_b64 s[52:53], -1
                                        ; implicit-def: $vgpr4
	s_and_saveexec_b64 s[64:65], s[54:55]
	s_cbranch_execz .LBB4_9710
	s_branch .LBB4_9709
.LBB4_9716:                             ;   in Loop: Header=BB4_9706 Depth=3
	s_or_b64 exec, exec, s[30:31]
	s_xor_b64 s[26:27], s[34:35], -1
	s_and_saveexec_b64 vcc, s[26:27]
	s_xor_b64 s[26:27], exec, vcc
	s_cbranch_execz .LBB4_9718
; %bb.9717:                             ;   in Loop: Header=BB4_9706 Depth=3
	v_or_b32_e32 v52, 64, v52
	s_waitcnt lgkmcnt(0)
	ds_write_b32 v0, v4
	s_trap 2
.LBB4_9718:                             ;   in Loop: Header=BB4_9706 Depth=3
	s_or_b64 exec, exec, s[26:27]
.LBB4_9719:                             ;   in Loop: Header=BB4_9706 Depth=3
	s_or_b64 exec, exec, s[46:47]
	v_and_b32_e32 v0, 0x108, v52
	v_cmp_ne_u32_e32 vcc, s71, v0
	;;#ASMSTART
	s_wakeup
	;;#ASMEND
	s_and_saveexec_b64 s[26:27], vcc
	s_xor_b64 s[26:27], exec, s[26:27]
                                        ; implicit-def: $vgpr7
	s_cbranch_execz .LBB4_9721
; %bb.9720:                             ;   in Loop: Header=BB4_9706 Depth=3
	buffer_load_dword v4, off, s[0:3], s33 offset:56 ; 4-byte Folded Reload
	buffer_load_dword v5, off, s[0:3], s33 offset:60 ; 4-byte Folded Reload
	s_waitcnt vmcnt(0)
	v_and_b32_e32 v7, 7, v4
                                        ; implicit-def: $vgpr4_vgpr5
                                        ; kill: killed $vgpr4_vgpr5
.LBB4_9721:                             ;   in Loop: Header=BB4_9706 Depth=3
	s_andn2_saveexec_b64 s[26:27], s[26:27]
	s_cbranch_execz .LBB4_9723
; %bb.9722:                             ;   in Loop: Header=BB4_9706 Depth=3
	buffer_load_dword v4, off, s[0:3], s33 offset:56 ; 4-byte Folded Reload
	buffer_load_dword v5, off, s[0:3], s33 offset:60 ; 4-byte Folded Reload
	buffer_load_dword v13, off, s[0:3], s33 offset:88 ; 4-byte Folded Reload
	buffer_load_dword v14, off, s[0:3], s33 offset:92 ; 4-byte Folded Reload
	buffer_load_dword v15, off, s[0:3], s33 offset:96 ; 4-byte Folded Reload
	buffer_load_dword v16, off, s[0:3], s33 offset:100 ; 4-byte Folded Reload
	s_waitcnt vmcnt(0)
	v_and_b32_e32 v7, 7, v4
	v_mad_u64_u32 v[4:5], s[46:47], v7, 24, v[13:14]
	v_ashrrev_i32_e32 v13, 31, v12
	flat_store_dwordx2 v[4:5], v[12:13] offset:8
.LBB4_9723:                             ;   in Loop: Header=BB4_9706 Depth=3
	s_or_b64 exec, exec, s[26:27]
	v_and_b32_e32 v0, 0x100, v52
	v_cmp_ne_u32_e32 vcc, 0, v0
	s_mov_b64 s[26:27], -1
                                        ; implicit-def: $vgpr10_vgpr11
	s_and_saveexec_b64 s[46:47], vcc
	s_cbranch_execz .LBB4_9727
; %bb.9724:                             ;   in Loop: Header=BB4_9706 Depth=3
	buffer_load_dword v13, off, s[0:3], s33 offset:88 ; 4-byte Folded Reload
	buffer_load_dword v14, off, s[0:3], s33 offset:92 ; 4-byte Folded Reload
	;; [unrolled: 1-line block ×4, first 2 shown]
	s_waitcnt vmcnt(0)
	v_mad_u64_u32 v[4:5], s[26:27], v7, 24, v[13:14]
	v_mov_b32_e32 v0, v5
	v_mad_u64_u32 v[10:11], s[26:27], v3, 24, v[0:1]
	v_mov_b32_e32 v5, v10
	flat_load_dword v0, v[4:5]
                                        ; implicit-def: $vgpr10_vgpr11
	s_waitcnt vmcnt(0) lgkmcnt(0)
	v_cmp_ne_u32_e32 vcc, 1, v0
	v_cmp_eq_u32_e64 s[26:27], 1, v0
	s_and_saveexec_b64 s[30:31], s[26:27]
	s_cbranch_execz .LBB4_9726
; %bb.9725:                             ;   in Loop: Header=BB4_9706 Depth=3
	flat_load_dword v10, v[4:5] offset:4 glc
	s_waitcnt vmcnt(0) lgkmcnt(0)
	v_ashrrev_i32_e32 v11, 31, v10
.LBB4_9726:                             ;   in Loop: Header=BB4_9706 Depth=3
	s_or_b64 exec, exec, s[30:31]
	s_orn2_b64 s[26:27], vcc, exec
.LBB4_9727:                             ;   in Loop: Header=BB4_9706 Depth=3
	s_or_b64 exec, exec, s[46:47]
	s_and_saveexec_b64 s[46:47], s[26:27]
	s_cbranch_execz .LBB4_9729
; %bb.9728:                             ;   in Loop: Header=BB4_9706 Depth=3
	buffer_load_dword v5, off, s[0:3], s33 offset:112 ; 4-byte Folded Reload
	buffer_load_dword v4, off, s[0:3], s33 offset:132 ; 4-byte Folded Reload
	s_waitcnt vmcnt(0)
	v_mul_lo_u32 v0, v3, v5
	v_mul_lo_u32 v4, v7, v4
	v_mad_u64_u32 v[10:11], s[26:27], v7, v5, 0
	v_add3_u32 v11, v11, v4, v0
.LBB4_9729:                             ;   in Loop: Header=BB4_9706 Depth=3
	s_or_b64 exec, exec, s[46:47]
	buffer_load_dword v4, off, s[0:3], s33 offset:80 ; 4-byte Folded Reload
	buffer_load_dword v5, off, s[0:3], s33 offset:84 ; 4-byte Folded Reload
	v_cmp_eq_u32_e32 vcc, 0, v2
	v_mov_b32_e32 v0, 0xd0
	v_mov_b32_e32 v2, 0x88
	v_cndmask_b32_e32 v0, v0, v2, vcc
	v_add_u32_e32 v0, v0, v0
	s_waitcnt vmcnt(0)
	v_add_co_u32_e32 v4, vcc, v4, v10
	v_addc_co_u32_e32 v5, vcc, v5, v11, vcc
	ds_write_b64 v0, v[4:5] offset:584
	v_and_b32_e32 v0, 0x2000, v52
	v_cmp_ne_u32_e32 vcc, 0, v0
	s_and_saveexec_b64 s[26:27], vcc
	s_cbranch_execz .LBB4_9731
; %bb.9730:                             ;   in Loop: Header=BB4_9706 Depth=3
	ds_read_b64 v[4:5], v0 offset:872
	s_waitcnt lgkmcnt(0)
	v_add_co_u32_e32 v4, vcc, 1, v4
	v_addc_co_u32_e32 v5, vcc, 0, v5, vcc
	ds_write_b64 v0, v[4:5] offset:872
.LBB4_9731:                             ;   in Loop: Header=BB4_9706 Depth=3
	s_or_b64 exec, exec, s[26:27]
	buffer_store_dword v8, off, s[0:3], s33 offset:56 ; 4-byte Folded Spill
	s_nop 0
	buffer_store_dword v9, off, s[0:3], s33 offset:60 ; 4-byte Folded Spill
.LBB4_9732:                             ;   in Loop: Header=BB4_9706 Depth=3
	s_or_b64 exec, exec, s[44:45]
	s_xor_b64 s[26:27], s[42:43], -1
	s_and_b64 s[26:27], exec, s[26:27]
	s_or_b64 s[40:41], s[26:27], s[40:41]
	s_and_saveexec_b64 s[26:27], s[10:11]
	s_cbranch_execz .LBB4_9751
; %bb.9733:                             ;   in Loop: Header=BB4_9706 Depth=3
	s_and_saveexec_b64 s[42:43], s[72:73]
	s_xor_b64 s[42:43], exec, s[42:43]
	s_cbranch_execz .LBB4_9748
; %bb.9734:                             ;   in Loop: Header=BB4_9706 Depth=3
	s_and_saveexec_b64 s[44:45], s[16:17]
	s_cbranch_execz .LBB4_9747
; %bb.9735:                             ;   in Loop: Header=BB4_9706 Depth=3
	s_mov_b64 s[30:31], exec
	v_mbcnt_lo_u32_b32 v0, s30, 0
	v_mbcnt_hi_u32_b32 v0, s31, v0
	v_cmp_eq_u32_e32 vcc, 0, v0
	s_waitcnt vmcnt(0) lgkmcnt(0)
	buffer_wbinvl1_vol
	s_and_saveexec_b64 s[46:47], vcc
	s_cbranch_execz .LBB4_9737
; %bb.9736:                             ;   in Loop: Header=BB4_9706 Depth=3
	s_bcnt1_i32_b64 s57, s[30:31]
	v_mov_b32_e32 v2, s57
	ds_add_u64 v0, v[2:3]
	s_trap 2
.LBB4_9737:                             ;   in Loop: Header=BB4_9706 Depth=3
	s_or_b64 exec, exec, s[46:47]
	s_trap 2
	ds_read_b64 v[4:5], v0
	s_waitcnt lgkmcnt(0)
	v_add_co_u32_e32 v38, vcc, v38, v57
	v_addc_co_u32_e32 v39, vcc, 0, v39, vcc
	v_cmp_lt_u64_e32 vcc, v[4:5], v[38:39]
	s_and_saveexec_b64 s[46:47], vcc
	s_cbranch_execz .LBB4_9746
; %bb.9738:                             ;   in Loop: Header=BB4_9706 Depth=3
	s_mov_b32 s57, 0
	s_mov_b64 s[30:31], 0
                                        ; implicit-def: $sgpr34_sgpr35
                                        ; implicit-def: $sgpr36_sgpr37
	s_branch .LBB4_9740
.LBB4_9739:                             ;   in Loop: Header=BB4_9740 Depth=4
	s_or_b64 exec, exec, s[48:49]
	s_and_b64 vcc, exec, vcc
	s_or_b64 s[30:31], vcc, s[30:31]
	s_andn2_b64 vcc, s[34:35], exec
	s_and_b64 s[34:35], s[36:37], exec
	s_or_b64 s[34:35], vcc, s[34:35]
	s_andn2_b64 exec, exec, s[30:31]
	s_cbranch_execz .LBB4_9744
.LBB4_9740:                             ;   Parent Loop BB4_47 Depth=1
                                        ;     Parent Loop BB4_9527 Depth=2
                                        ;       Parent Loop BB4_9706 Depth=3
                                        ; =>      This Inner Loop Header: Depth=4
	s_add_i32 s57, s57, 1
	s_cmpk_lg_i32 s57, 0x2710
	s_cselect_b64 s[38:39], -1, 0
	s_and_b64 vcc, exec, s[38:39]
	s_cbranch_vccz .LBB4_9742
; %bb.9741:                             ;   in Loop: Header=BB4_9740 Depth=4
	s_mov_b64 vcc, -1
	s_or_b64 s[36:37], s[36:37], exec
	s_and_saveexec_b64 s[48:49], s[38:39]
	s_cbranch_execz .LBB4_9739
	s_branch .LBB4_9743
.LBB4_9742:                             ;   in Loop: Header=BB4_9740 Depth=4
	s_trap 2
	ds_read_b64 v[4:5], v0
	s_andn2_b64 s[38:39], s[38:39], exec
	s_mov_b32 s57, 0
	s_waitcnt lgkmcnt(0)
	flat_load_dword v0, v[4:5] glc
	s_waitcnt vmcnt(0) lgkmcnt(0)
	buffer_wbinvl1_vol
	v_cmp_eq_u32_e32 vcc, 0, v0
	s_and_b64 vcc, vcc, exec
	s_or_b64 s[38:39], s[38:39], vcc
	s_mov_b64 vcc, -1
	s_or_b64 s[36:37], s[36:37], exec
	s_and_saveexec_b64 s[48:49], s[38:39]
	s_cbranch_execz .LBB4_9739
.LBB4_9743:                             ;   in Loop: Header=BB4_9740 Depth=4
	s_sleep 1
	s_trap 2
	ds_read_b64 v[4:5], v0
	s_waitcnt lgkmcnt(0)
	s_andn2_b64 s[36:37], s[36:37], exec
	v_cmp_ge_u64_e32 vcc, v[4:5], v[38:39]
	s_orn2_b64 vcc, vcc, exec
	s_branch .LBB4_9739
.LBB4_9744:                             ;   in Loop: Header=BB4_9706 Depth=3
	s_or_b64 exec, exec, s[30:31]
	s_and_saveexec_b64 vcc, s[34:35]
	s_xor_b64 vcc, exec, vcc
	s_cbranch_execz .LBB4_9746
; %bb.9745:                             ;   in Loop: Header=BB4_9706 Depth=3
	v_mov_b32_e32 v0, 1
	ds_write_b32 v0, v0
	s_trap 2
.LBB4_9746:                             ;   in Loop: Header=BB4_9706 Depth=3
	s_or_b64 exec, exec, s[46:47]
	;;#ASMSTART
	s_wakeup
	;;#ASMEND
.LBB4_9747:                             ;   in Loop: Header=BB4_9706 Depth=3
	s_or_b64 exec, exec, s[44:45]
.LBB4_9748:                             ;   in Loop: Header=BB4_9706 Depth=3
	s_andn2_saveexec_b64 s[42:43], s[42:43]
	s_cbranch_execz .LBB4_9750
; %bb.9749:                             ;   in Loop: Header=BB4_9706 Depth=3
	s_waitcnt vmcnt(0) lgkmcnt(0)
	buffer_wbinvl1_vol
	s_barrier
.LBB4_9750:                             ;   in Loop: Header=BB4_9706 Depth=3
	s_or_b64 exec, exec, s[42:43]
.LBB4_9751:                             ;   in Loop: Header=BB4_9706 Depth=3
	s_or_b64 exec, exec, s[26:27]
                                        ; implicit-def: $vgpr2
	s_and_saveexec_b64 s[26:27], s[24:25]
	s_xor_b64 s[26:27], exec, s[26:27]
	s_cbranch_execz .LBB4_9755
; %bb.9752:                             ;   in Loop: Header=BB4_9706 Depth=3
	s_trap 2
	ds_read_b32 v0, v0
	v_cmp_lt_i32_e32 vcc, 0, v12
	v_and_b32_e32 v2, 16, v52
	s_waitcnt lgkmcnt(0)
	v_readfirstlane_b32 s42, v0
	s_cmp_eq_u32 s42, 0
	s_cselect_b64 s[42:43], -1, 0
	v_and_b32_e32 v0, 16, v52
	s_and_b64 s[42:43], vcc, s[42:43]
	v_cmp_ne_u32_e32 vcc, 0, v0
	s_and_b64 s[44:45], vcc, s[42:43]
	s_and_saveexec_b64 s[42:43], s[44:45]
	s_cbranch_execz .LBB4_9754
; %bb.9753:                             ;   in Loop: Header=BB4_9706 Depth=3
	v_mov_b32_e32 v2, 1
	s_waitcnt vmcnt(0)
	buffer_wbinvl1_vol
.LBB4_9754:                             ;   in Loop: Header=BB4_9706 Depth=3
	s_or_b64 exec, exec, s[42:43]
	s_andn2_saveexec_b64 s[26:27], s[26:27]
	s_cbranch_execz .LBB4_9774
	s_branch .LBB4_9756
.LBB4_9755:                             ;   in Loop: Header=BB4_9706 Depth=3
	s_andn2_saveexec_b64 s[26:27], s[26:27]
	s_cbranch_execz .LBB4_9774
.LBB4_9756:                             ;   in Loop: Header=BB4_9706 Depth=3
	s_and_saveexec_b64 s[42:43], s[72:73]
	s_xor_b64 s[42:43], exec, s[42:43]
	s_cbranch_execz .LBB4_9771
; %bb.9757:                             ;   in Loop: Header=BB4_9706 Depth=3
	s_and_saveexec_b64 s[44:45], s[16:17]
	s_cbranch_execz .LBB4_9770
; %bb.9758:                             ;   in Loop: Header=BB4_9706 Depth=3
	s_mov_b64 s[30:31], exec
	v_mbcnt_lo_u32_b32 v0, s30, 0
	v_mbcnt_hi_u32_b32 v0, s31, v0
	v_cmp_eq_u32_e32 vcc, 0, v0
	;;#ASMSTART
	s_waitcnt lgkmcnt(0) vmcnt(0)
	;;#ASMEND
	s_and_saveexec_b64 s[46:47], vcc
	s_cbranch_execz .LBB4_9760
; %bb.9759:                             ;   in Loop: Header=BB4_9706 Depth=3
	s_bcnt1_i32_b64 s57, s[30:31]
	v_mov_b32_e32 v2, s57
	s_waitcnt lgkmcnt(0)
	ds_add_u64 v0, v[2:3]
	s_trap 2
.LBB4_9760:                             ;   in Loop: Header=BB4_9706 Depth=3
	s_or_b64 exec, exec, s[46:47]
	s_trap 2
	ds_read_b64 v[4:5], v0
	s_waitcnt lgkmcnt(0)
	v_add_co_u32_e32 v38, vcc, v38, v57
	v_addc_co_u32_e32 v39, vcc, 0, v39, vcc
	v_cmp_lt_u64_e32 vcc, v[4:5], v[38:39]
	s_and_saveexec_b64 s[46:47], vcc
	s_cbranch_execz .LBB4_9769
; %bb.9761:                             ;   in Loop: Header=BB4_9706 Depth=3
	s_mov_b32 s57, 0
	s_mov_b64 s[30:31], 0
                                        ; implicit-def: $sgpr34_sgpr35
                                        ; implicit-def: $sgpr36_sgpr37
	s_branch .LBB4_9763
.LBB4_9762:                             ;   in Loop: Header=BB4_9763 Depth=4
	s_or_b64 exec, exec, s[48:49]
	s_and_b64 vcc, exec, vcc
	s_or_b64 s[30:31], vcc, s[30:31]
	s_andn2_b64 vcc, s[34:35], exec
	s_and_b64 s[34:35], s[36:37], exec
	s_or_b64 s[34:35], vcc, s[34:35]
	s_andn2_b64 exec, exec, s[30:31]
	s_cbranch_execz .LBB4_9767
.LBB4_9763:                             ;   Parent Loop BB4_47 Depth=1
                                        ;     Parent Loop BB4_9527 Depth=2
                                        ;       Parent Loop BB4_9706 Depth=3
                                        ; =>      This Inner Loop Header: Depth=4
	s_add_i32 s57, s57, 1
	s_cmpk_lg_i32 s57, 0x2710
	s_cselect_b64 s[38:39], -1, 0
	s_and_b64 vcc, exec, s[38:39]
	s_cbranch_vccz .LBB4_9765
; %bb.9764:                             ;   in Loop: Header=BB4_9763 Depth=4
	s_mov_b64 vcc, -1
	s_or_b64 s[36:37], s[36:37], exec
	s_and_saveexec_b64 s[48:49], s[38:39]
	s_cbranch_execz .LBB4_9762
	s_branch .LBB4_9766
.LBB4_9765:                             ;   in Loop: Header=BB4_9763 Depth=4
	s_trap 2
	ds_read_b64 v[4:5], v0
	s_andn2_b64 s[38:39], s[38:39], exec
	s_mov_b32 s57, 0
	s_waitcnt vmcnt(0) lgkmcnt(0)
	flat_load_dword v0, v[4:5] glc
	s_waitcnt vmcnt(0) lgkmcnt(0)
	buffer_wbinvl1_vol
	v_cmp_eq_u32_e32 vcc, 0, v0
	s_and_b64 vcc, vcc, exec
	s_or_b64 s[38:39], s[38:39], vcc
	s_mov_b64 vcc, -1
	s_or_b64 s[36:37], s[36:37], exec
	s_and_saveexec_b64 s[48:49], s[38:39]
	s_cbranch_execz .LBB4_9762
.LBB4_9766:                             ;   in Loop: Header=BB4_9763 Depth=4
	s_sleep 1
	s_trap 2
	ds_read_b64 v[4:5], v0
	s_waitcnt lgkmcnt(0)
	s_andn2_b64 s[36:37], s[36:37], exec
	v_cmp_ge_u64_e32 vcc, v[4:5], v[38:39]
	s_orn2_b64 vcc, vcc, exec
	s_branch .LBB4_9762
.LBB4_9767:                             ;   in Loop: Header=BB4_9706 Depth=3
	s_or_b64 exec, exec, s[30:31]
	s_and_saveexec_b64 vcc, s[34:35]
	s_xor_b64 vcc, exec, vcc
	s_cbranch_execz .LBB4_9769
; %bb.9768:                             ;   in Loop: Header=BB4_9706 Depth=3
	v_mov_b32_e32 v0, 1
	ds_write_b32 v0, v0
	s_trap 2
.LBB4_9769:                             ;   in Loop: Header=BB4_9706 Depth=3
	s_or_b64 exec, exec, s[46:47]
	;;#ASMSTART
	s_wakeup
	;;#ASMEND
.LBB4_9770:                             ;   in Loop: Header=BB4_9706 Depth=3
	s_or_b64 exec, exec, s[44:45]
.LBB4_9771:                             ;   in Loop: Header=BB4_9706 Depth=3
	s_andn2_saveexec_b64 s[42:43], s[42:43]
	s_cbranch_execz .LBB4_9773
; %bb.9772:                             ;   in Loop: Header=BB4_9706 Depth=3
	;;#ASMSTART
	s_waitcnt lgkmcnt(0) vmcnt(0)
	;;#ASMEND
	s_waitcnt vmcnt(0) lgkmcnt(0)
	s_barrier
.LBB4_9773:                             ;   in Loop: Header=BB4_9706 Depth=3
	s_or_b64 exec, exec, s[42:43]
	v_and_b32_e32 v2, 16, v52
.LBB4_9774:                             ;   in Loop: Header=BB4_9706 Depth=3
	s_or_b64 exec, exec, s[26:27]
	v_cmp_ne_u32_e32 vcc, 0, v2
	s_xor_b64 s[26:27], s[12:13], -1
	s_and_b64 s[42:43], vcc, s[26:27]
	s_and_saveexec_b64 s[26:27], s[42:43]
	s_cbranch_execz .LBB4_9776
; %bb.9775:                             ;   in Loop: Header=BB4_9706 Depth=3
	buffer_load_dword v4, off, s[0:3], s33 offset:104 ; 4-byte Folded Reload
	buffer_load_dword v5, off, s[0:3], s33 offset:108 ; 4-byte Folded Reload
	v_mov_b32_e32 v0, 1
	s_waitcnt vmcnt(0)
	flat_store_dword v[4:5], v0
.LBB4_9776:                             ;   in Loop: Header=BB4_9706 Depth=3
	s_or_b64 exec, exec, s[26:27]
	v_and_b32_e32 v0, 48, v52
	v_cmp_ne_u32_e32 vcc, 0, v0
	s_and_saveexec_b64 s[26:27], vcc
	s_cbranch_execz .LBB4_9705
; %bb.9777:                             ;   in Loop: Header=BB4_9706 Depth=3
	buffer_load_dword v4, off, s[0:3], s33 offset:56 ; 4-byte Folded Reload
	buffer_load_dword v5, off, s[0:3], s33 offset:60 ; 4-byte Folded Reload
	s_waitcnt vmcnt(0)
	v_add_co_u32_e32 v4, vcc, 2, v4
	v_addc_co_u32_e32 v5, vcc, 0, v5, vcc
	buffer_store_dword v4, off, s[0:3], s33 offset:56 ; 4-byte Folded Spill
	s_nop 0
	buffer_store_dword v5, off, s[0:3], s33 offset:60 ; 4-byte Folded Spill
	flat_store_dwordx2 v[32:33], v[4:5]
	s_branch .LBB4_9705
.LBB4_9778:                             ;   in Loop: Header=BB4_9527 Depth=2
	s_or_b64 exec, exec, s[44:45]
	s_or_b64 exec, exec, s[42:43]
	v_cmp_gt_i32_e32 vcc, 2, v2
	s_and_saveexec_b64 s[28:29], vcc
	s_cbranch_execnz .LBB4_9704
.LBB4_9779:                             ;   in Loop: Header=BB4_9527 Depth=2
	s_or_b64 exec, exec, s[28:29]
	s_add_i32 s26, s9, 1
	s_cmp_eq_u32 s9, s58
	s_cbranch_scc0 .LBB4_9781
	s_branch .LBB4_9782
.LBB4_9780:                             ;   in Loop: Header=BB4_9527 Depth=2
	s_or_b64 exec, exec, s[40:41]
	s_or_b64 exec, exec, s[28:29]
	s_add_i32 s26, s9, 1
	s_cmp_eq_u32 s9, s58
	s_cbranch_scc1 .LBB4_9782
.LBB4_9781:                             ;   in Loop: Header=BB4_9527 Depth=2
	s_mov_b32 s9, s26
	s_branch .LBB4_9527
.LBB4_9782:                             ;   in Loop: Header=BB4_47 Depth=1
	buffer_load_dword v4, off, s[0:3], s33 offset:224 ; 4-byte Folded Reload
	buffer_load_dword v5, off, s[0:3], s33 offset:228 ; 4-byte Folded Reload
	v_mov_b32_e32 v2, 0
	v_mov_b32_e32 v7, 0
	s_waitcnt vmcnt(0)
	v_mul_lo_u32 v1, v4, s56
	v_mul_lo_u32 v0, v5, s59
	v_mad_u64_u32 v[8:9], s[26:27], v4, s59, 0
	v_add3_u32 v9, v9, v1, v0
	buffer_load_dword v0, off, s[0:3], s33 offset:216 ; 4-byte Folded Reload
	buffer_load_dword v1, off, s[0:3], s33 offset:220 ; 4-byte Folded Reload
	s_waitcnt vmcnt(0)
	v_sub_co_u32_e32 v0, vcc, v0, v8
	v_subb_co_u32_e32 v1, vcc, v1, v9, vcc
	v_cmp_lt_i64_e32 vcc, v[4:5], v[0:1]
	v_cndmask_b32_e32 v0, v0, v4, vcc
	v_max_i32_e32 v1, 0, v0
	v_add_u32_e32 v4, 31, v1
	v_lshrrev_b32_e32 v4, 1, v4
	v_and_b32_e32 v4, 0x3ffffff0, v4
	v_cmp_lt_i32_e32 vcc, 0, v0
	v_max_i32_e32 v6, s97, v4
	s_and_b64 s[26:27], s[94:95], vcc
	s_and_saveexec_b64 s[28:29], s[26:27]
	s_cbranch_execz .LBB4_9920
; %bb.9783:                             ;   in Loop: Header=BB4_47 Depth=1
	buffer_load_dword v0, off, s[0:3], s33 offset:156 ; 4-byte Folded Reload
	s_mov_b32 s9, 1
	s_mov_b64 s[42:43], -1
	v_mov_b32_e32 v7, 0
	s_mov_b64 s[40:41], 0
	s_waitcnt vmcnt(0)
	v_add_co_u32_e32 v16, vcc, v8, v0
	buffer_load_dword v0, off, s[0:3], s33 offset:160 ; 4-byte Folded Reload
	s_waitcnt vmcnt(0)
	v_addc_co_u32_e32 v17, vcc, v9, v0, vcc
	s_branch .LBB4_9785
.LBB4_9784:                             ;   in Loop: Header=BB4_9785 Depth=2
	s_or_b64 exec, exec, s[26:27]
	v_add_u32_e32 v7, v6, v7
	v_cmp_ge_i32_e32 vcc, v7, v1
	s_xor_b64 s[26:27], s[42:43], -1
	s_or_b64 s[26:27], s[26:27], vcc
	s_and_b64 s[26:27], exec, s[26:27]
	s_or_b64 s[40:41], s[26:27], s[40:41]
	s_mov_b64 s[42:43], 0
	v_mov_b32_e32 v2, s9
	s_mov_b32 s9, 2
	s_andn2_b64 exec, exec, s[40:41]
	s_cbranch_execz .LBB4_9919
.LBB4_9785:                             ;   Parent Loop BB4_47 Depth=1
                                        ; =>  This Loop Header: Depth=2
                                        ;       Child Loop BB4_9793 Depth 3
                                        ;       Child Loop BB4_9817 Depth 3
	;; [unrolled: 1-line block ×9, first 2 shown]
	s_and_saveexec_b64 s[26:27], s[4:5]
	s_cbranch_execz .LBB4_9787
; %bb.9786:                             ;   in Loop: Header=BB4_9785 Depth=2
	s_trap 2
	ds_read_b128 v[8:11], v0
	s_waitcnt lgkmcnt(0)
	v_add_co_u32_e32 v0, vcc, v8, v16
	v_addc_co_u32_e32 v2, vcc, v9, v17, vcc
	v_ashrrev_i32_e32 v8, 31, v7
	v_add_co_u32_e32 v4, vcc, v0, v7
	v_addc_co_u32_e32 v5, vcc, v2, v8, vcc
	ds_write_b64 v0, v[4:5]
	v_add_co_u32_e32 v0, vcc, v10, v16
	v_addc_co_u32_e32 v2, vcc, v11, v17, vcc
	v_add_co_u32_e32 v0, vcc, v0, v7
	v_addc_co_u32_e32 v2, vcc, v2, v8, vcc
	v_cmp_ne_u64_e32 vcc, 0, v[10:11]
	v_cndmask_b32_e32 v5, 0, v2, vcc
	v_cndmask_b32_e32 v4, 0, v0, vcc
	ds_write_b64 v0, v[4:5]
.LBB4_9787:                             ;   in Loop: Header=BB4_9785 Depth=2
	s_or_b64 exec, exec, s[26:27]
	v_and_b32_e32 v0, 4, v52
	v_cmp_ne_u32_e32 vcc, 0, v0
	s_and_saveexec_b64 s[44:45], vcc
	s_cbranch_execz .LBB4_9809
; %bb.9788:                             ;   in Loop: Header=BB4_9785 Depth=2
	buffer_load_dword v4, off, s[0:3], s33 offset:56 ; 4-byte Folded Reload
	buffer_load_dword v5, off, s[0:3], s33 offset:60 ; 4-byte Folded Reload
	s_waitcnt vmcnt(0)
	v_add_co_u32_e32 v8, vcc, 2, v4
	v_addc_co_u32_e32 v9, vcc, 0, v5, vcc
	s_waitcnt lgkmcnt(0)
	v_cmp_lt_u64_e32 vcc, v[48:49], v[8:9]
	s_and_saveexec_b64 s[46:47], vcc
	s_cbranch_execz .LBB4_9800
; %bb.9789:                             ;   in Loop: Header=BB4_9785 Depth=2
	v_and_b32_e32 v0, 64, v52
	s_mov_b32 s57, 0
	v_cmp_eq_u32_e32 vcc, 0, v0
	s_mov_b64 s[30:31], 0
                                        ; implicit-def: $sgpr34_sgpr35
                                        ; implicit-def: $sgpr36_sgpr37
                                        ; implicit-def: $sgpr38_sgpr39
	s_branch .LBB4_9793
.LBB4_9790:                             ;   in Loop: Header=BB4_9793 Depth=3
	s_waitcnt vmcnt(0) lgkmcnt(0)
	v_cmp_ge_u64_e64 s[26:27], v[48:49], v[8:9]
	s_or_b64 s[52:53], s[52:53], exec
	s_orn2_b64 s[50:51], s[26:27], exec
.LBB4_9791:                             ;   in Loop: Header=BB4_9793 Depth=3
	s_or_b64 exec, exec, s[64:65]
	s_andn2_b64 s[26:27], s[38:39], exec
	s_and_b64 s[38:39], s[52:53], exec
	s_or_b64 s[38:39], s[26:27], s[38:39]
	s_andn2_b64 s[26:27], s[36:37], exec
	s_and_b64 s[36:37], s[50:51], exec
	s_or_b64 s[36:37], s[26:27], s[36:37]
.LBB4_9792:                             ;   in Loop: Header=BB4_9793 Depth=3
	s_or_b64 exec, exec, s[48:49]
	s_and_b64 s[26:27], exec, s[36:37]
	s_or_b64 s[30:31], s[26:27], s[30:31]
	s_andn2_b64 s[26:27], s[34:35], exec
	s_and_b64 s[34:35], s[38:39], exec
	s_or_b64 s[34:35], s[26:27], s[34:35]
	s_andn2_b64 exec, exec, s[30:31]
	s_cbranch_execz .LBB4_9797
.LBB4_9793:                             ;   Parent Loop BB4_47 Depth=1
                                        ;     Parent Loop BB4_9785 Depth=2
                                        ; =>    This Inner Loop Header: Depth=3
	s_sleep 1
	s_waitcnt vmcnt(0) lgkmcnt(0)
	flat_load_dwordx2 v[48:49], v[32:33] glc
	s_or_b64 s[38:39], s[38:39], exec
	s_or_b64 s[36:37], s[36:37], exec
                                        ; implicit-def: $vgpr2
	s_and_saveexec_b64 s[48:49], vcc
	s_cbranch_execz .LBB4_9792
; %bb.9794:                             ;   in Loop: Header=BB4_9793 Depth=3
	s_cmpk_lt_i32 s57, 0x270f
	s_cselect_b64 s[54:55], -1, 0
	s_cmpk_gt_i32 s57, 0x270e
	s_mov_b64 s[50:51], -1
	s_cbranch_scc0 .LBB4_9796
; %bb.9795:                             ;   in Loop: Header=BB4_9793 Depth=3
	s_trap 2
	ds_read_b64 v[4:5], v0
	s_andn2_b64 s[54:55], s[54:55], exec
	s_mov_b32 s57, 0
	s_mov_b64 s[52:53], 0
	s_waitcnt vmcnt(0) lgkmcnt(0)
	flat_load_dword v2, v[4:5] glc
	s_waitcnt vmcnt(0) lgkmcnt(0)
	buffer_wbinvl1_vol
	v_cmp_eq_u32_e64 s[26:27], 0, v2
	s_and_b64 s[26:27], s[26:27], exec
	s_or_b64 s[54:55], s[54:55], s[26:27]
	s_and_saveexec_b64 s[64:65], s[54:55]
	s_cbranch_execz .LBB4_9791
	s_branch .LBB4_9790
.LBB4_9796:                             ;   in Loop: Header=BB4_9793 Depth=3
	s_add_i32 s57, s57, 1
	s_mov_b64 s[52:53], -1
                                        ; implicit-def: $vgpr2
	s_and_saveexec_b64 s[64:65], s[54:55]
	s_cbranch_execz .LBB4_9791
	s_branch .LBB4_9790
.LBB4_9797:                             ;   in Loop: Header=BB4_9785 Depth=2
	s_or_b64 exec, exec, s[30:31]
	s_xor_b64 s[26:27], s[34:35], -1
	s_and_saveexec_b64 vcc, s[26:27]
	s_xor_b64 s[26:27], exec, vcc
	s_cbranch_execz .LBB4_9799
; %bb.9798:                             ;   in Loop: Header=BB4_9785 Depth=2
	v_or_b32_e32 v52, 64, v52
	s_waitcnt lgkmcnt(0)
	ds_write_b32 v0, v2
	s_trap 2
.LBB4_9799:                             ;   in Loop: Header=BB4_9785 Depth=2
	s_or_b64 exec, exec, s[26:27]
.LBB4_9800:                             ;   in Loop: Header=BB4_9785 Depth=2
	s_or_b64 exec, exec, s[46:47]
	;;#ASMSTART
	s_wakeup
	;;#ASMEND
	buffer_load_dword v4, off, s[0:3], s33 offset:56 ; 4-byte Folded Reload
	buffer_load_dword v5, off, s[0:3], s33 offset:60 ; 4-byte Folded Reload
	v_and_b32_e32 v0, 0x100, v52
	v_cmp_ne_u32_e32 vcc, 0, v0
	s_mov_b64 s[26:27], -1
                                        ; implicit-def: $vgpr10_vgpr11
	s_waitcnt vmcnt(0)
	v_and_b32_e32 v0, 7, v4
	s_and_saveexec_b64 s[46:47], vcc
	s_cbranch_execz .LBB4_9804
; %bb.9801:                             ;   in Loop: Header=BB4_9785 Depth=2
	buffer_load_dword v10, off, s[0:3], s33 offset:88 ; 4-byte Folded Reload
	buffer_load_dword v11, off, s[0:3], s33 offset:92 ; 4-byte Folded Reload
	;; [unrolled: 1-line block ×4, first 2 shown]
	s_waitcnt vmcnt(0)
	v_mad_u64_u32 v[4:5], s[26:27], v0, 24, v[10:11]
                                        ; implicit-def: $vgpr10_vgpr11
	flat_load_dword v2, v[4:5]
	s_waitcnt vmcnt(0) lgkmcnt(0)
	v_cmp_ne_u32_e32 vcc, 1, v2
	v_cmp_eq_u32_e64 s[26:27], 1, v2
	s_and_saveexec_b64 s[30:31], s[26:27]
	s_cbranch_execz .LBB4_9803
; %bb.9802:                             ;   in Loop: Header=BB4_9785 Depth=2
	flat_load_dword v10, v[4:5] offset:4 glc
	s_waitcnt vmcnt(0) lgkmcnt(0)
	v_ashrrev_i32_e32 v11, 31, v10
.LBB4_9803:                             ;   in Loop: Header=BB4_9785 Depth=2
	s_or_b64 exec, exec, s[30:31]
	s_orn2_b64 s[26:27], vcc, exec
.LBB4_9804:                             ;   in Loop: Header=BB4_9785 Depth=2
	s_or_b64 exec, exec, s[46:47]
	s_and_saveexec_b64 s[46:47], s[26:27]
	s_cbranch_execz .LBB4_9806
; %bb.9805:                             ;   in Loop: Header=BB4_9785 Depth=2
	buffer_load_dword v2, off, s[0:3], s33 offset:112 ; 4-byte Folded Reload
	s_waitcnt vmcnt(0)
	v_mad_i64_i32 v[10:11], s[26:27], v0, v2, 0
.LBB4_9806:                             ;   in Loop: Header=BB4_9785 Depth=2
	s_or_b64 exec, exec, s[46:47]
	buffer_load_dword v4, off, s[0:3], s33 offset:80 ; 4-byte Folded Reload
	buffer_load_dword v5, off, s[0:3], s33 offset:84 ; 4-byte Folded Reload
	s_waitcnt vmcnt(0)
	v_add_co_u32_e32 v4, vcc, v4, v10
	v_addc_co_u32_e32 v5, vcc, v5, v11, vcc
	ds_write_b64 v0, v[4:5] offset:720
	v_and_b32_e32 v0, 0x2000, v52
	v_cmp_ne_u32_e32 vcc, 0, v0
	s_and_saveexec_b64 s[26:27], vcc
	s_cbranch_execz .LBB4_9808
; %bb.9807:                             ;   in Loop: Header=BB4_9785 Depth=2
	ds_read_b64 v[4:5], v0 offset:872
	s_waitcnt lgkmcnt(0)
	v_add_co_u32_e32 v4, vcc, 1, v4
	v_addc_co_u32_e32 v5, vcc, 0, v5, vcc
	ds_write_b64 v0, v[4:5] offset:872
.LBB4_9808:                             ;   in Loop: Header=BB4_9785 Depth=2
	s_or_b64 exec, exec, s[26:27]
	buffer_store_dword v8, off, s[0:3], s33 offset:56 ; 4-byte Folded Spill
	s_nop 0
	buffer_store_dword v9, off, s[0:3], s33 offset:60 ; 4-byte Folded Spill
.LBB4_9809:                             ;   in Loop: Header=BB4_9785 Depth=2
	s_or_b64 exec, exec, s[44:45]
	s_and_saveexec_b64 s[26:27], s[10:11]
	s_cbranch_execz .LBB4_9828
; %bb.9810:                             ;   in Loop: Header=BB4_9785 Depth=2
	s_and_saveexec_b64 s[44:45], s[72:73]
	s_xor_b64 s[44:45], exec, s[44:45]
	s_cbranch_execz .LBB4_9825
; %bb.9811:                             ;   in Loop: Header=BB4_9785 Depth=2
	s_and_saveexec_b64 s[46:47], s[16:17]
	s_cbranch_execz .LBB4_9824
; %bb.9812:                             ;   in Loop: Header=BB4_9785 Depth=2
	s_mov_b64 s[34:35], exec
	v_mbcnt_lo_u32_b32 v0, s34, 0
	v_mbcnt_hi_u32_b32 v0, s35, v0
	v_cmp_eq_u32_e32 vcc, 0, v0
	s_waitcnt vmcnt(0) lgkmcnt(0)
	buffer_wbinvl1_vol
	s_and_saveexec_b64 s[30:31], vcc
	s_cbranch_execz .LBB4_9814
; %bb.9813:                             ;   in Loop: Header=BB4_9785 Depth=2
	s_bcnt1_i32_b64 s57, s[34:35]
	v_mov_b32_e32 v2, s57
	ds_add_u64 v0, v[2:3]
	s_trap 2
.LBB4_9814:                             ;   in Loop: Header=BB4_9785 Depth=2
	s_or_b64 exec, exec, s[30:31]
	s_trap 2
	ds_read_b64 v[4:5], v0
	s_waitcnt lgkmcnt(0)
	v_add_co_u32_e32 v38, vcc, v38, v57
	v_addc_co_u32_e32 v39, vcc, 0, v39, vcc
	v_cmp_lt_u64_e32 vcc, v[4:5], v[38:39]
	s_and_saveexec_b64 s[30:31], vcc
	s_cbranch_execz .LBB4_9823
; %bb.9815:                             ;   in Loop: Header=BB4_9785 Depth=2
	s_mov_b32 s57, 0
	s_mov_b64 s[34:35], 0
                                        ; implicit-def: $sgpr36_sgpr37
                                        ; implicit-def: $sgpr38_sgpr39
	s_branch .LBB4_9817
.LBB4_9816:                             ;   in Loop: Header=BB4_9817 Depth=3
	s_or_b64 exec, exec, s[50:51]
	s_and_b64 vcc, exec, vcc
	s_or_b64 s[34:35], vcc, s[34:35]
	s_andn2_b64 vcc, s[36:37], exec
	s_and_b64 s[36:37], s[38:39], exec
	s_or_b64 s[36:37], vcc, s[36:37]
	s_andn2_b64 exec, exec, s[34:35]
	s_cbranch_execz .LBB4_9821
.LBB4_9817:                             ;   Parent Loop BB4_47 Depth=1
                                        ;     Parent Loop BB4_9785 Depth=2
                                        ; =>    This Inner Loop Header: Depth=3
	s_add_i32 s57, s57, 1
	s_cmpk_lg_i32 s57, 0x2710
	s_cselect_b64 s[48:49], -1, 0
	s_and_b64 vcc, exec, s[48:49]
	s_cbranch_vccz .LBB4_9819
; %bb.9818:                             ;   in Loop: Header=BB4_9817 Depth=3
	s_mov_b64 vcc, -1
	s_or_b64 s[38:39], s[38:39], exec
	s_and_saveexec_b64 s[50:51], s[48:49]
	s_cbranch_execz .LBB4_9816
	s_branch .LBB4_9820
.LBB4_9819:                             ;   in Loop: Header=BB4_9817 Depth=3
	s_trap 2
	ds_read_b64 v[4:5], v0
	s_andn2_b64 s[48:49], s[48:49], exec
	s_mov_b32 s57, 0
	s_waitcnt lgkmcnt(0)
	flat_load_dword v0, v[4:5] glc
	s_waitcnt vmcnt(0) lgkmcnt(0)
	buffer_wbinvl1_vol
	v_cmp_eq_u32_e32 vcc, 0, v0
	s_and_b64 vcc, vcc, exec
	s_or_b64 s[48:49], s[48:49], vcc
	s_mov_b64 vcc, -1
	s_or_b64 s[38:39], s[38:39], exec
	s_and_saveexec_b64 s[50:51], s[48:49]
	s_cbranch_execz .LBB4_9816
.LBB4_9820:                             ;   in Loop: Header=BB4_9817 Depth=3
	s_sleep 1
	s_trap 2
	ds_read_b64 v[4:5], v0
	s_waitcnt lgkmcnt(0)
	s_andn2_b64 s[38:39], s[38:39], exec
	v_cmp_ge_u64_e32 vcc, v[4:5], v[38:39]
	s_orn2_b64 vcc, vcc, exec
	s_branch .LBB4_9816
.LBB4_9821:                             ;   in Loop: Header=BB4_9785 Depth=2
	s_or_b64 exec, exec, s[34:35]
	s_and_saveexec_b64 vcc, s[36:37]
	s_xor_b64 vcc, exec, vcc
	s_cbranch_execz .LBB4_9823
; %bb.9822:                             ;   in Loop: Header=BB4_9785 Depth=2
	v_mov_b32_e32 v0, 1
	ds_write_b32 v0, v0
	s_trap 2
.LBB4_9823:                             ;   in Loop: Header=BB4_9785 Depth=2
	s_or_b64 exec, exec, s[30:31]
	;;#ASMSTART
	s_wakeup
	;;#ASMEND
.LBB4_9824:                             ;   in Loop: Header=BB4_9785 Depth=2
	s_or_b64 exec, exec, s[46:47]
.LBB4_9825:                             ;   in Loop: Header=BB4_9785 Depth=2
	s_andn2_saveexec_b64 s[44:45], s[44:45]
	s_cbranch_execz .LBB4_9827
; %bb.9826:                             ;   in Loop: Header=BB4_9785 Depth=2
	s_waitcnt vmcnt(0) lgkmcnt(0)
	buffer_wbinvl1_vol
	s_barrier
.LBB4_9827:                             ;   in Loop: Header=BB4_9785 Depth=2
	s_or_b64 exec, exec, s[44:45]
.LBB4_9828:                             ;   in Loop: Header=BB4_9785 Depth=2
	s_or_b64 exec, exec, s[26:27]
	s_trap 2
	ds_read_b32 v4, v0
	v_and_b32_e32 v0, 0x4000, v52
	v_cmp_ne_u32_e32 vcc, 0, v0
	s_xor_b64 s[26:27], s[6:7], -1
	s_and_b64 s[44:45], s[26:27], vcc
	s_and_saveexec_b64 s[26:27], s[44:45]
	s_cbranch_execz .LBB4_9847
; %bb.9829:                             ;   in Loop: Header=BB4_9785 Depth=2
	s_and_saveexec_b64 s[44:45], s[72:73]
	s_xor_b64 s[44:45], exec, s[44:45]
	s_cbranch_execz .LBB4_9844
; %bb.9830:                             ;   in Loop: Header=BB4_9785 Depth=2
	s_and_saveexec_b64 s[46:47], s[16:17]
	s_cbranch_execz .LBB4_9843
; %bb.9831:                             ;   in Loop: Header=BB4_9785 Depth=2
	s_mov_b64 s[34:35], exec
	v_mbcnt_lo_u32_b32 v0, s34, 0
	v_mbcnt_hi_u32_b32 v0, s35, v0
	v_cmp_eq_u32_e32 vcc, 0, v0
	s_waitcnt vmcnt(0) lgkmcnt(0)
	buffer_wbinvl1_vol
	s_and_saveexec_b64 s[30:31], vcc
	s_cbranch_execz .LBB4_9833
; %bb.9832:                             ;   in Loop: Header=BB4_9785 Depth=2
	s_bcnt1_i32_b64 s57, s[34:35]
	v_mov_b32_e32 v2, s57
	ds_add_u64 v0, v[2:3]
	s_trap 2
.LBB4_9833:                             ;   in Loop: Header=BB4_9785 Depth=2
	s_or_b64 exec, exec, s[30:31]
	s_trap 2
	ds_read_b64 v[8:9], v0
	s_waitcnt lgkmcnt(0)
	v_add_co_u32_e32 v38, vcc, v38, v57
	v_addc_co_u32_e32 v39, vcc, 0, v39, vcc
	v_cmp_lt_u64_e32 vcc, v[8:9], v[38:39]
	s_and_saveexec_b64 s[30:31], vcc
	s_cbranch_execz .LBB4_9842
; %bb.9834:                             ;   in Loop: Header=BB4_9785 Depth=2
	s_mov_b32 s57, 0
	s_mov_b64 s[34:35], 0
                                        ; implicit-def: $sgpr36_sgpr37
                                        ; implicit-def: $sgpr38_sgpr39
	s_branch .LBB4_9836
.LBB4_9835:                             ;   in Loop: Header=BB4_9836 Depth=3
	s_or_b64 exec, exec, s[50:51]
	s_and_b64 vcc, exec, vcc
	s_or_b64 s[34:35], vcc, s[34:35]
	s_andn2_b64 vcc, s[36:37], exec
	s_and_b64 s[36:37], s[38:39], exec
	s_or_b64 s[36:37], vcc, s[36:37]
	s_andn2_b64 exec, exec, s[34:35]
	s_cbranch_execz .LBB4_9840
.LBB4_9836:                             ;   Parent Loop BB4_47 Depth=1
                                        ;     Parent Loop BB4_9785 Depth=2
                                        ; =>    This Inner Loop Header: Depth=3
	s_add_i32 s57, s57, 1
	s_cmpk_lg_i32 s57, 0x2710
	s_cselect_b64 s[48:49], -1, 0
	s_and_b64 vcc, exec, s[48:49]
	s_cbranch_vccz .LBB4_9838
; %bb.9837:                             ;   in Loop: Header=BB4_9836 Depth=3
	s_mov_b64 vcc, -1
	s_or_b64 s[38:39], s[38:39], exec
	s_and_saveexec_b64 s[50:51], s[48:49]
	s_cbranch_execz .LBB4_9835
	s_branch .LBB4_9839
.LBB4_9838:                             ;   in Loop: Header=BB4_9836 Depth=3
	s_trap 2
	ds_read_b64 v[8:9], v0
	s_andn2_b64 s[48:49], s[48:49], exec
	s_mov_b32 s57, 0
	s_waitcnt lgkmcnt(0)
	flat_load_dword v0, v[8:9] glc
	s_waitcnt vmcnt(0) lgkmcnt(0)
	buffer_wbinvl1_vol
	v_cmp_eq_u32_e32 vcc, 0, v0
	s_and_b64 vcc, vcc, exec
	s_or_b64 s[48:49], s[48:49], vcc
	s_mov_b64 vcc, -1
	s_or_b64 s[38:39], s[38:39], exec
	s_and_saveexec_b64 s[50:51], s[48:49]
	s_cbranch_execz .LBB4_9835
.LBB4_9839:                             ;   in Loop: Header=BB4_9836 Depth=3
	s_sleep 1
	s_trap 2
	ds_read_b64 v[8:9], v0
	s_waitcnt lgkmcnt(0)
	s_andn2_b64 s[38:39], s[38:39], exec
	v_cmp_ge_u64_e32 vcc, v[8:9], v[38:39]
	s_orn2_b64 vcc, vcc, exec
	s_branch .LBB4_9835
.LBB4_9840:                             ;   in Loop: Header=BB4_9785 Depth=2
	s_or_b64 exec, exec, s[34:35]
	s_and_saveexec_b64 vcc, s[36:37]
	s_xor_b64 vcc, exec, vcc
	s_cbranch_execz .LBB4_9842
; %bb.9841:                             ;   in Loop: Header=BB4_9785 Depth=2
	v_mov_b32_e32 v0, 1
	ds_write_b32 v0, v0
	s_trap 2
.LBB4_9842:                             ;   in Loop: Header=BB4_9785 Depth=2
	s_or_b64 exec, exec, s[30:31]
	;;#ASMSTART
	s_wakeup
	;;#ASMEND
.LBB4_9843:                             ;   in Loop: Header=BB4_9785 Depth=2
	s_or_b64 exec, exec, s[46:47]
.LBB4_9844:                             ;   in Loop: Header=BB4_9785 Depth=2
	s_andn2_saveexec_b64 s[44:45], s[44:45]
	s_cbranch_execz .LBB4_9846
; %bb.9845:                             ;   in Loop: Header=BB4_9785 Depth=2
	s_waitcnt vmcnt(0) lgkmcnt(0)
	buffer_wbinvl1_vol
	s_barrier
.LBB4_9846:                             ;   in Loop: Header=BB4_9785 Depth=2
	s_or_b64 exec, exec, s[44:45]
.LBB4_9847:                             ;   in Loop: Header=BB4_9785 Depth=2
	s_or_b64 exec, exec, s[26:27]
	v_sub_u32_e32 v0, v1, v7
	s_trap 2
	ds_read_b64 v[8:9], v0
	v_min_i32_e32 v6, v6, v0
	s_waitcnt lgkmcnt(0)
	v_cmp_eq_u64_e32 vcc, 0, v[8:9]
	s_cbranch_vccnz .LBB4_9855
; %bb.9848:                             ;   in Loop: Header=BB4_9785 Depth=2
	s_trap 2
	ds_read_b64 v[10:11], v0
	s_waitcnt lgkmcnt(0)
	v_cmp_eq_u64_e32 vcc, 0, v[10:11]
	s_cbranch_vccnz .LBB4_9855
; %bb.9849:                             ;   in Loop: Header=BB4_9785 Depth=2
	s_mov_b64 s[26:27], -1
	s_and_saveexec_b64 s[44:45], s[20:21]
	s_cbranch_execz .LBB4_9851
; %bb.9850:                             ;   in Loop: Header=BB4_9785 Depth=2
	ds_read_b32 v0, v0 offset:720
	s_waitcnt lgkmcnt(0)
	v_and_b32_e32 v0, 15, v0
	v_cmp_eq_u32_e32 vcc, 0, v0
	s_orn2_b64 s[26:27], vcc, exec
.LBB4_9851:                             ;   in Loop: Header=BB4_9785 Depth=2
	s_or_b64 exec, exec, s[44:45]
	s_and_saveexec_b64 s[44:45], s[18:19]
	s_cbranch_execz .LBB4_9853
; %bb.9852:                             ;   in Loop: Header=BB4_9785 Depth=2
	ds_read_b32 v0, v0 offset:784
	s_waitcnt lgkmcnt(0)
	v_and_b32_e32 v0, 15, v0
	v_cmp_eq_u32_e32 vcc, 0, v0
	s_and_b64 s[46:47], s[26:27], vcc
	s_andn2_b64 s[26:27], s[26:27], exec
	s_and_b64 s[46:47], s[46:47], exec
	s_or_b64 s[26:27], s[26:27], s[46:47]
.LBB4_9853:                             ;   in Loop: Header=BB4_9785 Depth=2
	s_or_b64 exec, exec, s[44:45]
	buffer_load_dword v12, off, s[0:3], s33 offset:136 ; 4-byte Folded Reload
	v_cmp_eq_u32_e32 vcc, 0, v4
	s_xor_b64 s[26:27], s[26:27], -1
	v_cndmask_b32_e32 v2, 0, v6, vcc
	v_cndmask_b32_e64 v0, 0, 1, s[26:27]
	s_mov_b64 s[46:47], -1
	v_cmp_ne_u32_e32 vcc, 0, v0
	v_mov_b32_e32 v4, 0
	v_mov_b32_e32 v5, v2
	s_cbranch_vccz .LBB4_9860
; %bb.9854:                             ;   in Loop: Header=BB4_9785 Depth=2
	s_and_saveexec_b64 s[26:27], s[46:47]
	s_cbranch_execnz .LBB4_9871
	s_branch .LBB4_9879
.LBB4_9855:                             ;   in Loop: Header=BB4_9785 Depth=2
	s_mov_b64 s[26:27], 0
	s_and_saveexec_b64 s[44:45], s[10:11]
	s_cbranch_execnz .LBB4_9880
.LBB4_9856:                             ;   in Loop: Header=BB4_9785 Depth=2
	s_or_b64 exec, exec, s[44:45]
	s_and_saveexec_b64 s[44:45], s[24:25]
	s_xor_b64 s[44:45], exec, s[44:45]
	s_cbranch_execz .LBB4_9898
.LBB4_9857:                             ;   in Loop: Header=BB4_9785 Depth=2
	s_waitcnt vmcnt(0)
	v_and_b32_e32 v0, 16, v52
	v_cmp_ne_u32_e32 vcc, 0, v0
	s_and_b64 s[46:47], vcc, s[26:27]
	s_and_saveexec_b64 s[26:27], s[46:47]
	s_cbranch_execz .LBB4_9859
; %bb.9858:                             ;   in Loop: Header=BB4_9785 Depth=2
	s_waitcnt lgkmcnt(0)
	buffer_wbinvl1_vol
.LBB4_9859:                             ;   in Loop: Header=BB4_9785 Depth=2
	s_or_b64 exec, exec, s[26:27]
	s_andn2_saveexec_b64 s[26:27], s[44:45]
	s_cbranch_execz .LBB4_9917
	s_branch .LBB4_9899
.LBB4_9860:                             ;   in Loop: Header=BB4_9785 Depth=2
	v_ashrrev_i32_e32 v0, 31, v2
	v_lshrrev_b32_e32 v0, 20, v0
	v_add_u32_e32 v0, v2, v0
	v_ashrrev_i32_e32 v4, 12, v0
	buffer_load_dword v0, off, s[0:3], s33 offset:184 ; 4-byte Folded Reload
	s_waitcnt vmcnt(0)
	v_sub_u32_e32 v18, v4, v0
	v_cmp_lt_i32_e32 vcc, 0, v18
	s_mov_b64 s[26:27], exec
	buffer_load_dword v0, off, s[0:3], s33 offset:236 ; 4-byte Folded Reload
	s_and_b64 s[44:45], s[26:27], vcc
	s_mov_b64 exec, s[44:45]
	s_cbranch_execz .LBB4_9864
; %bb.9861:                             ;   in Loop: Header=BB4_9785 Depth=2
	buffer_load_dword v5, off, s[0:3], s33 offset:240 ; 4-byte Folded Reload
	v_mov_b32_e32 v13, v11
	v_mov_b32_e32 v15, v9
	s_mov_b64 s[44:45], 0
	v_mov_b32_e32 v12, v10
	v_mov_b32_e32 v14, v8
.LBB4_9862:                             ;   Parent Loop BB4_47 Depth=1
                                        ;     Parent Loop BB4_9785 Depth=2
                                        ; =>    This Inner Loop Header: Depth=3
	s_waitcnt vmcnt(0)
	v_add_co_u32_e32 v34, vcc, v5, v14
	v_addc_co_u32_e32 v35, vcc, 0, v15, vcc
	global_load_dwordx4 v[19:22], v[34:35], off glc slc
	global_load_dwordx4 v[23:26], v[34:35], off offset:1024 glc slc
	global_load_dwordx4 v[27:30], v[34:35], off offset:2048 glc slc
	s_nop 0
	global_load_dwordx4 v[34:37], v[34:35], off offset:3072 glc slc
	v_add_co_u32_e32 v50, vcc, v5, v12
	v_addc_co_u32_e32 v51, vcc, 0, v13, vcc
	v_add_co_u32_e32 v14, vcc, v14, v0
	v_addc_co_u32_e32 v15, vcc, 0, v15, vcc
	v_add_co_u32_e32 v12, vcc, v12, v0
	v_sub_u32_e32 v18, v18, v57
	v_addc_co_u32_e32 v13, vcc, 0, v13, vcc
	v_cmp_gt_i32_e32 vcc, 1, v18
	s_or_b64 s[44:45], vcc, s[44:45]
	s_waitcnt vmcnt(3)
	global_store_dwordx4 v[50:51], v[19:22], off glc slc
	s_waitcnt vmcnt(3)
	global_store_dwordx4 v[50:51], v[23:26], off offset:1024 glc slc
	s_waitcnt vmcnt(3)
	global_store_dwordx4 v[50:51], v[27:30], off offset:2048 glc slc
	;; [unrolled: 2-line block ×3, first 2 shown]
	s_andn2_b64 exec, exec, s[44:45]
	s_cbranch_execnz .LBB4_9862
; %bb.9863:                             ;   in Loop: Header=BB4_9785 Depth=2
	s_or_b64 exec, exec, s[44:45]
	buffer_load_dword v30, off, s[0:3], s33 offset:64 ; 4-byte Folded Reload
.LBB4_9864:                             ;   in Loop: Header=BB4_9785 Depth=2
	s_or_b64 exec, exec, s[26:27]
	v_lshlrev_b32_e32 v13, 12, v4
	v_cmp_ne_u32_e32 vcc, v2, v13
	s_mov_b64 s[46:47], 0
	v_mov_b32_e32 v4, 0
                                        ; implicit-def: $vgpr5
                                        ; implicit-def: $vgpr12
	s_and_saveexec_b64 s[44:45], vcc
	s_cbranch_execz .LBB4_9870
; %bb.9865:                             ;   in Loop: Header=BB4_9785 Depth=2
	buffer_load_dword v4, off, s[0:3], s33 offset:196 ; 4-byte Folded Reload
	s_waitcnt vmcnt(1)
	v_lshlrev_b32_e32 v0, 6, v18
	v_sub_u32_e32 v5, v2, v13
	s_waitcnt vmcnt(0)
	v_sub_u32_e32 v0, v4, v0
	v_ashrrev_i32_e32 v4, 31, v0
	v_lshrrev_b32_e32 v4, 26, v4
	v_add_u32_e32 v4, v0, v4
	v_ashrrev_i32_e32 v14, 6, v4
	v_and_b32_e32 v4, 0xffffffc0, v4
	v_sub_u32_e32 v12, v0, v4
	v_ashrrev_i32_e32 v4, 31, v5
	v_lshrrev_b32_e32 v4, 22, v4
	v_lshlrev_b32_e32 v0, 4, v12
	v_add_u32_e32 v4, v5, v4
	v_lshl_add_u32 v0, v14, 10, v0
	v_ashrrev_i32_e32 v18, 10, v4
	v_and_b32_e32 v4, 0xfffffc00, v4
	v_sub_u32_e32 v15, v5, v0
	v_sub_u32_e32 v5, v5, v4
	v_cmp_lt_i32_e32 vcc, 15, v5
	v_addc_co_u32_e64 v18, s[26:27], 0, v18, vcc
	v_sub_u32_e32 v14, v18, v14
	v_cmp_lt_i32_e64 s[26:27], 15, v15
	s_and_saveexec_b64 s[46:47], s[26:27]
	s_cbranch_execz .LBB4_9869
; %bb.9866:                             ;   in Loop: Header=BB4_9785 Depth=2
	v_add_u32_e32 v18, v0, v13
	v_ashrrev_i32_e32 v0, 31, v18
	s_mov_b64 s[30:31], 0
.LBB4_9867:                             ;   Parent Loop BB4_47 Depth=1
                                        ;     Parent Loop BB4_9785 Depth=2
                                        ; =>    This Inner Loop Header: Depth=3
	v_add_co_u32_e64 v19, s[26:27], v8, v18
	v_addc_co_u32_e64 v20, s[26:27], v9, v0, s[26:27]
	global_load_dwordx4 v[19:22], v[19:20], off glc slc
	v_add_co_u32_e64 v23, s[26:27], v10, v18
	v_addc_co_u32_e64 v24, s[26:27], v11, v0, s[26:27]
	v_add_co_u32_e64 v18, s[26:27], v18, v30
	v_sub_u32_e32 v15, v15, v30
	v_addc_co_u32_e64 v0, s[26:27], 0, v0, s[26:27]
	v_cmp_gt_i32_e64 s[26:27], 16, v15
	v_sub_u32_e32 v14, v14, v57
	s_or_b64 s[30:31], s[26:27], s[30:31]
	s_waitcnt vmcnt(0)
	global_store_dwordx4 v[23:24], v[19:22], off glc slc
	s_andn2_b64 exec, exec, s[30:31]
	s_cbranch_execnz .LBB4_9867
; %bb.9868:                             ;   in Loop: Header=BB4_9785 Depth=2
	s_or_b64 exec, exec, s[30:31]
.LBB4_9869:                             ;   in Loop: Header=BB4_9785 Depth=2
	s_or_b64 exec, exec, s[46:47]
	v_and_b32_e32 v0, 15, v2
	v_sub_u32_e32 v15, v5, v0
	v_cndmask_b32_e32 v15, 0, v15, vcc
	v_cndmask_b32_e32 v5, v5, v0, vcc
	v_cmp_lt_i32_e32 vcc, 0, v14
	v_cndmask_b32_e32 v0, 0, v57, vcc
	v_sub_u32_e32 v0, v0, v14
	v_cmp_ne_u32_e32 vcc, 0, v5
	v_add3_u32 v4, v4, v13, v15
	v_lshl_add_u32 v12, v0, 6, v12
	s_and_b64 s[46:47], vcc, exec
.LBB4_9870:                             ;   in Loop: Header=BB4_9785 Depth=2
	s_or_b64 exec, exec, s[44:45]
	s_and_saveexec_b64 s[26:27], s[46:47]
	s_cbranch_execz .LBB4_9879
.LBB4_9871:                             ;   in Loop: Header=BB4_9785 Depth=2
	s_waitcnt vmcnt(0)
	v_ashrrev_i32_e32 v0, 31, v12
	v_ashrrev_i32_e32 v14, 31, v5
	v_lshrrev_b32_e32 v0, 26, v0
	v_lshrrev_b32_e32 v14, 22, v14
	v_add_u32_e32 v0, v12, v0
	v_add_u32_e32 v14, v5, v14
	v_ashrrev_i32_e32 v13, 6, v0
	v_ashrrev_i32_e32 v15, 10, v14
	v_sub_u32_e32 v14, v15, v13
	v_cmp_lt_i32_e32 vcc, 0, v14
	s_and_saveexec_b64 s[44:45], vcc
	s_cbranch_execz .LBB4_9875
; %bb.9872:                             ;   in Loop: Header=BB4_9785 Depth=2
	v_and_b32_e32 v0, 0xffffffc0, v0
	v_sub_u32_e32 v0, v12, v0
	v_lshlrev_b32_e32 v18, 10, v13
	v_add3_u32 v18, v4, v0, v18
	v_ashrrev_i32_e32 v19, 31, v18
	s_mov_b64 s[46:47], 0
	v_mov_b32_e32 v51, v30
.LBB4_9873:                             ;   Parent Loop BB4_47 Depth=1
                                        ;     Parent Loop BB4_9785 Depth=2
                                        ; =>    This Inner Loop Header: Depth=3
	v_add_co_u32_e32 v20, vcc, v18, v8
	v_addc_co_u32_e32 v21, vcc, v19, v9, vcc
	flat_load_ubyte v0, v[20:21] glc slc
	flat_load_ubyte v22, v[20:21] offset:64 glc slc
	flat_load_ubyte v23, v[20:21] offset:128 glc slc
	flat_load_ubyte v24, v[20:21] offset:192 glc slc
	flat_load_ubyte v25, v[20:21] offset:256 glc slc
	flat_load_ubyte v26, v[20:21] offset:320 glc slc
	flat_load_ubyte v27, v[20:21] offset:384 glc slc
	flat_load_ubyte v28, v[20:21] offset:448 glc slc
	flat_load_ubyte v29, v[20:21] offset:512 glc slc
	flat_load_ubyte v30, v[20:21] offset:576 glc slc
	flat_load_ubyte v31, v[20:21] offset:640 glc slc
	flat_load_ubyte v34, v[20:21] offset:704 glc slc
	flat_load_ubyte v35, v[20:21] offset:768 glc slc
	flat_load_ubyte v36, v[20:21] offset:832 glc slc
	flat_load_ubyte v37, v[20:21] offset:896 glc slc
	flat_load_ubyte v50, v[20:21] offset:960 glc slc
	v_add_co_u32_e32 v20, vcc, v18, v10
	v_addc_co_u32_e32 v21, vcc, v19, v11, vcc
	v_add_co_u32_e32 v8, vcc, v8, v51
	v_addc_co_u32_e32 v9, vcc, 0, v9, vcc
	v_add_co_u32_e32 v10, vcc, v10, v51
	v_sub_u32_e32 v14, v14, v57
	v_addc_co_u32_e32 v11, vcc, 0, v11, vcc
	v_cmp_gt_i32_e32 vcc, 1, v14
	s_or_b64 s[46:47], vcc, s[46:47]
	s_waitcnt vmcnt(0) lgkmcnt(0)
	flat_store_byte v[20:21], v0 glc slc
	flat_store_byte v[20:21], v22 offset:64 glc slc
	flat_store_byte v[20:21], v23 offset:128 glc slc
	;; [unrolled: 1-line block ×15, first 2 shown]
	s_andn2_b64 exec, exec, s[46:47]
	s_cbranch_execnz .LBB4_9873
; %bb.9874:                             ;   in Loop: Header=BB4_9785 Depth=2
	s_or_b64 exec, exec, s[46:47]
	v_mov_b32_e32 v30, v51
.LBB4_9875:                             ;   in Loop: Header=BB4_9785 Depth=2
	s_or_b64 exec, exec, s[44:45]
	v_lshlrev_b32_e32 v0, 10, v15
	buffer_load_dword v15, off, s[0:3], s33 offset:72 ; 4-byte Folded Reload
	v_cmp_ne_u32_e32 vcc, v5, v0
	s_and_b64 s[44:45], exec, vcc
	s_mov_b64 exec, s[44:45]
	s_cbranch_execz .LBB4_9879
; %bb.9876:                             ;   in Loop: Header=BB4_9785 Depth=2
	v_lshlrev_b32_e32 v8, 6, v13
	v_sub_u32_e32 v8, v12, v8
	v_lshlrev_b32_e32 v9, 6, v14
	v_sub_u32_e32 v8, v8, v9
	v_add_u32_e32 v0, v0, v8
	v_sub_u32_e32 v5, v5, v0
	v_cmp_lt_i32_e32 vcc, 0, v5
	s_and_b64 exec, exec, vcc
	s_cbranch_execz .LBB4_9879
; %bb.9877:                             ;   in Loop: Header=BB4_9785 Depth=2
	v_add_u32_e32 v0, v0, v4
	s_trap 2
	ds_read_b64 v[8:9], v0
	v_ashrrev_i32_e32 v4, 31, v0
	s_mov_b64 s[44:45], 0
.LBB4_9878:                             ;   Parent Loop BB4_47 Depth=1
                                        ;     Parent Loop BB4_9785 Depth=2
                                        ; =>    This Inner Loop Header: Depth=3
	s_waitcnt lgkmcnt(0)
	v_add_co_u32_e32 v10, vcc, v8, v0
	v_addc_co_u32_e32 v11, vcc, v9, v4, vcc
	flat_load_ubyte v12, v[10:11] glc slc
	s_waitcnt vmcnt(0)
	v_add_co_u32_e32 v0, vcc, v0, v15
	v_sub_u32_e32 v5, v5, v15
	v_addc_co_u32_e32 v4, vcc, 0, v4, vcc
	v_cmp_gt_i32_e32 vcc, 1, v5
	s_or_b64 s[44:45], vcc, s[44:45]
	s_waitcnt lgkmcnt(0)
	flat_store_byte v[10:11], v12 glc slc
	s_andn2_b64 exec, exec, s[44:45]
	s_cbranch_execnz .LBB4_9878
.LBB4_9879:                             ;   in Loop: Header=BB4_9785 Depth=2
	s_or_b64 exec, exec, s[26:27]
	v_cmp_lt_i32_e64 s[26:27], 0, v2
	s_and_saveexec_b64 s[44:45], s[10:11]
	s_cbranch_execz .LBB4_9856
.LBB4_9880:                             ;   in Loop: Header=BB4_9785 Depth=2
	s_and_saveexec_b64 s[46:47], s[72:73]
	s_xor_b64 s[46:47], exec, s[46:47]
	s_cbranch_execz .LBB4_9895
; %bb.9881:                             ;   in Loop: Header=BB4_9785 Depth=2
	s_and_saveexec_b64 s[30:31], s[16:17]
	s_cbranch_execz .LBB4_9894
; %bb.9882:                             ;   in Loop: Header=BB4_9785 Depth=2
	s_mov_b64 s[36:37], exec
	s_waitcnt vmcnt(0)
	v_mbcnt_lo_u32_b32 v0, s36, 0
	v_mbcnt_hi_u32_b32 v0, s37, v0
	v_cmp_eq_u32_e32 vcc, 0, v0
	s_waitcnt lgkmcnt(0)
	buffer_wbinvl1_vol
	s_and_saveexec_b64 s[34:35], vcc
	s_cbranch_execz .LBB4_9884
; %bb.9883:                             ;   in Loop: Header=BB4_9785 Depth=2
	s_bcnt1_i32_b64 s57, s[36:37]
	v_mov_b32_e32 v2, s57
	ds_add_u64 v0, v[2:3]
	s_trap 2
.LBB4_9884:                             ;   in Loop: Header=BB4_9785 Depth=2
	s_or_b64 exec, exec, s[34:35]
	s_trap 2
	ds_read_b64 v[4:5], v0
	s_waitcnt lgkmcnt(0)
	v_add_co_u32_e32 v38, vcc, v38, v57
	v_addc_co_u32_e32 v39, vcc, 0, v39, vcc
	v_cmp_lt_u64_e32 vcc, v[4:5], v[38:39]
	s_and_saveexec_b64 s[34:35], vcc
	s_cbranch_execz .LBB4_9893
; %bb.9885:                             ;   in Loop: Header=BB4_9785 Depth=2
	s_mov_b32 s57, 0
	s_mov_b64 s[36:37], 0
                                        ; implicit-def: $sgpr38_sgpr39
                                        ; implicit-def: $sgpr48_sgpr49
	s_branch .LBB4_9887
.LBB4_9886:                             ;   in Loop: Header=BB4_9887 Depth=3
	s_or_b64 exec, exec, s[52:53]
	s_and_b64 vcc, exec, vcc
	s_or_b64 s[36:37], vcc, s[36:37]
	s_andn2_b64 vcc, s[38:39], exec
	s_and_b64 s[38:39], s[48:49], exec
	s_or_b64 s[38:39], vcc, s[38:39]
	s_andn2_b64 exec, exec, s[36:37]
	s_cbranch_execz .LBB4_9891
.LBB4_9887:                             ;   Parent Loop BB4_47 Depth=1
                                        ;     Parent Loop BB4_9785 Depth=2
                                        ; =>    This Inner Loop Header: Depth=3
	s_add_i32 s57, s57, 1
	s_cmpk_lg_i32 s57, 0x2710
	s_cselect_b64 s[50:51], -1, 0
	s_and_b64 vcc, exec, s[50:51]
	s_cbranch_vccz .LBB4_9889
; %bb.9888:                             ;   in Loop: Header=BB4_9887 Depth=3
	s_mov_b64 vcc, -1
	s_or_b64 s[48:49], s[48:49], exec
	s_and_saveexec_b64 s[52:53], s[50:51]
	s_cbranch_execz .LBB4_9886
	s_branch .LBB4_9890
.LBB4_9889:                             ;   in Loop: Header=BB4_9887 Depth=3
	s_trap 2
	ds_read_b64 v[4:5], v0
	s_andn2_b64 s[50:51], s[50:51], exec
	s_mov_b32 s57, 0
	s_waitcnt lgkmcnt(0)
	flat_load_dword v0, v[4:5] glc
	s_waitcnt vmcnt(0) lgkmcnt(0)
	buffer_wbinvl1_vol
	v_cmp_eq_u32_e32 vcc, 0, v0
	s_and_b64 vcc, vcc, exec
	s_or_b64 s[50:51], s[50:51], vcc
	s_mov_b64 vcc, -1
	s_or_b64 s[48:49], s[48:49], exec
	s_and_saveexec_b64 s[52:53], s[50:51]
	s_cbranch_execz .LBB4_9886
.LBB4_9890:                             ;   in Loop: Header=BB4_9887 Depth=3
	s_sleep 1
	s_trap 2
	ds_read_b64 v[4:5], v0
	s_waitcnt lgkmcnt(0)
	s_andn2_b64 s[48:49], s[48:49], exec
	v_cmp_ge_u64_e32 vcc, v[4:5], v[38:39]
	s_orn2_b64 vcc, vcc, exec
	s_branch .LBB4_9886
.LBB4_9891:                             ;   in Loop: Header=BB4_9785 Depth=2
	s_or_b64 exec, exec, s[36:37]
	s_and_saveexec_b64 vcc, s[38:39]
	s_xor_b64 vcc, exec, vcc
	s_cbranch_execz .LBB4_9893
; %bb.9892:                             ;   in Loop: Header=BB4_9785 Depth=2
	v_mov_b32_e32 v0, 1
	ds_write_b32 v0, v0
	s_trap 2
.LBB4_9893:                             ;   in Loop: Header=BB4_9785 Depth=2
	s_or_b64 exec, exec, s[34:35]
	;;#ASMSTART
	s_wakeup
	;;#ASMEND
.LBB4_9894:                             ;   in Loop: Header=BB4_9785 Depth=2
	s_or_b64 exec, exec, s[30:31]
.LBB4_9895:                             ;   in Loop: Header=BB4_9785 Depth=2
	s_andn2_saveexec_b64 s[46:47], s[46:47]
	s_cbranch_execz .LBB4_9897
; %bb.9896:                             ;   in Loop: Header=BB4_9785 Depth=2
	s_waitcnt vmcnt(0) lgkmcnt(0)
	buffer_wbinvl1_vol
	s_barrier
.LBB4_9897:                             ;   in Loop: Header=BB4_9785 Depth=2
	s_or_b64 exec, exec, s[46:47]
	s_or_b64 exec, exec, s[44:45]
	s_and_saveexec_b64 s[44:45], s[24:25]
	s_xor_b64 s[44:45], exec, s[44:45]
	s_cbranch_execnz .LBB4_9857
.LBB4_9898:                             ;   in Loop: Header=BB4_9785 Depth=2
	s_andn2_saveexec_b64 s[26:27], s[44:45]
	s_cbranch_execz .LBB4_9917
.LBB4_9899:                             ;   in Loop: Header=BB4_9785 Depth=2
	s_and_saveexec_b64 s[44:45], s[72:73]
	s_xor_b64 s[44:45], exec, s[44:45]
	s_cbranch_execz .LBB4_9914
; %bb.9900:                             ;   in Loop: Header=BB4_9785 Depth=2
	s_and_saveexec_b64 s[46:47], s[16:17]
	s_cbranch_execz .LBB4_9913
; %bb.9901:                             ;   in Loop: Header=BB4_9785 Depth=2
	s_mov_b64 s[34:35], exec
	s_waitcnt vmcnt(0)
	v_mbcnt_lo_u32_b32 v0, s34, 0
	v_mbcnt_hi_u32_b32 v0, s35, v0
	v_cmp_eq_u32_e32 vcc, 0, v0
	;;#ASMSTART
	s_waitcnt lgkmcnt(0) vmcnt(0)
	;;#ASMEND
	s_and_saveexec_b64 s[30:31], vcc
	s_cbranch_execz .LBB4_9903
; %bb.9902:                             ;   in Loop: Header=BB4_9785 Depth=2
	s_bcnt1_i32_b64 s57, s[34:35]
	v_mov_b32_e32 v2, s57
	s_waitcnt lgkmcnt(0)
	ds_add_u64 v0, v[2:3]
	s_trap 2
.LBB4_9903:                             ;   in Loop: Header=BB4_9785 Depth=2
	s_or_b64 exec, exec, s[30:31]
	s_trap 2
	ds_read_b64 v[4:5], v0
	s_waitcnt lgkmcnt(0)
	v_add_co_u32_e32 v38, vcc, v38, v57
	v_addc_co_u32_e32 v39, vcc, 0, v39, vcc
	v_cmp_lt_u64_e32 vcc, v[4:5], v[38:39]
	s_and_saveexec_b64 s[30:31], vcc
	s_cbranch_execz .LBB4_9912
; %bb.9904:                             ;   in Loop: Header=BB4_9785 Depth=2
	s_mov_b32 s57, 0
	s_mov_b64 s[34:35], 0
                                        ; implicit-def: $sgpr36_sgpr37
                                        ; implicit-def: $sgpr38_sgpr39
	s_branch .LBB4_9906
.LBB4_9905:                             ;   in Loop: Header=BB4_9906 Depth=3
	s_or_b64 exec, exec, s[50:51]
	s_and_b64 vcc, exec, vcc
	s_or_b64 s[34:35], vcc, s[34:35]
	s_andn2_b64 vcc, s[36:37], exec
	s_and_b64 s[36:37], s[38:39], exec
	s_or_b64 s[36:37], vcc, s[36:37]
	s_andn2_b64 exec, exec, s[34:35]
	s_cbranch_execz .LBB4_9910
.LBB4_9906:                             ;   Parent Loop BB4_47 Depth=1
                                        ;     Parent Loop BB4_9785 Depth=2
                                        ; =>    This Inner Loop Header: Depth=3
	s_add_i32 s57, s57, 1
	s_cmpk_lg_i32 s57, 0x2710
	s_cselect_b64 s[48:49], -1, 0
	s_and_b64 vcc, exec, s[48:49]
	s_cbranch_vccz .LBB4_9908
; %bb.9907:                             ;   in Loop: Header=BB4_9906 Depth=3
	s_mov_b64 vcc, -1
	s_or_b64 s[38:39], s[38:39], exec
	s_and_saveexec_b64 s[50:51], s[48:49]
	s_cbranch_execz .LBB4_9905
	s_branch .LBB4_9909
.LBB4_9908:                             ;   in Loop: Header=BB4_9906 Depth=3
	s_trap 2
	ds_read_b64 v[4:5], v0
	s_andn2_b64 s[48:49], s[48:49], exec
	s_mov_b32 s57, 0
	s_waitcnt lgkmcnt(0)
	flat_load_dword v0, v[4:5] glc
	s_waitcnt vmcnt(0) lgkmcnt(0)
	buffer_wbinvl1_vol
	v_cmp_eq_u32_e32 vcc, 0, v0
	s_and_b64 vcc, vcc, exec
	s_or_b64 s[48:49], s[48:49], vcc
	s_mov_b64 vcc, -1
	s_or_b64 s[38:39], s[38:39], exec
	s_and_saveexec_b64 s[50:51], s[48:49]
	s_cbranch_execz .LBB4_9905
.LBB4_9909:                             ;   in Loop: Header=BB4_9906 Depth=3
	s_sleep 1
	s_trap 2
	ds_read_b64 v[4:5], v0
	s_waitcnt lgkmcnt(0)
	s_andn2_b64 s[38:39], s[38:39], exec
	v_cmp_ge_u64_e32 vcc, v[4:5], v[38:39]
	s_orn2_b64 vcc, vcc, exec
	s_branch .LBB4_9905
.LBB4_9910:                             ;   in Loop: Header=BB4_9785 Depth=2
	s_or_b64 exec, exec, s[34:35]
	s_and_saveexec_b64 vcc, s[36:37]
	s_xor_b64 vcc, exec, vcc
	s_cbranch_execz .LBB4_9912
; %bb.9911:                             ;   in Loop: Header=BB4_9785 Depth=2
	v_mov_b32_e32 v0, 1
	ds_write_b32 v0, v0
	s_trap 2
.LBB4_9912:                             ;   in Loop: Header=BB4_9785 Depth=2
	s_or_b64 exec, exec, s[30:31]
	;;#ASMSTART
	s_wakeup
	;;#ASMEND
.LBB4_9913:                             ;   in Loop: Header=BB4_9785 Depth=2
	s_or_b64 exec, exec, s[46:47]
.LBB4_9914:                             ;   in Loop: Header=BB4_9785 Depth=2
	s_andn2_saveexec_b64 s[44:45], s[44:45]
	s_cbranch_execz .LBB4_9916
; %bb.9915:                             ;   in Loop: Header=BB4_9785 Depth=2
	;;#ASMSTART
	s_waitcnt lgkmcnt(0) vmcnt(0)
	;;#ASMEND
	s_waitcnt vmcnt(0) lgkmcnt(0)
	s_barrier
.LBB4_9916:                             ;   in Loop: Header=BB4_9785 Depth=2
	s_or_b64 exec, exec, s[44:45]
.LBB4_9917:                             ;   in Loop: Header=BB4_9785 Depth=2
	s_or_b64 exec, exec, s[26:27]
	s_waitcnt vmcnt(0)
	v_and_b32_e32 v0, 32, v52
	v_cmp_ne_u32_e32 vcc, 0, v0
	s_and_saveexec_b64 s[26:27], vcc
	s_cbranch_execz .LBB4_9784
; %bb.9918:                             ;   in Loop: Header=BB4_9785 Depth=2
	buffer_load_dword v4, off, s[0:3], s33 offset:56 ; 4-byte Folded Reload
	buffer_load_dword v5, off, s[0:3], s33 offset:60 ; 4-byte Folded Reload
	s_waitcnt vmcnt(0)
	v_add_co_u32_e32 v4, vcc, 2, v4
	v_addc_co_u32_e32 v5, vcc, 0, v5, vcc
	buffer_store_dword v4, off, s[0:3], s33 offset:56 ; 4-byte Folded Spill
	s_nop 0
	buffer_store_dword v5, off, s[0:3], s33 offset:60 ; 4-byte Folded Spill
	flat_store_dwordx2 v[32:33], v[4:5]
	s_branch .LBB4_9784
.LBB4_9919:                             ;   in Loop: Header=BB4_47 Depth=1
	s_or_b64 exec, exec, s[40:41]
.LBB4_9920:                             ;   in Loop: Header=BB4_47 Depth=1
	s_or_b64 exec, exec, s[28:29]
	v_cmp_gt_i32_e32 vcc, 2, v2
	s_and_saveexec_b64 s[28:29], vcc
	s_cbranch_execnz .LBB4_9921
; %bb.10041:                            ;   in Loop: Header=BB4_47 Depth=1
	s_getpc_b64 s[98:99]
.Lpost_getpc12:
	s_add_u32 s98, s98, (.LBB4_46-.Lpost_getpc12)&4294967295
	s_addc_u32 s99, s99, (.LBB4_46-.Lpost_getpc12)>>32
	s_setpc_b64 s[98:99]
.LBB4_9921:                             ;   in Loop: Header=BB4_47 Depth=1
	v_cmp_eq_u32_e64 s[42:43], 0, v2
	s_mov_b64 s[40:41], 0
	s_branch .LBB4_9923
.LBB4_9922:                             ;   in Loop: Header=BB4_9923 Depth=2
	s_or_b64 exec, exec, s[26:27]
	v_add_u32_e32 v7, v6, v7
	s_mov_b64 s[42:43], 0
	s_andn2_b64 exec, exec, s[40:41]
	s_cbranch_execnz .LBB4_9923
; %bb.10043:                            ;   in Loop: Header=BB4_47 Depth=1
	s_getpc_b64 s[98:99]
.Lpost_getpc13:
	s_add_u32 s98, s98, (.LBB4_45-.Lpost_getpc13)&4294967295
	s_addc_u32 s99, s99, (.LBB4_45-.Lpost_getpc13)>>32
	s_setpc_b64 s[98:99]
.LBB4_9923:                             ;   Parent Loop BB4_47 Depth=1
                                        ; =>  This Loop Header: Depth=2
                                        ;       Child Loop BB4_9929 Depth 3
                                        ;       Child Loop BB4_9953 Depth 3
	;; [unrolled: 1-line block ×3, first 2 shown]
	v_and_b32_e32 v0, 4, v52
	v_cmp_ne_u32_e32 vcc, 0, v0
	s_and_saveexec_b64 s[44:45], vcc
	s_cbranch_execz .LBB4_9945
; %bb.9924:                             ;   in Loop: Header=BB4_9923 Depth=2
	buffer_load_dword v4, off, s[0:3], s33 offset:56 ; 4-byte Folded Reload
	buffer_load_dword v5, off, s[0:3], s33 offset:60 ; 4-byte Folded Reload
	s_waitcnt vmcnt(0)
	v_add_co_u32_e32 v8, vcc, 2, v4
	v_addc_co_u32_e32 v9, vcc, 0, v5, vcc
	s_waitcnt lgkmcnt(0)
	v_cmp_lt_u64_e32 vcc, v[48:49], v[8:9]
	s_and_saveexec_b64 s[46:47], vcc
	s_cbranch_execz .LBB4_9936
; %bb.9925:                             ;   in Loop: Header=BB4_9923 Depth=2
	v_and_b32_e32 v0, 64, v52
	s_mov_b32 s9, 0
	v_cmp_eq_u32_e32 vcc, 0, v0
	s_mov_b64 s[30:31], 0
                                        ; implicit-def: $sgpr34_sgpr35
                                        ; implicit-def: $sgpr36_sgpr37
                                        ; implicit-def: $sgpr38_sgpr39
	s_branch .LBB4_9929
.LBB4_9926:                             ;   in Loop: Header=BB4_9929 Depth=3
	s_waitcnt vmcnt(0) lgkmcnt(0)
	v_cmp_ge_u64_e64 s[26:27], v[48:49], v[8:9]
	s_or_b64 s[52:53], s[52:53], exec
	s_orn2_b64 s[50:51], s[26:27], exec
.LBB4_9927:                             ;   in Loop: Header=BB4_9929 Depth=3
	s_or_b64 exec, exec, s[64:65]
	s_andn2_b64 s[26:27], s[38:39], exec
	s_and_b64 s[38:39], s[52:53], exec
	s_or_b64 s[38:39], s[26:27], s[38:39]
	s_andn2_b64 s[26:27], s[36:37], exec
	s_and_b64 s[36:37], s[50:51], exec
	s_or_b64 s[36:37], s[26:27], s[36:37]
.LBB4_9928:                             ;   in Loop: Header=BB4_9929 Depth=3
	s_or_b64 exec, exec, s[48:49]
	s_and_b64 s[26:27], exec, s[36:37]
	s_or_b64 s[30:31], s[26:27], s[30:31]
	s_andn2_b64 s[26:27], s[34:35], exec
	s_and_b64 s[34:35], s[38:39], exec
	s_or_b64 s[34:35], s[26:27], s[34:35]
	s_andn2_b64 exec, exec, s[30:31]
	s_cbranch_execz .LBB4_9933
.LBB4_9929:                             ;   Parent Loop BB4_47 Depth=1
                                        ;     Parent Loop BB4_9923 Depth=2
                                        ; =>    This Inner Loop Header: Depth=3
	s_sleep 1
	s_waitcnt vmcnt(0) lgkmcnt(0)
	flat_load_dwordx2 v[48:49], v[32:33] glc
	s_or_b64 s[38:39], s[38:39], exec
	s_or_b64 s[36:37], s[36:37], exec
                                        ; implicit-def: $vgpr2
	s_and_saveexec_b64 s[48:49], vcc
	s_cbranch_execz .LBB4_9928
; %bb.9930:                             ;   in Loop: Header=BB4_9929 Depth=3
	s_cmpk_lt_i32 s9, 0x270f
	s_cselect_b64 s[54:55], -1, 0
	s_cmpk_gt_i32 s9, 0x270e
	s_mov_b64 s[50:51], -1
	s_cbranch_scc0 .LBB4_9932
; %bb.9931:                             ;   in Loop: Header=BB4_9929 Depth=3
	s_trap 2
	ds_read_b64 v[4:5], v0
	s_andn2_b64 s[54:55], s[54:55], exec
	s_mov_b32 s9, 0
	s_mov_b64 s[52:53], 0
	s_waitcnt vmcnt(0) lgkmcnt(0)
	flat_load_dword v2, v[4:5] glc
	s_waitcnt vmcnt(0) lgkmcnt(0)
	buffer_wbinvl1_vol
	v_cmp_eq_u32_e64 s[26:27], 0, v2
	s_and_b64 s[26:27], s[26:27], exec
	s_or_b64 s[54:55], s[54:55], s[26:27]
	s_and_saveexec_b64 s[64:65], s[54:55]
	s_cbranch_execz .LBB4_9927
	s_branch .LBB4_9926
.LBB4_9932:                             ;   in Loop: Header=BB4_9929 Depth=3
	s_add_i32 s9, s9, 1
	s_mov_b64 s[52:53], -1
                                        ; implicit-def: $vgpr2
	s_and_saveexec_b64 s[64:65], s[54:55]
	s_cbranch_execz .LBB4_9927
	s_branch .LBB4_9926
.LBB4_9933:                             ;   in Loop: Header=BB4_9923 Depth=2
	s_or_b64 exec, exec, s[30:31]
	s_xor_b64 s[26:27], s[34:35], -1
	s_and_saveexec_b64 vcc, s[26:27]
	s_xor_b64 s[26:27], exec, vcc
	s_cbranch_execz .LBB4_9935
; %bb.9934:                             ;   in Loop: Header=BB4_9923 Depth=2
	v_or_b32_e32 v52, 64, v52
	s_waitcnt lgkmcnt(0)
	ds_write_b32 v0, v2
	s_trap 2
.LBB4_9935:                             ;   in Loop: Header=BB4_9923 Depth=2
	s_or_b64 exec, exec, s[26:27]
.LBB4_9936:                             ;   in Loop: Header=BB4_9923 Depth=2
	s_or_b64 exec, exec, s[46:47]
	;;#ASMSTART
	s_wakeup
	;;#ASMEND
	buffer_load_dword v4, off, s[0:3], s33 offset:56 ; 4-byte Folded Reload
	buffer_load_dword v5, off, s[0:3], s33 offset:60 ; 4-byte Folded Reload
	v_and_b32_e32 v0, 0x100, v52
	v_cmp_ne_u32_e32 vcc, 0, v0
	s_mov_b64 s[26:27], -1
                                        ; implicit-def: $vgpr10_vgpr11
	s_waitcnt vmcnt(0)
	v_and_b32_e32 v0, 7, v4
	s_and_saveexec_b64 s[46:47], vcc
	s_cbranch_execz .LBB4_9940
; %bb.9937:                             ;   in Loop: Header=BB4_9923 Depth=2
	buffer_load_dword v10, off, s[0:3], s33 offset:88 ; 4-byte Folded Reload
	buffer_load_dword v11, off, s[0:3], s33 offset:92 ; 4-byte Folded Reload
	;; [unrolled: 1-line block ×4, first 2 shown]
	s_waitcnt vmcnt(0)
	v_mad_u64_u32 v[4:5], s[26:27], v0, 24, v[10:11]
                                        ; implicit-def: $vgpr10_vgpr11
	flat_load_dword v2, v[4:5]
	s_waitcnt vmcnt(0) lgkmcnt(0)
	v_cmp_ne_u32_e32 vcc, 1, v2
	v_cmp_eq_u32_e64 s[26:27], 1, v2
	s_and_saveexec_b64 s[30:31], s[26:27]
	s_cbranch_execz .LBB4_9939
; %bb.9938:                             ;   in Loop: Header=BB4_9923 Depth=2
	flat_load_dword v10, v[4:5] offset:4 glc
	s_waitcnt vmcnt(0) lgkmcnt(0)
	v_ashrrev_i32_e32 v11, 31, v10
.LBB4_9939:                             ;   in Loop: Header=BB4_9923 Depth=2
	s_or_b64 exec, exec, s[30:31]
	s_orn2_b64 s[26:27], vcc, exec
.LBB4_9940:                             ;   in Loop: Header=BB4_9923 Depth=2
	s_or_b64 exec, exec, s[46:47]
	s_and_saveexec_b64 s[46:47], s[26:27]
	s_cbranch_execz .LBB4_9942
; %bb.9941:                             ;   in Loop: Header=BB4_9923 Depth=2
	buffer_load_dword v2, off, s[0:3], s33 offset:112 ; 4-byte Folded Reload
	s_waitcnt vmcnt(0)
	v_mad_i64_i32 v[10:11], s[26:27], v0, v2, 0
.LBB4_9942:                             ;   in Loop: Header=BB4_9923 Depth=2
	s_or_b64 exec, exec, s[46:47]
	buffer_load_dword v4, off, s[0:3], s33 offset:80 ; 4-byte Folded Reload
	buffer_load_dword v5, off, s[0:3], s33 offset:84 ; 4-byte Folded Reload
	s_waitcnt vmcnt(0)
	v_add_co_u32_e32 v4, vcc, v4, v10
	v_addc_co_u32_e32 v5, vcc, v5, v11, vcc
	ds_write_b64 v0, v[4:5] offset:720
	v_and_b32_e32 v0, 0x2000, v52
	v_cmp_ne_u32_e32 vcc, 0, v0
	s_and_saveexec_b64 s[26:27], vcc
	s_cbranch_execz .LBB4_9944
; %bb.9943:                             ;   in Loop: Header=BB4_9923 Depth=2
	ds_read_b64 v[4:5], v0 offset:872
	s_waitcnt lgkmcnt(0)
	v_add_co_u32_e32 v4, vcc, 1, v4
	v_addc_co_u32_e32 v5, vcc, 0, v5, vcc
	ds_write_b64 v0, v[4:5] offset:872
.LBB4_9944:                             ;   in Loop: Header=BB4_9923 Depth=2
	s_or_b64 exec, exec, s[26:27]
	buffer_store_dword v8, off, s[0:3], s33 offset:56 ; 4-byte Folded Spill
	s_nop 0
	buffer_store_dword v9, off, s[0:3], s33 offset:60 ; 4-byte Folded Spill
.LBB4_9945:                             ;   in Loop: Header=BB4_9923 Depth=2
	s_or_b64 exec, exec, s[44:45]
	s_xor_b64 s[26:27], s[42:43], -1
	s_and_b64 s[26:27], exec, s[26:27]
	s_or_b64 s[40:41], s[26:27], s[40:41]
	s_and_saveexec_b64 s[26:27], s[10:11]
	s_cbranch_execz .LBB4_9964
; %bb.9946:                             ;   in Loop: Header=BB4_9923 Depth=2
	s_and_saveexec_b64 s[42:43], s[72:73]
	s_xor_b64 s[42:43], exec, s[42:43]
	s_cbranch_execz .LBB4_9961
; %bb.9947:                             ;   in Loop: Header=BB4_9923 Depth=2
	s_and_saveexec_b64 s[44:45], s[16:17]
	s_cbranch_execz .LBB4_9960
; %bb.9948:                             ;   in Loop: Header=BB4_9923 Depth=2
	s_mov_b64 s[30:31], exec
	v_mbcnt_lo_u32_b32 v0, s30, 0
	v_mbcnt_hi_u32_b32 v0, s31, v0
	v_cmp_eq_u32_e32 vcc, 0, v0
	s_waitcnt vmcnt(0) lgkmcnt(0)
	buffer_wbinvl1_vol
	s_and_saveexec_b64 s[46:47], vcc
	s_cbranch_execz .LBB4_9950
; %bb.9949:                             ;   in Loop: Header=BB4_9923 Depth=2
	s_bcnt1_i32_b64 s9, s[30:31]
	v_mov_b32_e32 v2, s9
	ds_add_u64 v0, v[2:3]
	s_trap 2
.LBB4_9950:                             ;   in Loop: Header=BB4_9923 Depth=2
	s_or_b64 exec, exec, s[46:47]
	s_trap 2
	ds_read_b64 v[4:5], v0
	s_waitcnt lgkmcnt(0)
	v_add_co_u32_e32 v38, vcc, v38, v57
	v_addc_co_u32_e32 v39, vcc, 0, v39, vcc
	v_cmp_lt_u64_e32 vcc, v[4:5], v[38:39]
	s_and_saveexec_b64 s[46:47], vcc
	s_cbranch_execz .LBB4_9959
; %bb.9951:                             ;   in Loop: Header=BB4_9923 Depth=2
	s_mov_b32 s9, 0
	s_mov_b64 s[30:31], 0
                                        ; implicit-def: $sgpr34_sgpr35
                                        ; implicit-def: $sgpr36_sgpr37
	s_branch .LBB4_9953
.LBB4_9952:                             ;   in Loop: Header=BB4_9953 Depth=3
	s_or_b64 exec, exec, s[48:49]
	s_and_b64 vcc, exec, vcc
	s_or_b64 s[30:31], vcc, s[30:31]
	s_andn2_b64 vcc, s[34:35], exec
	s_and_b64 s[34:35], s[36:37], exec
	s_or_b64 s[34:35], vcc, s[34:35]
	s_andn2_b64 exec, exec, s[30:31]
	s_cbranch_execz .LBB4_9957
.LBB4_9953:                             ;   Parent Loop BB4_47 Depth=1
                                        ;     Parent Loop BB4_9923 Depth=2
                                        ; =>    This Inner Loop Header: Depth=3
	s_add_i32 s9, s9, 1
	s_cmpk_lg_i32 s9, 0x2710
	s_cselect_b64 s[38:39], -1, 0
	s_and_b64 vcc, exec, s[38:39]
	s_cbranch_vccz .LBB4_9955
; %bb.9954:                             ;   in Loop: Header=BB4_9953 Depth=3
	s_mov_b64 vcc, -1
	s_or_b64 s[36:37], s[36:37], exec
	s_and_saveexec_b64 s[48:49], s[38:39]
	s_cbranch_execz .LBB4_9952
	s_branch .LBB4_9956
.LBB4_9955:                             ;   in Loop: Header=BB4_9953 Depth=3
	s_trap 2
	ds_read_b64 v[4:5], v0
	s_andn2_b64 s[38:39], s[38:39], exec
	s_mov_b32 s9, 0
	s_waitcnt lgkmcnt(0)
	flat_load_dword v0, v[4:5] glc
	s_waitcnt vmcnt(0) lgkmcnt(0)
	buffer_wbinvl1_vol
	v_cmp_eq_u32_e32 vcc, 0, v0
	s_and_b64 vcc, vcc, exec
	s_or_b64 s[38:39], s[38:39], vcc
	s_mov_b64 vcc, -1
	s_or_b64 s[36:37], s[36:37], exec
	s_and_saveexec_b64 s[48:49], s[38:39]
	s_cbranch_execz .LBB4_9952
.LBB4_9956:                             ;   in Loop: Header=BB4_9953 Depth=3
	s_sleep 1
	s_trap 2
	ds_read_b64 v[4:5], v0
	s_waitcnt lgkmcnt(0)
	s_andn2_b64 s[36:37], s[36:37], exec
	v_cmp_ge_u64_e32 vcc, v[4:5], v[38:39]
	s_orn2_b64 vcc, vcc, exec
	s_branch .LBB4_9952
.LBB4_9957:                             ;   in Loop: Header=BB4_9923 Depth=2
	s_or_b64 exec, exec, s[30:31]
	s_and_saveexec_b64 vcc, s[34:35]
	s_xor_b64 vcc, exec, vcc
	s_cbranch_execz .LBB4_9959
; %bb.9958:                             ;   in Loop: Header=BB4_9923 Depth=2
	v_mov_b32_e32 v0, 1
	ds_write_b32 v0, v0
	s_trap 2
.LBB4_9959:                             ;   in Loop: Header=BB4_9923 Depth=2
	s_or_b64 exec, exec, s[46:47]
	;;#ASMSTART
	s_wakeup
	;;#ASMEND
.LBB4_9960:                             ;   in Loop: Header=BB4_9923 Depth=2
	s_or_b64 exec, exec, s[44:45]
.LBB4_9961:                             ;   in Loop: Header=BB4_9923 Depth=2
	s_andn2_saveexec_b64 s[42:43], s[42:43]
	s_cbranch_execz .LBB4_9963
; %bb.9962:                             ;   in Loop: Header=BB4_9923 Depth=2
	s_waitcnt vmcnt(0) lgkmcnt(0)
	buffer_wbinvl1_vol
	s_barrier
.LBB4_9963:                             ;   in Loop: Header=BB4_9923 Depth=2
	s_or_b64 exec, exec, s[42:43]
.LBB4_9964:                             ;   in Loop: Header=BB4_9923 Depth=2
	s_or_b64 exec, exec, s[26:27]
	v_sub_u32_e32 v0, v1, v7
	v_min_i32_e32 v6, v6, v0
	s_and_saveexec_b64 s[26:27], s[24:25]
	s_xor_b64 s[26:27], exec, s[26:27]
	s_cbranch_execz .LBB4_9968
; %bb.9965:                             ;   in Loop: Header=BB4_9923 Depth=2
	s_trap 2
	ds_read_b32 v0, v0
	v_cmp_lt_i32_e32 vcc, 0, v6
	s_waitcnt lgkmcnt(0)
	v_readfirstlane_b32 s9, v0
	s_cmp_eq_u32 s9, 0
	s_cselect_b64 s[42:43], -1, 0
	v_and_b32_e32 v0, 16, v52
	s_and_b64 s[42:43], vcc, s[42:43]
	v_cmp_ne_u32_e32 vcc, 0, v0
	s_and_b64 s[44:45], vcc, s[42:43]
	s_and_saveexec_b64 s[42:43], s[44:45]
	s_cbranch_execz .LBB4_9967
; %bb.9966:                             ;   in Loop: Header=BB4_9923 Depth=2
	s_waitcnt vmcnt(0)
	buffer_wbinvl1_vol
.LBB4_9967:                             ;   in Loop: Header=BB4_9923 Depth=2
	s_or_b64 exec, exec, s[42:43]
.LBB4_9968:                             ;   in Loop: Header=BB4_9923 Depth=2
	s_andn2_saveexec_b64 s[26:27], s[26:27]
	s_cbranch_execz .LBB4_9987
; %bb.9969:                             ;   in Loop: Header=BB4_9923 Depth=2
	s_and_saveexec_b64 s[42:43], s[72:73]
	s_xor_b64 s[42:43], exec, s[42:43]
	s_cbranch_execz .LBB4_9984
; %bb.9970:                             ;   in Loop: Header=BB4_9923 Depth=2
	s_and_saveexec_b64 s[44:45], s[16:17]
	s_cbranch_execz .LBB4_9983
; %bb.9971:                             ;   in Loop: Header=BB4_9923 Depth=2
	s_mov_b64 s[30:31], exec
	v_mbcnt_lo_u32_b32 v0, s30, 0
	v_mbcnt_hi_u32_b32 v0, s31, v0
	v_cmp_eq_u32_e32 vcc, 0, v0
	;;#ASMSTART
	s_waitcnt lgkmcnt(0) vmcnt(0)
	;;#ASMEND
	s_and_saveexec_b64 s[46:47], vcc
	s_cbranch_execz .LBB4_9973
; %bb.9972:                             ;   in Loop: Header=BB4_9923 Depth=2
	s_bcnt1_i32_b64 s9, s[30:31]
	v_mov_b32_e32 v2, s9
	s_waitcnt lgkmcnt(0)
	ds_add_u64 v0, v[2:3]
	s_trap 2
.LBB4_9973:                             ;   in Loop: Header=BB4_9923 Depth=2
	s_or_b64 exec, exec, s[46:47]
	s_trap 2
	ds_read_b64 v[4:5], v0
	s_waitcnt lgkmcnt(0)
	v_add_co_u32_e32 v38, vcc, v38, v57
	v_addc_co_u32_e32 v39, vcc, 0, v39, vcc
	v_cmp_lt_u64_e32 vcc, v[4:5], v[38:39]
	s_and_saveexec_b64 s[46:47], vcc
	s_cbranch_execz .LBB4_9982
; %bb.9974:                             ;   in Loop: Header=BB4_9923 Depth=2
	s_mov_b32 s9, 0
	s_mov_b64 s[30:31], 0
                                        ; implicit-def: $sgpr34_sgpr35
                                        ; implicit-def: $sgpr36_sgpr37
	s_branch .LBB4_9976
.LBB4_9975:                             ;   in Loop: Header=BB4_9976 Depth=3
	s_or_b64 exec, exec, s[48:49]
	s_and_b64 vcc, exec, vcc
	s_or_b64 s[30:31], vcc, s[30:31]
	s_andn2_b64 vcc, s[34:35], exec
	s_and_b64 s[34:35], s[36:37], exec
	s_or_b64 s[34:35], vcc, s[34:35]
	s_andn2_b64 exec, exec, s[30:31]
	s_cbranch_execz .LBB4_9980
.LBB4_9976:                             ;   Parent Loop BB4_47 Depth=1
                                        ;     Parent Loop BB4_9923 Depth=2
                                        ; =>    This Inner Loop Header: Depth=3
	s_add_i32 s9, s9, 1
	s_cmpk_lg_i32 s9, 0x2710
	s_cselect_b64 s[38:39], -1, 0
	s_and_b64 vcc, exec, s[38:39]
	s_cbranch_vccz .LBB4_9978
; %bb.9977:                             ;   in Loop: Header=BB4_9976 Depth=3
	s_mov_b64 vcc, -1
	s_or_b64 s[36:37], s[36:37], exec
	s_and_saveexec_b64 s[48:49], s[38:39]
	s_cbranch_execz .LBB4_9975
	s_branch .LBB4_9979
.LBB4_9978:                             ;   in Loop: Header=BB4_9976 Depth=3
	s_trap 2
	ds_read_b64 v[4:5], v0
	s_andn2_b64 s[38:39], s[38:39], exec
	s_mov_b32 s9, 0
	s_waitcnt vmcnt(0) lgkmcnt(0)
	flat_load_dword v0, v[4:5] glc
	s_waitcnt vmcnt(0) lgkmcnt(0)
	buffer_wbinvl1_vol
	v_cmp_eq_u32_e32 vcc, 0, v0
	s_and_b64 vcc, vcc, exec
	s_or_b64 s[38:39], s[38:39], vcc
	s_mov_b64 vcc, -1
	s_or_b64 s[36:37], s[36:37], exec
	s_and_saveexec_b64 s[48:49], s[38:39]
	s_cbranch_execz .LBB4_9975
.LBB4_9979:                             ;   in Loop: Header=BB4_9976 Depth=3
	s_sleep 1
	s_trap 2
	ds_read_b64 v[4:5], v0
	s_waitcnt lgkmcnt(0)
	s_andn2_b64 s[36:37], s[36:37], exec
	v_cmp_ge_u64_e32 vcc, v[4:5], v[38:39]
	s_orn2_b64 vcc, vcc, exec
	s_branch .LBB4_9975
.LBB4_9980:                             ;   in Loop: Header=BB4_9923 Depth=2
	s_or_b64 exec, exec, s[30:31]
	s_and_saveexec_b64 vcc, s[34:35]
	s_xor_b64 vcc, exec, vcc
	s_cbranch_execz .LBB4_9982
; %bb.9981:                             ;   in Loop: Header=BB4_9923 Depth=2
	v_mov_b32_e32 v0, 1
	ds_write_b32 v0, v0
	s_trap 2
.LBB4_9982:                             ;   in Loop: Header=BB4_9923 Depth=2
	s_or_b64 exec, exec, s[46:47]
	;;#ASMSTART
	s_wakeup
	;;#ASMEND
.LBB4_9983:                             ;   in Loop: Header=BB4_9923 Depth=2
	s_or_b64 exec, exec, s[44:45]
.LBB4_9984:                             ;   in Loop: Header=BB4_9923 Depth=2
	s_andn2_saveexec_b64 s[42:43], s[42:43]
	s_cbranch_execz .LBB4_9986
; %bb.9985:                             ;   in Loop: Header=BB4_9923 Depth=2
	;;#ASMSTART
	s_waitcnt lgkmcnt(0) vmcnt(0)
	;;#ASMEND
	s_waitcnt vmcnt(0) lgkmcnt(0)
	s_barrier
.LBB4_9986:                             ;   in Loop: Header=BB4_9923 Depth=2
	s_or_b64 exec, exec, s[42:43]
.LBB4_9987:                             ;   in Loop: Header=BB4_9923 Depth=2
	s_or_b64 exec, exec, s[26:27]
	v_and_b32_e32 v0, 32, v52
	v_cmp_ne_u32_e32 vcc, 0, v0
	s_and_saveexec_b64 s[26:27], vcc
	s_cbranch_execz .LBB4_9922
; %bb.9988:                             ;   in Loop: Header=BB4_9923 Depth=2
	buffer_load_dword v4, off, s[0:3], s33 offset:56 ; 4-byte Folded Reload
	buffer_load_dword v5, off, s[0:3], s33 offset:60 ; 4-byte Folded Reload
	s_waitcnt vmcnt(0)
	v_add_co_u32_e32 v4, vcc, 2, v4
	v_addc_co_u32_e32 v5, vcc, 0, v5, vcc
	buffer_store_dword v4, off, s[0:3], s33 offset:56 ; 4-byte Folded Spill
	s_nop 0
	buffer_store_dword v5, off, s[0:3], s33 offset:60 ; 4-byte Folded Spill
	flat_store_dwordx2 v[32:33], v[4:5]
	s_branch .LBB4_9922
.LBB4_9989:
	s_or_b64 exec, exec, s[74:75]
	buffer_load_dword v19, off, s[0:3], s33 offset:316 ; 4-byte Folded Reload
	buffer_load_dword v31, off, s[0:3], s33 offset:320 ; 4-byte Folded Reload
	;; [unrolled: 1-line block ×3, first 2 shown]
	v_readlane_b32 s28, v62, 4
	v_readlane_b32 s29, v62, 5
.LBB4_9990:
	v_readlane_b32 s4, v62, 2
	v_readlane_b32 s5, v62, 3
	s_or_b64 exec, exec, s[4:5]
	v_and_b32_e32 v0, 0x800, v52
	v_cmp_eq_u32_e32 vcc, 0, v0
	s_and_saveexec_b64 s[6:7], vcc
	s_cbranch_execz .LBB4_10023
; %bb.9991:
	v_and_b32_e32 v0, 48, v52
	v_cmp_ne_u32_e32 vcc, 0, v0
	s_and_saveexec_b64 s[4:5], vcc
	s_cbranch_execz .LBB4_9993
; %bb.9992:
	buffer_load_dword v0, off, s[0:3], s33 offset:308 ; 4-byte Folded Reload
	buffer_load_dword v1, off, s[0:3], s33 offset:312 ; 4-byte Folded Reload
	buffer_load_dword v2, off, s[0:3], s33 offset:56 ; 4-byte Folded Reload
	buffer_load_dword v3, off, s[0:3], s33 offset:60 ; 4-byte Folded Reload
	s_waitcnt vmcnt(0)
	flat_store_dwordx2 v[0:1], v[2:3] offset:104
.LBB4_9993:
	s_or_b64 exec, exec, s[4:5]
	s_movk_i32 s4, 0x88
	v_and_b32_e32 v0, 0x88, v52
	v_cmp_eq_u32_e32 vcc, s4, v0
	s_and_saveexec_b64 s[10:11], vcc
	s_cbranch_execz .LBB4_10003
; %bb.9994:
	buffer_load_dword v0, off, s[0:3], s33 offset:56 ; 4-byte Folded Reload
	buffer_load_dword v1, off, s[0:3], s33 offset:60 ; 4-byte Folded Reload
	;; [unrolled: 1-line block ×6, first 2 shown]
	s_waitcnt vmcnt(0)
	v_and_b32_e32 v4, 64, v52
	s_mov_b32 s8, 0
	v_add_u32_e32 v0, 6, v0
	v_and_b32_e32 v0, 7, v0
	v_mad_u64_u32 v[2:3], s[4:5], v0, 24, v[1:2]
	v_cmp_eq_u32_e64 s[4:5], 0, v4
	flat_load_dwordx2 v[0:1], v[2:3] offset:8 glc
	s_waitcnt vmcnt(0) lgkmcnt(0)
	v_cmp_ne_u64_e32 vcc, -1, v[0:1]
	s_and_b64 s[4:5], vcc, s[4:5]
	s_and_b64 exec, exec, s[4:5]
	s_cbranch_execz .LBB4_10003
; %bb.9995:
	s_mov_b64 s[4:5], 0
                                        ; implicit-def: $sgpr12_sgpr13
                                        ; implicit-def: $sgpr14_sgpr15
	s_branch .LBB4_9998
.LBB4_9996:                             ;   in Loop: Header=BB4_9998 Depth=1
	flat_load_dwordx2 v[4:5], v[2:3] offset:8 glc
	s_waitcnt vmcnt(0)
	s_andn2_b64 s[14:15], s[14:15], exec
	s_waitcnt lgkmcnt(0)
	v_cmp_eq_u64_e32 vcc, -1, v[4:5]
	s_orn2_b64 s[18:19], vcc, exec
.LBB4_9997:                             ;   in Loop: Header=BB4_9998 Depth=1
	s_or_b64 exec, exec, s[20:21]
	s_and_b64 s[16:17], exec, s[18:19]
	s_or_b64 s[4:5], s[16:17], s[4:5]
	s_andn2_b64 s[12:13], s[12:13], exec
	s_and_b64 s[16:17], s[14:15], exec
	s_or_b64 s[12:13], s[12:13], s[16:17]
	s_andn2_b64 exec, exec, s[4:5]
	s_cbranch_execz .LBB4_10001
.LBB4_9998:                             ; =>This Inner Loop Header: Depth=1
	s_cmpk_lt_i32 s8, 0x270f
	s_cselect_b64 s[16:17], -1, 0
	s_and_b64 vcc, exec, s[16:17]
	s_cbranch_vccnz .LBB4_10000
; %bb.9999:                             ;   in Loop: Header=BB4_9998 Depth=1
	s_trap 2
	ds_read_b64 v[0:1], v0
	s_andn2_b64 s[16:17], s[16:17], exec
	s_mov_b32 s8, 0
	s_waitcnt lgkmcnt(0)
	flat_load_dword v0, v[0:1] glc
	s_waitcnt vmcnt(0) lgkmcnt(0)
	buffer_wbinvl1_vol
	v_cmp_eq_u32_e32 vcc, 0, v0
	s_and_b64 s[18:19], vcc, exec
	s_or_b64 s[16:17], s[16:17], s[18:19]
	s_mov_b64 s[18:19], -1
	s_or_b64 s[14:15], s[14:15], exec
	s_and_saveexec_b64 s[20:21], s[16:17]
	s_cbranch_execz .LBB4_9997
	s_branch .LBB4_9996
.LBB4_10000:                            ;   in Loop: Header=BB4_9998 Depth=1
	s_add_i32 s8, s8, 1
                                        ; implicit-def: $vgpr0
	s_mov_b64 s[18:19], -1
	s_or_b64 s[14:15], s[14:15], exec
	s_and_saveexec_b64 s[20:21], s[16:17]
	s_cbranch_execz .LBB4_9997
	s_branch .LBB4_9996
.LBB4_10001:
	s_or_b64 exec, exec, s[4:5]
	s_and_saveexec_b64 s[4:5], s[12:13]
	s_xor_b64 s[4:5], exec, s[4:5]
	s_cbranch_execz .LBB4_10003
; %bb.10002:
	ds_write_b32 v0, v0
	s_trap 2
.LBB4_10003:
	s_or_b64 exec, exec, s[10:11]
	v_and_b32_e32 v0, 0x2000, v52
	v_cmp_ne_u32_e32 vcc, 0, v0
	s_and_saveexec_b64 s[4:5], vcc
	s_cbranch_execz .LBB4_10005
; %bb.10004:
	s_trap 2
	ds_read_b64 v[0:1], v0
	buffer_load_dword v2, off, s[0:3], s33 offset:328 ; 4-byte Folded Reload
	buffer_load_dword v3, off, s[0:3], s33 offset:332 ; 4-byte Folded Reload
	s_waitcnt vmcnt(0) lgkmcnt(0)
	flat_store_dwordx2 v[2:3], v[0:1] offset:16
.LBB4_10005:
	s_or_b64 exec, exec, s[4:5]
	s_waitcnt vmcnt(0)
	v_cmp_ne_u32_e32 vcc, 64, v19
	s_and_b64 exec, exec, vcc
	s_cbranch_execz .LBB4_10023
; %bb.10006:
	v_cmp_ne_u32_sdwa s[4:5], v19, v20 src0_sel:DWORD src1_sel:WORD_0
	s_and_saveexec_b64 s[8:9], s[4:5]
	s_xor_b64 s[4:5], exec, s[8:9]
	s_cbranch_execz .LBB4_10021
; %bb.10007:
	v_and_b32_e32 v0, 63, v31
	v_cmp_eq_u32_e32 vcc, 0, v0
	s_and_saveexec_b64 s[10:11], vcc
	s_cbranch_execz .LBB4_10020
; %bb.10008:
	s_mov_b64 s[14:15], exec
	v_mbcnt_lo_u32_b32 v0, s14, 0
	v_mbcnt_hi_u32_b32 v0, s15, v0
	v_cmp_eq_u32_e32 vcc, 0, v0
	s_waitcnt lgkmcnt(0)
	buffer_wbinvl1_vol
	s_and_saveexec_b64 s[12:13], vcc
	s_cbranch_execz .LBB4_10010
; %bb.10009:
	s_bcnt1_i32_b64 s8, s[14:15]
	v_mov_b32_e32 v0, s8
	v_mov_b32_e32 v1, 0
	ds_add_u64 v0, v[0:1]
	s_trap 2
.LBB4_10010:
	s_or_b64 exec, exec, s[12:13]
	v_lshrrev_b32_e32 v0, 6, v19
	s_trap 2
	ds_read_b64 v[2:3], v0
	s_waitcnt lgkmcnt(0)
	v_add_co_u32_e32 v0, vcc, v38, v0
	v_addc_co_u32_e32 v1, vcc, 0, v39, vcc
	v_cmp_lt_u64_e32 vcc, v[2:3], v[0:1]
	s_and_saveexec_b64 s[12:13], vcc
	s_cbranch_execz .LBB4_10019
; %bb.10011:
	s_mov_b32 s8, 0
	s_mov_b64 s[14:15], 0
                                        ; implicit-def: $sgpr16_sgpr17
                                        ; implicit-def: $sgpr18_sgpr19
	s_branch .LBB4_10013
.LBB4_10012:                            ;   in Loop: Header=BB4_10013 Depth=1
	s_or_b64 exec, exec, s[22:23]
	s_and_b64 s[20:21], exec, s[24:25]
	s_or_b64 s[14:15], s[20:21], s[14:15]
	s_andn2_b64 s[16:17], s[16:17], exec
	s_and_b64 s[20:21], s[18:19], exec
	s_or_b64 s[16:17], s[16:17], s[20:21]
	s_andn2_b64 exec, exec, s[14:15]
	s_cbranch_execz .LBB4_10017
.LBB4_10013:                            ; =>This Inner Loop Header: Depth=1
	s_add_i32 s8, s8, 1
	s_cmpk_lg_i32 s8, 0x2710
	s_cselect_b64 s[20:21], -1, 0
	s_and_b64 vcc, exec, s[20:21]
	s_cbranch_vccz .LBB4_10015
; %bb.10014:                            ;   in Loop: Header=BB4_10013 Depth=1
	s_mov_b64 s[24:25], -1
	s_or_b64 s[18:19], s[18:19], exec
	s_and_saveexec_b64 s[22:23], s[20:21]
	s_cbranch_execz .LBB4_10012
	s_branch .LBB4_10016
.LBB4_10015:                            ;   in Loop: Header=BB4_10013 Depth=1
	s_trap 2
	ds_read_b64 v[2:3], v0
	s_andn2_b64 s[20:21], s[20:21], exec
	s_mov_b32 s8, 0
	s_waitcnt lgkmcnt(0)
	flat_load_dword v2, v[2:3] glc
	s_waitcnt vmcnt(0) lgkmcnt(0)
	buffer_wbinvl1_vol
	v_cmp_eq_u32_e32 vcc, 0, v2
	s_and_b64 s[22:23], vcc, exec
	s_or_b64 s[20:21], s[20:21], s[22:23]
	s_mov_b64 s[24:25], -1
	s_or_b64 s[18:19], s[18:19], exec
	s_and_saveexec_b64 s[22:23], s[20:21]
	s_cbranch_execz .LBB4_10012
.LBB4_10016:                            ;   in Loop: Header=BB4_10013 Depth=1
	s_sleep 1
	s_trap 2
	ds_read_b64 v[2:3], v0
	s_waitcnt lgkmcnt(0)
	s_andn2_b64 s[18:19], s[18:19], exec
	v_cmp_ge_u64_e32 vcc, v[2:3], v[0:1]
	s_orn2_b64 s[24:25], vcc, exec
	s_branch .LBB4_10012
.LBB4_10017:
	s_or_b64 exec, exec, s[14:15]
	s_and_saveexec_b64 s[8:9], s[16:17]
	s_xor_b64 s[8:9], exec, s[8:9]
	s_cbranch_execz .LBB4_10019
; %bb.10018:
	v_mov_b32_e32 v0, 1
	ds_write_b32 v0, v0
	s_trap 2
.LBB4_10019:
	s_or_b64 exec, exec, s[12:13]
	;;#ASMSTART
	s_wakeup
	;;#ASMEND
.LBB4_10020:
	s_or_b64 exec, exec, s[10:11]
.LBB4_10021:
	s_andn2_saveexec_b64 s[4:5], s[4:5]
	s_cbranch_execz .LBB4_10023
; %bb.10022:
	s_waitcnt lgkmcnt(0)
	buffer_wbinvl1_vol
	s_barrier
.LBB4_10023:
	s_or_b64 exec, exec, s[6:7]
.LBB4_10024:
	v_readlane_b32 s4, v62, 0
	v_readlane_b32 s5, v62, 1
	s_andn2_saveexec_b64 s[26:27], s[4:5]
	s_cbranch_execz .LBB4_10026
; %bb.10025:
	s_getpc_b64 s[4:5]
	s_add_u32 s4, s4, __PRETTY_FUNCTION__._ZN10PrimitivesI14__hip_fp8_e4m310FuncMinMaxIS0_E12FanSymmetricILi1EELi0E11ProtoSimpleILi2ELi2ELi0ELi2ELi0ELi0EELi0ELb0ELi0ELi0ELi0EEC2EiiPKiS9_PKvPvmhhhP15ncclDevWorkCollP14ncclDevWorkP2pii@rel32@lo+4
	s_addc_u32 s5, s5, __PRETTY_FUNCTION__._ZN10PrimitivesI14__hip_fp8_e4m310FuncMinMaxIS0_E12FanSymmetricILi1EELi0E11ProtoSimpleILi2ELi2ELi0ELi2ELi0ELi0EELi0ELb0ELi0ELi0ELi0EEC2EiiPKiS9_PKvPvmhhhP15ncclDevWorkCollP14ncclDevWorkP2pii@rel32@hi+12
	s_getpc_b64 s[6:7]
	s_add_u32 s6, s6, __assert_fail@rel32@lo+4
	s_addc_u32 s7, s7, __assert_fail@rel32@hi+12
	s_mov_b64 s[8:9], s[28:29]
	v_mov_b32_e32 v0, s4
	v_mov_b32_e32 v1, s5
	s_swappc_b64 s[30:31], s[6:7]
	; divergent unreachable
.LBB4_10026:
	s_or_b64 exec, exec, s[26:27]
	buffer_load_dword v61, off, s[0:3], s33 ; 4-byte Folded Reload
	buffer_load_dword v60, off, s[0:3], s33 offset:4 ; 4-byte Folded Reload
	buffer_load_dword v59, off, s[0:3], s33 offset:8 ; 4-byte Folded Reload
	;; [unrolled: 1-line block ×13, first 2 shown]
	v_readlane_b32 s30, v63, 32
	v_readlane_b32 s31, v63, 33
	;; [unrolled: 1-line block ×34, first 2 shown]
	s_mov_b32 s32, s33
	v_readlane_b32 s4, v63, 34
	s_or_saveexec_b64 s[6:7], -1
	buffer_load_dword v63, off, s[0:3], s33 offset:336 ; 4-byte Folded Reload
	buffer_load_dword v62, off, s[0:3], s33 offset:340 ; 4-byte Folded Reload
	s_mov_b64 exec, s[6:7]
	s_mov_b32 s33, s4
	s_waitcnt vmcnt(0) lgkmcnt(0)
	s_setpc_b64 s[30:31]
.Lfunc_end4:
	.size	_ZN12_GLOBAL__N_17runRingI14__hip_fp8_e4m310FuncMinMaxIS1_E11ProtoSimpleILi2ELi2ELi0ELi2ELi0ELi0EELi0ELi0ELi2ELi0EEEviiP15ncclDevWorkColl, .Lfunc_end4-_ZN12_GLOBAL__N_17runRingI14__hip_fp8_e4m310FuncMinMaxIS1_E11ProtoSimpleILi2ELi2ELi0ELi2ELi0ELi0EELi0ELi0ELi2ELi0EEEviiP15ncclDevWorkColl
                                        ; -- End function
	.set .L_ZN12_GLOBAL__N_17runRingI14__hip_fp8_e4m310FuncMinMaxIS1_E11ProtoSimpleILi2ELi2ELi0ELi2ELi0ELi0EELi0ELi0ELi2ELi0EEEviiP15ncclDevWorkColl.num_vgpr, max(64, .L__assert_fail.num_vgpr)
	.set .L_ZN12_GLOBAL__N_17runRingI14__hip_fp8_e4m310FuncMinMaxIS1_E11ProtoSimpleILi2ELi2ELi0ELi2ELi0ELi0EELi0ELi0ELi2ELi0EEEviiP15ncclDevWorkColl.num_agpr, max(0, .L__assert_fail.num_agpr)
	.set .L_ZN12_GLOBAL__N_17runRingI14__hip_fp8_e4m310FuncMinMaxIS1_E11ProtoSimpleILi2ELi2ELi0ELi2ELi0ELi0EELi0ELi0ELi2ELi0EEEviiP15ncclDevWorkColl.numbered_sgpr, max(100, .L__assert_fail.numbered_sgpr)
	.set .L_ZN12_GLOBAL__N_17runRingI14__hip_fp8_e4m310FuncMinMaxIS1_E11ProtoSimpleILi2ELi2ELi0ELi2ELi0ELi0EELi0ELi0ELi2ELi0EEEviiP15ncclDevWorkColl.num_named_barrier, max(0, .L__assert_fail.num_named_barrier)
	.set .L_ZN12_GLOBAL__N_17runRingI14__hip_fp8_e4m310FuncMinMaxIS1_E11ProtoSimpleILi2ELi2ELi0ELi2ELi0ELi0EELi0ELi0ELi2ELi0EEEviiP15ncclDevWorkColl.private_seg_size, 352+max(.L__assert_fail.private_seg_size)
	.set .L_ZN12_GLOBAL__N_17runRingI14__hip_fp8_e4m310FuncMinMaxIS1_E11ProtoSimpleILi2ELi2ELi0ELi2ELi0ELi0EELi0ELi0ELi2ELi0EEEviiP15ncclDevWorkColl.uses_vcc, or(1, .L__assert_fail.uses_vcc)
	.set .L_ZN12_GLOBAL__N_17runRingI14__hip_fp8_e4m310FuncMinMaxIS1_E11ProtoSimpleILi2ELi2ELi0ELi2ELi0ELi0EELi0ELi0ELi2ELi0EEEviiP15ncclDevWorkColl.uses_flat_scratch, or(0, .L__assert_fail.uses_flat_scratch)
	.set .L_ZN12_GLOBAL__N_17runRingI14__hip_fp8_e4m310FuncMinMaxIS1_E11ProtoSimpleILi2ELi2ELi0ELi2ELi0ELi0EELi0ELi0ELi2ELi0EEEviiP15ncclDevWorkColl.has_dyn_sized_stack, or(0, .L__assert_fail.has_dyn_sized_stack)
	.set .L_ZN12_GLOBAL__N_17runRingI14__hip_fp8_e4m310FuncMinMaxIS1_E11ProtoSimpleILi2ELi2ELi0ELi2ELi0ELi0EELi0ELi0ELi2ELi0EEEviiP15ncclDevWorkColl.has_recursion, or(1, .L__assert_fail.has_recursion)
	.set .L_ZN12_GLOBAL__N_17runRingI14__hip_fp8_e4m310FuncMinMaxIS1_E11ProtoSimpleILi2ELi2ELi0ELi2ELi0ELi0EELi0ELi0ELi2ELi0EEEviiP15ncclDevWorkColl.has_indirect_call, or(0, .L__assert_fail.has_indirect_call)
	.section	.AMDGPU.csdata,"",@progbits
; Function info:
; codeLenInByte = 268596
; TotalNumSgprs: 104
; NumVgprs: 64
; ScratchSize: 416
; MemoryBound: 1
	.text
	.p2align	2                               ; -- Begin function _Z53ncclDevFunc_AllReduce_RING_SIMPLE_MinMax_f8e4m3_0_0_2v
	.type	_Z53ncclDevFunc_AllReduce_RING_SIMPLE_MinMax_f8e4m3_0_0_2v,@function
_Z53ncclDevFunc_AllReduce_RING_SIMPLE_MinMax_f8e4m3_0_0_2v: ; @_Z53ncclDevFunc_AllReduce_RING_SIMPLE_MinMax_f8e4m3_0_0_2v
; %bb.0:
	s_waitcnt vmcnt(0) expcnt(0) lgkmcnt(0)
	s_mov_b32 s4, s33
	s_mov_b32 s33, s32
	s_or_saveexec_b64 s[6:7], -1
	buffer_store_dword v43, off, s[0:3], s33 offset:20 ; 4-byte Folded Spill
	buffer_store_dword v44, off, s[0:3], s33 offset:24 ; 4-byte Folded Spill
	s_mov_b64 exec, s[6:7]
	v_writelane_b32 v44, s4, 38
	v_writelane_b32 v44, s100, 36
	;; [unrolled: 1-line block ×3, first 2 shown]
	s_addk_i32 s32, 0x800
	buffer_store_dword v40, off, s[0:3], s33 offset:12 ; 4-byte Folded Spill
	buffer_store_dword v41, off, s[0:3], s33 offset:8 ; 4-byte Folded Spill
	;; [unrolled: 1-line block ×3, first 2 shown]
	buffer_store_dword v62, off, s[0:3], s33 ; 4-byte Folded Spill
	v_writelane_b32 v44, s34, 0
	v_writelane_b32 v44, s35, 1
	;; [unrolled: 1-line block ×36, first 2 shown]
	s_trap 2
	ds_read_b32 v0, v0
	v_mov_b32_e32 v40, v31
                                        ; implicit-def: $vgpr43 : SGPR spill to VGPR lane
	v_and_b32_e32 v41, 0x3ff, v40
	v_writelane_b32 v43, s12, 0
	v_writelane_b32 v43, s8, 1
	s_waitcnt lgkmcnt(0)
	v_cmp_lt_i32_e32 vcc, v41, v0
	v_writelane_b32 v43, s9, 2
	s_and_saveexec_b64 s[4:5], vcc
	s_cbranch_execz .LBB5_5
; %bb.1:
	v_readlane_b32 s8, v43, 1
	v_readlane_b32 s9, v43, 2
	s_load_dword s6, s[8:9], 0x0
	v_readlane_b32 s7, v43, 0
	v_mov_b32_e32 v1, 0
	s_mov_b32 s10, 0
	v_mov_b32_e32 v4, v41
	s_waitcnt lgkmcnt(0)
	s_cmp_lt_u32 s7, s6
	s_cselect_b32 s6, 12, 18
	s_add_u32 s6, s8, s6
	s_addc_u32 s7, s9, 0
	global_load_ushort v1, v1, s[6:7]
	s_trap 2
	ds_read_b32 v2, v0
	s_mov_b64 s[6:7], 0
                                        ; implicit-def: $vgpr3
	s_waitcnt vmcnt(0) lgkmcnt(0)
	v_mul_lo_u32 v2, v2, v1
	s_branch .LBB5_3
.LBB5_2:                                ;   in Loop: Header=BB5_3 Depth=1
	s_or_b64 exec, exec, s[8:9]
	v_add_u32_e32 v4, v4, v1
	v_cmp_ge_i32_e32 vcc, v4, v0
	s_or_b64 s[6:7], vcc, s[6:7]
	v_add_u32_e32 v3, v3, v2
	s_andn2_b64 exec, exec, s[6:7]
	s_cbranch_execz .LBB5_5
.LBB5_3:                                ; =>This Inner Loop Header: Depth=1
	ds_read_b32 v5, v3
	s_waitcnt lgkmcnt(0)
	v_and_b32_e32 v5, 0x1000000, v5
	v_cmp_ne_u32_e32 vcc, 0, v5
	s_and_saveexec_b64 s[8:9], vcc
	s_cbranch_execz .LBB5_2
; %bb.4:                                ;   in Loop: Header=BB5_3 Depth=1
	ds_read_b64 v[5:6], v3 offset:104
	s_waitcnt lgkmcnt(0)
	flat_load_ubyte v5, v[5:6]
	v_mov_b32_e32 v6, s10
	s_waitcnt vmcnt(0) lgkmcnt(0)
	v_and_b32_e32 v5, 0xffff, v5
	ds_write_b64 v3, v[5:6] offset:104
	s_branch .LBB5_2
.LBB5_5:
	s_or_b64 exec, exec, s[4:5]
	s_waitcnt vmcnt(0) lgkmcnt(0)
	s_barrier
	s_trap 2
	ds_read_b32 v0, v0
	s_waitcnt lgkmcnt(0)
	v_cmp_gt_i32_e32 vcc, 1, v0
	s_cbranch_vccnz .LBB5_13
; %bb.6:
	s_mov_b32 s6, 0
	v_mov_b32_e32 v42, 6
	s_branch .LBB5_8
.LBB5_7:                                ;   in Loop: Header=BB5_8 Depth=1
	s_or_b64 exec, exec, s[8:9]
	s_trap 2
	ds_read_b32 v0, v0
	s_add_i32 s6, s6, 1
	s_waitcnt lgkmcnt(0)
	v_cmp_lt_i32_e32 vcc, s6, v0
	s_cbranch_vccz .LBB5_13
.LBB5_8:                                ; =>This Inner Loop Header: Depth=1
	s_trap 2
	ds_read_b32 v0, v0
	s_cmp_eq_u32 s6, 0
	s_cbranch_scc1 .LBB5_11
; %bb.9:                                ;   in Loop: Header=BB5_8 Depth=1
	s_trap 2
	s_waitcnt lgkmcnt(0)
	ds_read_b32 v1, v0
	s_waitcnt lgkmcnt(0)
	v_xor_b32_e32 v1, v1, v0
	v_and_b32_e32 v1, 0xff0000, v1
	v_cmp_eq_u32_e32 vcc, 0, v1
	s_cbranch_vccnz .LBB5_11
; %bb.10:                               ;   in Loop: Header=BB5_8 Depth=1
	s_barrier
	ds_read_b32 v0, v0
.LBB5_11:                               ;   in Loop: Header=BB5_8 Depth=1
	s_waitcnt lgkmcnt(0)
	v_lshlrev_b32_sdwa v1, v42, v0 dst_sel:DWORD dst_unused:UNUSED_PAD src0_sel:DWORD src1_sel:BYTE_2
	v_cmp_lt_u32_e32 vcc, v41, v1
	s_and_saveexec_b64 s[8:9], vcc
	s_cbranch_execz .LBB5_7
; %bb.12:                               ;   in Loop: Header=BB5_8 Depth=1
	v_writelane_b32 v43, s6, 3
	v_writelane_b32 v43, s8, 4
	s_mov_b64 s[4:5], src_shared_base
	s_getpc_b64 s[6:7]
	s_add_u32 s6, s6, _ZN12_GLOBAL__N_17runRingI14__hip_fp8_e4m310FuncMinMaxIS1_E11ProtoSimpleILi2ELi2ELi0ELi2ELi0ELi0EELi0ELi0ELi2ELi0EEEviiP15ncclDevWorkColl@rel32@lo+4
	s_addc_u32 s7, s7, _ZN12_GLOBAL__N_17runRingI14__hip_fp8_e4m310FuncMinMaxIS1_E11ProtoSimpleILi2ELi2ELi0ELi2ELi0ELi0EELi0ELi0ELi2ELi0EEEviiP15ncclDevWorkColl@rel32@hi+12
	v_writelane_b32 v43, s9, 5
	s_or_saveexec_b64 s[100:101], -1
	buffer_store_dword v43, off, s[0:3], s33 offset:16 ; 4-byte Folded Spill
	s_mov_b64 exec, s[100:101]
	v_readlane_b32 s8, v43, 1
	v_readlane_b32 s9, v43, 2
	;; [unrolled: 1-line block ×3, first 2 shown]
	v_mov_b32_e32 v31, v40
	v_mov_b32_e32 v0, v41
	;; [unrolled: 1-line block ×3, first 2 shown]
	s_swappc_b64 s[30:31], s[6:7]
	s_or_saveexec_b64 s[100:101], -1
	buffer_load_dword v43, off, s[0:3], s33 offset:16 ; 4-byte Folded Reload
	s_mov_b64 exec, s[100:101]
	s_waitcnt vmcnt(0)
	v_readlane_b32 s8, v43, 4
	v_readlane_b32 s9, v43, 5
	;; [unrolled: 1-line block ×3, first 2 shown]
	s_branch .LBB5_7
.LBB5_13:
	buffer_load_dword v62, off, s[0:3], s33 ; 4-byte Folded Reload
	buffer_load_dword v42, off, s[0:3], s33 offset:4 ; 4-byte Folded Reload
	buffer_load_dword v41, off, s[0:3], s33 offset:8 ; 4-byte Folded Reload
	;; [unrolled: 1-line block ×3, first 2 shown]
	v_readlane_b32 s30, v44, 34
	v_readlane_b32 s31, v44, 35
	;; [unrolled: 1-line block ×36, first 2 shown]
	s_mov_b32 s32, s33
	v_readlane_b32 s4, v44, 38
	v_readlane_b32 s100, v44, 36
	;; [unrolled: 1-line block ×3, first 2 shown]
	s_or_saveexec_b64 s[6:7], -1
	buffer_load_dword v43, off, s[0:3], s33 offset:20 ; 4-byte Folded Reload
	buffer_load_dword v44, off, s[0:3], s33 offset:24 ; 4-byte Folded Reload
	s_mov_b64 exec, s[6:7]
	s_mov_b32 s33, s4
	s_waitcnt vmcnt(0)
	s_setpc_b64 s[30:31]
.Lfunc_end5:
	.size	_Z53ncclDevFunc_AllReduce_RING_SIMPLE_MinMax_f8e4m3_0_0_2v, .Lfunc_end5-_Z53ncclDevFunc_AllReduce_RING_SIMPLE_MinMax_f8e4m3_0_0_2v
                                        ; -- End function
	.set .L_Z53ncclDevFunc_AllReduce_RING_SIMPLE_MinMax_f8e4m3_0_0_2v.num_vgpr, max(63, .L_ZN12_GLOBAL__N_17runRingI14__hip_fp8_e4m310FuncMinMaxIS1_E11ProtoSimpleILi2ELi2ELi0ELi2ELi0ELi0EELi0ELi0ELi2ELi0EEEviiP15ncclDevWorkColl.num_vgpr)
	.set .L_Z53ncclDevFunc_AllReduce_RING_SIMPLE_MinMax_f8e4m3_0_0_2v.num_agpr, max(0, .L_ZN12_GLOBAL__N_17runRingI14__hip_fp8_e4m310FuncMinMaxIS1_E11ProtoSimpleILi2ELi2ELi0ELi2ELi0ELi0EELi0ELi0ELi2ELi0EEEviiP15ncclDevWorkColl.num_agpr)
	.set .L_Z53ncclDevFunc_AllReduce_RING_SIMPLE_MinMax_f8e4m3_0_0_2v.numbered_sgpr, max(102, .L_ZN12_GLOBAL__N_17runRingI14__hip_fp8_e4m310FuncMinMaxIS1_E11ProtoSimpleILi2ELi2ELi0ELi2ELi0ELi0EELi0ELi0ELi2ELi0EEEviiP15ncclDevWorkColl.numbered_sgpr)
	.set .L_Z53ncclDevFunc_AllReduce_RING_SIMPLE_MinMax_f8e4m3_0_0_2v.num_named_barrier, max(0, .L_ZN12_GLOBAL__N_17runRingI14__hip_fp8_e4m310FuncMinMaxIS1_E11ProtoSimpleILi2ELi2ELi0ELi2ELi0ELi0EELi0ELi0ELi2ELi0EEEviiP15ncclDevWorkColl.num_named_barrier)
	.set .L_Z53ncclDevFunc_AllReduce_RING_SIMPLE_MinMax_f8e4m3_0_0_2v.private_seg_size, 32+max(.L_ZN12_GLOBAL__N_17runRingI14__hip_fp8_e4m310FuncMinMaxIS1_E11ProtoSimpleILi2ELi2ELi0ELi2ELi0ELi0EELi0ELi0ELi2ELi0EEEviiP15ncclDevWorkColl.private_seg_size)
	.set .L_Z53ncclDevFunc_AllReduce_RING_SIMPLE_MinMax_f8e4m3_0_0_2v.uses_vcc, or(1, .L_ZN12_GLOBAL__N_17runRingI14__hip_fp8_e4m310FuncMinMaxIS1_E11ProtoSimpleILi2ELi2ELi0ELi2ELi0ELi0EELi0ELi0ELi2ELi0EEEviiP15ncclDevWorkColl.uses_vcc)
	.set .L_Z53ncclDevFunc_AllReduce_RING_SIMPLE_MinMax_f8e4m3_0_0_2v.uses_flat_scratch, or(0, .L_ZN12_GLOBAL__N_17runRingI14__hip_fp8_e4m310FuncMinMaxIS1_E11ProtoSimpleILi2ELi2ELi0ELi2ELi0ELi0EELi0ELi0ELi2ELi0EEEviiP15ncclDevWorkColl.uses_flat_scratch)
	.set .L_Z53ncclDevFunc_AllReduce_RING_SIMPLE_MinMax_f8e4m3_0_0_2v.has_dyn_sized_stack, or(0, .L_ZN12_GLOBAL__N_17runRingI14__hip_fp8_e4m310FuncMinMaxIS1_E11ProtoSimpleILi2ELi2ELi0ELi2ELi0ELi0EELi0ELi0ELi2ELi0EEEviiP15ncclDevWorkColl.has_dyn_sized_stack)
	.set .L_Z53ncclDevFunc_AllReduce_RING_SIMPLE_MinMax_f8e4m3_0_0_2v.has_recursion, or(1, .L_ZN12_GLOBAL__N_17runRingI14__hip_fp8_e4m310FuncMinMaxIS1_E11ProtoSimpleILi2ELi2ELi0ELi2ELi0ELi0EELi0ELi0ELi2ELi0EEEviiP15ncclDevWorkColl.has_recursion)
	.set .L_Z53ncclDevFunc_AllReduce_RING_SIMPLE_MinMax_f8e4m3_0_0_2v.has_indirect_call, or(0, .L_ZN12_GLOBAL__N_17runRingI14__hip_fp8_e4m310FuncMinMaxIS1_E11ProtoSimpleILi2ELi2ELi0ELi2ELi0ELi0EELi0ELi0ELi2ELi0EEEviiP15ncclDevWorkColl.has_indirect_call)
	.section	.AMDGPU.csdata,"",@progbits
; Function info:
; codeLenInByte = 1372
; TotalNumSgprs: 106
; NumVgprs: 64
; ScratchSize: 448
; MemoryBound: 0
	.text
	.p2align	2                               ; -- Begin function _ZN12_GLOBAL__N_17runRingI14__hip_fp8_e4m310FuncMinMaxIS1_E11ProtoSimpleILi2ELi2ELi0ELi4ELi0ELi0EELi0ELi0ELi4ELi0EEEviiP15ncclDevWorkColl
	.type	_ZN12_GLOBAL__N_17runRingI14__hip_fp8_e4m310FuncMinMaxIS1_E11ProtoSimpleILi2ELi2ELi0ELi4ELi0ELi0EELi0ELi0ELi4ELi0EEEviiP15ncclDevWorkColl,@function
_ZN12_GLOBAL__N_17runRingI14__hip_fp8_e4m310FuncMinMaxIS1_E11ProtoSimpleILi2ELi2ELi0ELi4ELi0ELi0EELi0ELi0ELi4ELi0EEEviiP15ncclDevWorkColl: ; @_ZN12_GLOBAL__N_17runRingI14__hip_fp8_e4m310FuncMinMaxIS1_E11ProtoSimpleILi2ELi2ELi0ELi4ELi0ELi0EELi0ELi0ELi4ELi0EEEviiP15ncclDevWorkColl
; %bb.0:
	s_waitcnt vmcnt(0) expcnt(0) lgkmcnt(0)
	s_mov_b32 s4, s33
	s_mov_b32 s33, s32
	s_or_saveexec_b64 s[6:7], -1
	buffer_store_dword v63, off, s[0:3], s33 offset:460 ; 4-byte Folded Spill
	buffer_store_dword v62, off, s[0:3], s33 offset:464 ; 4-byte Folded Spill
	s_mov_b64 exec, s[6:7]
	v_writelane_b32 v63, s4, 34
	s_addk_i32 s32, 0x7800
	buffer_store_dword v40, off, s[0:3], s33 offset:52 ; 4-byte Folded Spill
	buffer_store_dword v41, off, s[0:3], s33 offset:48 ; 4-byte Folded Spill
	;; [unrolled: 1-line block ×13, first 2 shown]
	buffer_store_dword v61, off, s[0:3], s33 ; 4-byte Folded Spill
	v_writelane_b32 v63, s34, 0
	v_writelane_b32 v63, s35, 1
	;; [unrolled: 1-line block ×34, first 2 shown]
	buffer_store_dword v0, off, s[0:3], s33 offset:256 ; 4-byte Folded Spill
	s_trap 2
	flat_load_dword v5, v[2:3]
	ds_read_b32 v6, v0
	s_mov_b64 s[28:29], s[8:9]
                                        ; implicit-def: $vgpr18_vgpr19
                                        ; implicit-def: $vgpr7_vgpr8
                                        ; kill: killed $vgpr7_vgpr8
                                        ; implicit-def: $vgpr9_vgpr10
	s_waitcnt lgkmcnt(0)
	v_readfirstlane_b32 s68, v6
	s_waitcnt vmcnt(0)
	v_cmp_ne_u32_sdwa s[4:5], v6, v5 src0_sel:DWORD src1_sel:BYTE_0
	s_and_saveexec_b64 s[6:7], s[4:5]
	s_xor_b64 s[4:5], exec, s[6:7]
	s_cbranch_execz .LBB6_6
; %bb.1:
	v_not_b32_sdwa v4, v5 dst_sel:DWORD dst_unused:UNUSED_PAD src0_sel:BYTE_0
	v_cmp_ne_u32_sdwa s[6:7], v6, v5 src0_sel:DWORD src1_sel:BYTE_1
                                        ; implicit-def: $vgpr18_vgpr19
                                        ; implicit-def: $vgpr7_vgpr8
                                        ; kill: killed $vgpr7_vgpr8
                                        ; implicit-def: $vgpr9_vgpr10
	s_and_saveexec_b64 s[8:9], s[6:7]
	s_xor_b64 s[6:7], exec, s[8:9]
	s_cbranch_execz .LBB6_3
; %bb.2:
	flat_load_dwordx4 v[7:10], v[2:3] offset:72
	flat_load_dwordx2 v[11:12], v[2:3] offset:96
	v_add_u32_e32 v4, v6, v4
	v_ashrrev_i32_e32 v5, 31, v4
	s_waitcnt vmcnt(0) lgkmcnt(0)
	v_mul_lo_u32 v5, v9, v5
	v_mad_u64_u32 v[6:7], s[8:9], v9, v4, v[7:8]
	v_mul_lo_u32 v4, v10, v4
	v_lshrrev_b64 v[18:19], 12, v[11:12]
	v_add3_u32 v7, v4, v7, v5
	buffer_store_dword v6, off, s[0:3], s33 offset:400 ; 4-byte Folded Spill
	s_nop 0
	buffer_store_dword v7, off, s[0:3], s33 offset:404 ; 4-byte Folded Spill
                                        ; implicit-def: $vgpr5
                                        ; implicit-def: $vgpr4
.LBB6_3:
	s_andn2_saveexec_b64 s[6:7], s[6:7]
	s_cbranch_execz .LBB6_5
; %bb.4:
	flat_load_dwordx4 v[6:9], v[2:3] offset:72
	flat_load_dwordx4 v[10:13], v[2:3] offset:88
	v_add_u32_sdwa v0, v5, v4 dst_sel:DWORD dst_unused:UNUSED_PAD src0_sel:BYTE_1 src1_sel:DWORD
	v_ashrrev_i32_e32 v4, 31, v0
	s_waitcnt vmcnt(0) lgkmcnt(0)
	v_mul_lo_u32 v4, v8, v4
	v_mad_u64_u32 v[5:6], s[8:9], v8, v0, v[6:7]
	v_mul_lo_u32 v0, v9, v0
	v_mov_b32_e32 v9, v10
	v_mov_b32_e32 v12, v13
	;; [unrolled: 1-line block ×3, first 2 shown]
	v_add3_u32 v6, v0, v6, v4
	v_lshrrev_b32_e32 v18, 1, v12
	buffer_store_dword v5, off, s[0:3], s33 offset:400 ; 4-byte Folded Spill
	s_nop 0
	buffer_store_dword v6, off, s[0:3], s33 offset:404 ; 4-byte Folded Spill
.LBB6_5:
	s_or_b64 exec, exec, s[6:7]
.LBB6_6:
	s_andn2_saveexec_b64 s[4:5], s[4:5]
	s_cbranch_execz .LBB6_8
; %bb.7:
	flat_load_dwordx2 v[4:5], v[2:3] offset:96
	flat_load_dwordx2 v[9:10], v[2:3] offset:72
	s_waitcnt vmcnt(0) lgkmcnt(0)
	v_lshlrev_b64 v[18:19], 9, v[4:5]
	v_mov_b32_e32 v4, 0
	v_mov_b32_e32 v5, 0
	buffer_store_dword v4, off, s[0:3], s33 offset:400 ; 4-byte Folded Spill
	s_nop 0
	buffer_store_dword v5, off, s[0:3], s33 offset:404 ; 4-byte Folded Spill
.LBB6_8:
	s_or_b64 exec, exec, s[4:5]
	s_trap 2
	ds_read_b64 v[4:5], v0
	s_waitcnt lgkmcnt(0)
	v_cmp_ne_u32_e32 vcc, -1, v4
	v_cndmask_b32_e64 v19, 0, 1, vcc
	v_cmp_ne_u32_e32 vcc, -1, v5
	v_addc_co_u32_e64 v8, s[4:5], 0, v19, vcc
	v_lshlrev_b32_e32 v4, 1, v8
	v_cmp_le_u32_e64 s[4:5], v4, v1
	s_and_saveexec_b64 s[6:7], s[4:5]
	s_xor_b64 s[6:7], exec, s[6:7]
                                        ; implicit-def: $vgpr62 : SGPR spill to VGPR lane
	v_writelane_b32 v62, s6, 0
	v_writelane_b32 v62, s7, 1
	s_cbranch_execnz .LBB6_9
; %bb.16571:
	s_getpc_b64 s[98:99]
.Lpost_getpc22:
	s_add_u32 s98, s98, (.LBB6_16552-.Lpost_getpc22)&4294967295
	s_addc_u32 s99, s99, (.LBB6_16552-.Lpost_getpc22)>>32
	s_setpc_b64 s[98:99]
.LBB6_9:
	buffer_store_dword v9, off, s[0:3], s33 offset:408 ; 4-byte Folded Spill
	s_nop 0
	buffer_store_dword v10, off, s[0:3], s33 offset:412 ; 4-byte Folded Spill
	buffer_store_dword v11, off, s[0:3], s33 offset:416 ; 4-byte Folded Spill
	;; [unrolled: 1-line block ×3, first 2 shown]
	flat_load_dwordx4 v[10:13], v[2:3] offset:16
	s_nop 0
	flat_load_dwordx2 v[4:5], v[2:3] offset:104
	flat_load_ushort v7, v[2:3] offset:8
	flat_load_dword v6, v[2:3] offset:4
	s_trap 2
	s_load_dword s4, s[28:29], 0x0
	v_mov_b32_e32 v9, 0
	s_waitcnt lgkmcnt(0)
	s_cmp_lt_u32 s12, s4
	s_cselect_b32 s4, 12, 18
	s_add_u32 s4, s28, s4
	s_addc_u32 s5, s29, 0
	global_load_ushort v0, v9, s[4:5]
	s_waitcnt vmcnt(0)
	ds_read_b32 v9, v0
	buffer_store_dword v0, off, s[0:3], s33 offset:440 ; 4-byte Folded Spill
	buffer_load_dword v0, off, s[0:3], s33 offset:256 ; 4-byte Folded Reload
	s_waitcnt lgkmcnt(0)
	v_readfirstlane_b32 s8, v9
	s_waitcnt vmcnt(0)
	v_cmp_ge_u32_e64 s[4:5], v0, v19
	v_mov_b32_e32 v0, 4
	s_and_saveexec_b64 s[6:7], s[4:5]
	s_cbranch_execz .LBB6_19
; %bb.10:
	buffer_load_dword v0, off, s[0:3], s33 offset:256 ; 4-byte Folded Reload
	s_waitcnt vmcnt(0)
	v_cmp_ge_u32_e64 s[4:5], v0, v8
                                        ; implicit-def: $vgpr0
	s_and_saveexec_b64 s[10:11], s[4:5]
	s_xor_b64 s[4:5], exec, s[10:11]
	s_cbranch_execz .LBB6_16
; %bb.11:
	buffer_load_dword v0, off, s[0:3], s33 offset:256 ; 4-byte Folded Reload
	v_cndmask_b32_e64 v9, 0, 1, vcc
	v_sub_u32_e32 v9, v1, v9
	s_waitcnt vmcnt(0)
	v_cmp_ge_u32_e32 vcc, v0, v9
	s_and_saveexec_b64 s[10:11], vcc
	s_xor_b64 s[10:11], exec, s[10:11]
; %bb.12:
                                        ; implicit-def: $vgpr8
; %bb.13:
	s_or_saveexec_b64 s[10:11], s[10:11]
	v_mov_b32_e32 v0, 16
	s_xor_b64 exec, exec, s[10:11]
	s_cbranch_execz .LBB6_15
; %bb.14:
	buffer_load_dword v0, off, s[0:3], s33 offset:256 ; 4-byte Folded Reload
	v_sub_u32_e32 v8, v1, v8
	s_waitcnt vmcnt(0)
	v_cmp_lt_i32_e32 vcc, v0, v8
	v_cndmask_b32_e64 v0, 32, 0, vcc
.LBB6_15:
	s_or_b64 exec, exec, s[10:11]
.LBB6_16:
	s_andn2_saveexec_b64 s[4:5], s[4:5]
; %bb.17:
	v_mov_b32_e32 v0, 8
; %bb.18:
	s_or_b64 exec, exec, s[4:5]
.LBB6_19:
	s_or_b64 exec, exec, s[6:7]
	v_and_b32_e32 v8, 36, v0
	v_cmp_ne_u32_e32 vcc, 0, v8
	v_mov_b32_e32 v8, -1
	buffer_store_dword v0, off, s[0:3], s33 offset:72 ; 4-byte Folded Spill
	s_and_saveexec_b64 s[4:5], vcc
	s_cbranch_execz .LBB6_21
; %bb.20:
	s_trap 2
	ds_read_b32 v8, v0
.LBB6_21:
	s_or_b64 exec, exec, s[4:5]
	buffer_load_dword v0, off, s[0:3], s33 offset:72 ; 4-byte Folded Reload
	s_waitcnt vmcnt(0)
	v_and_b32_e32 v9, 24, v0
	v_cmp_ne_u32_e64 s[4:5], 0, v9
	s_and_saveexec_b64 s[6:7], s[4:5]
	s_cbranch_execz .LBB6_23
; %bb.22:
	s_trap 2
	s_waitcnt lgkmcnt(0)
	ds_read_b32 v8, v0
.LBB6_23:
	s_or_b64 exec, exec, s[6:7]
	v_mov_b32_e32 v14, 0
	v_mov_b32_e32 v15, 0
	buffer_store_dword v14, off, s[0:3], s33 offset:432 ; 4-byte Folded Spill
	s_nop 0
	buffer_store_dword v15, off, s[0:3], s33 offset:436 ; 4-byte Folded Spill
	v_mov_b32_e32 v14, 0
	v_mov_b32_e32 v15, 0
	buffer_store_dword v14, off, s[0:3], s33 offset:204 ; 4-byte Folded Spill
	s_nop 0
	buffer_store_dword v15, off, s[0:3], s33 offset:208 ; 4-byte Folded Spill
	buffer_store_dword v16, off, s[0:3], s33 offset:212 ; 4-byte Folded Spill
	;; [unrolled: 1-line block ×3, first 2 shown]
                                        ; implicit-def: $vgpr14_vgpr15
	v_lshrrev_b64 v[6:7], 31, v[6:7]
                                        ; kill: killed $vgpr14_vgpr15
                                        ; implicit-def: $vgpr14_vgpr15
                                        ; kill: killed $vgpr14_vgpr15
                                        ; implicit-def: $vgpr0
                                        ; kill: killed $vgpr0
                                        ; implicit-def: $vgpr14_vgpr15
	v_and_b32_e32 v6, 3, v6
                                        ; kill: killed $vgpr14_vgpr15
                                        ; implicit-def: $vgpr14_vgpr15
                                        ; kill: killed $vgpr14_vgpr15
                                        ; implicit-def: $vgpr14_vgpr15
                                        ; kill: killed $vgpr14_vgpr15
	s_and_saveexec_b64 s[4:5], vcc
	s_cbranch_execz .LBB6_33
; %bb.24:
	s_trap 2
	ds_read_b64 v[14:15], v0
	s_waitcnt lgkmcnt(1)
	v_ashrrev_i32_e32 v9, 31, v8
	v_lshlrev_b64 v[16:17], 3, v[8:9]
	v_and_b32_e32 v7, 0xffff, v6
	s_movk_i32 s6, 0xa8
	s_waitcnt lgkmcnt(0)
	v_add_co_u32_e32 v14, vcc, v14, v16
	v_addc_co_u32_e32 v15, vcc, v15, v17, vcc
	flat_load_dwordx2 v[14:15], v[14:15]
                                        ; implicit-def: $vgpr16_vgpr17
                                        ; kill: killed $vgpr16_vgpr17
	s_waitcnt vmcnt(0) lgkmcnt(0)
	v_mad_u64_u32 v[14:15], s[6:7], v7, s6, v[14:15]
	flat_load_dword v7, v[14:15] offset:640
	s_waitcnt vmcnt(0) lgkmcnt(0)
	v_cmp_eq_u32_e32 vcc, 1, v7
	s_and_saveexec_b64 s[6:7], vcc
	s_cbranch_execz .LBB6_26
; %bb.25:
	flat_load_dwordx2 v[20:21], v[14:15] offset:648
	s_waitcnt vmcnt(0) lgkmcnt(0)
	flat_load_dwordx2 v[16:17], v[20:21]
	s_trap 2
	s_waitcnt vmcnt(0) lgkmcnt(0)
	ds_write_b64 v0, v[16:17]
	flat_load_dwordx2 v[16:17], v[20:21] offset:8
	s_waitcnt vmcnt(0) lgkmcnt(0)
	ds_write_b64 v0, v[16:17]
	buffer_store_dword v20, off, s[0:3], s33 offset:452 ; 4-byte Folded Spill
	s_nop 0
	buffer_store_dword v21, off, s[0:3], s33 offset:456 ; 4-byte Folded Spill
	flat_load_dwordx2 v[16:17], v[20:21] offset:16
	s_waitcnt vmcnt(0) lgkmcnt(0)
	ds_write_b64 v0, v[16:17]
	buffer_load_dword v0, off, s[0:3], s33 offset:72 ; 4-byte Folded Reload
	s_waitcnt vmcnt(0)
	v_or_b32_e32 v0, 0x2000, v0
	buffer_store_dword v0, off, s[0:3], s33 offset:72 ; 4-byte Folded Spill
.LBB6_26:
	s_or_b64 exec, exec, s[6:7]
	flat_load_dwordx2 v[16:17], v[14:15] offset:608
	buffer_load_dword v0, off, s[0:3], s33 offset:72 ; 4-byte Folded Reload
	s_waitcnt vmcnt(0) lgkmcnt(0)
	v_add_co_u32_e32 v9, vcc, 3, v16
	v_and_b32_e32 v7, 32, v0
	v_addc_co_u32_e32 v17, vcc, 0, v17, vcc
	v_and_b32_e32 v16, -4, v9
	buffer_store_dword v16, off, s[0:3], s33 offset:84 ; 4-byte Folded Spill
	s_nop 0
	buffer_store_dword v17, off, s[0:3], s33 offset:88 ; 4-byte Folded Spill
	v_cmp_ne_u32_e32 vcc, 0, v7
                                        ; implicit-def: $vgpr16_vgpr17
                                        ; kill: killed $vgpr16_vgpr17
	s_and_saveexec_b64 s[6:7], vcc
	s_cbranch_execz .LBB6_28
; %bb.27:
	flat_load_dwordx2 v[16:17], v[14:15] offset:560
	s_waitcnt vmcnt(0) lgkmcnt(0)
	buffer_store_dword v16, off, s[0:3], s33 offset:64 ; 4-byte Folded Spill
	s_nop 0
	buffer_store_dword v17, off, s[0:3], s33 offset:68 ; 4-byte Folded Spill
	buffer_load_dword v20, off, s[0:3], s33 offset:84 ; 4-byte Folded Reload
	buffer_load_dword v21, off, s[0:3], s33 offset:88 ; 4-byte Folded Reload
	s_waitcnt vmcnt(0)
	flat_store_dwordx2 v[16:17], v[20:21]
.LBB6_28:
	s_or_b64 exec, exec, s[6:7]
	v_add_co_u32_e32 v16, vcc, 0x1f8, v14
	v_addc_co_u32_e32 v17, vcc, 0, v15, vcc
	buffer_store_dword v16, off, s[0:3], s33 offset:432 ; 4-byte Folded Spill
	s_nop 0
	buffer_store_dword v17, off, s[0:3], s33 offset:436 ; 4-byte Folded Spill
	buffer_load_dword v0, off, s[0:3], s33 offset:72 ; 4-byte Folded Reload
	v_mov_b32_e32 v16, 0
	v_mov_b32_e32 v17, 0
	buffer_store_dword v16, off, s[0:3], s33 offset:204 ; 4-byte Folded Spill
	s_nop 0
	buffer_store_dword v17, off, s[0:3], s33 offset:208 ; 4-byte Folded Spill
	buffer_store_dword v18, off, s[0:3], s33 offset:212 ; 4-byte Folded Spill
	;; [unrolled: 1-line block ×3, first 2 shown]
                                        ; implicit-def: $vgpr16_vgpr17
                                        ; kill: killed $vgpr16_vgpr17
                                        ; implicit-def: $vgpr16_vgpr17
                                        ; kill: killed $vgpr16_vgpr17
	s_waitcnt vmcnt(0)
	v_and_b32_e32 v7, 4, v0
	v_cmp_ne_u32_e32 vcc, 0, v7
                                        ; implicit-def: $vgpr0
                                        ; kill: killed $vgpr0
	s_and_saveexec_b64 s[6:7], vcc
	s_cbranch_execz .LBB6_32
; %bb.29:
	buffer_load_dword v0, off, s[0:3], s33 offset:72 ; 4-byte Folded Reload
	s_waitcnt vmcnt(0)
	v_and_b32_e32 v7, 0x800, v0
	v_cmp_eq_u32_e32 vcc, 0, v7
	s_and_saveexec_b64 s[10:11], vcc
	s_cbranch_execz .LBB6_31
; %bb.30:
	s_trap 2
	buffer_load_dword v16, off, s[0:3], s33 offset:432 ; 4-byte Folded Reload
	buffer_load_dword v17, off, s[0:3], s33 offset:436 ; 4-byte Folded Reload
	s_waitcnt vmcnt(0)
	ds_write_b64 v0, v[16:17]
.LBB6_31:
	s_or_b64 exec, exec, s[10:11]
	flat_load_dwordx2 v[16:17], v[14:15] offset:552
	s_waitcnt vmcnt(0) lgkmcnt(0)
	buffer_store_dword v16, off, s[0:3], s33 offset:64 ; 4-byte Folded Spill
	s_nop 0
	buffer_store_dword v17, off, s[0:3], s33 offset:68 ; 4-byte Folded Spill
	flat_load_dwordx2 v[16:17], v[16:17] glc
	s_waitcnt vmcnt(0) lgkmcnt(0)
	buffer_store_dword v16, off, s[0:3], s33 offset:56 ; 4-byte Folded Spill
	s_nop 0
	buffer_store_dword v17, off, s[0:3], s33 offset:60 ; 4-byte Folded Spill
	flat_load_dwordx2 v[16:17], v[14:15] offset:600
	s_nop 0
	flat_load_dword v0, v[14:15] offset:576
	s_nop 0
	flat_load_dwordx2 v[14:15], v[14:15] offset:520
	s_waitcnt vmcnt(0) lgkmcnt(0)
	buffer_store_dword v0, off, s[0:3], s33 offset:232 ; 4-byte Folded Spill
	buffer_store_dword v14, off, s[0:3], s33 offset:196 ; 4-byte Folded Spill
	s_nop 0
	buffer_store_dword v15, off, s[0:3], s33 offset:200 ; 4-byte Folded Spill
	buffer_load_dword v0, off, s[0:3], s33 offset:72 ; 4-byte Folded Reload
	v_mov_b32_e32 v14, v16
	v_mov_b32_e32 v15, v17
	buffer_store_dword v14, off, s[0:3], s33 offset:204 ; 4-byte Folded Spill
	s_nop 0
	buffer_store_dword v15, off, s[0:3], s33 offset:208 ; 4-byte Folded Spill
	buffer_store_dword v16, off, s[0:3], s33 offset:212 ; 4-byte Folded Spill
	;; [unrolled: 1-line block ×3, first 2 shown]
	v_cmp_eq_u64_e32 vcc, 0, v[16:17]
	s_waitcnt vmcnt(4)
	v_or_b32_e32 v7, 0x100, v0
	v_cndmask_b32_e32 v0, v7, v0, vcc
	buffer_store_dword v0, off, s[0:3], s33 offset:72 ; 4-byte Folded Spill
.LBB6_32:
	s_or_b64 exec, exec, s[6:7]
.LBB6_33:
	s_or_b64 exec, exec, s[4:5]
	buffer_load_dword v0, off, s[0:3], s33 offset:72 ; 4-byte Folded Reload
                                        ; implicit-def: $vgpr14_vgpr15
                                        ; kill: killed $vgpr14_vgpr15
	s_waitcnt vmcnt(0)
	v_and_b32_e32 v7, 24, v0
	v_cmp_ne_u32_e32 vcc, 0, v7
	s_and_saveexec_b64 s[4:5], vcc
	s_cbranch_execz .LBB6_41
; %bb.34:
	s_trap 2
	ds_read_b64 v[14:15], v0
	s_waitcnt lgkmcnt(0)
	v_ashrrev_i32_e32 v9, 31, v8
	v_lshlrev_b64 v[7:8], 3, v[8:9]
	v_and_b32_e32 v6, 0xffff, v6
	s_movk_i32 s6, 0xa8
	v_add_co_u32_e32 v7, vcc, v14, v7
	v_addc_co_u32_e32 v8, vcc, v15, v8, vcc
	flat_load_dwordx2 v[7:8], v[7:8]
	s_waitcnt vmcnt(0) lgkmcnt(0)
	v_mad_u64_u32 v[6:7], s[6:7], v6, s6, v[7:8]
	buffer_store_dword v6, off, s[0:3], s33 offset:432 ; 4-byte Folded Spill
	s_nop 0
	buffer_store_dword v7, off, s[0:3], s33 offset:436 ; 4-byte Folded Spill
	buffer_load_dword v0, off, s[0:3], s33 offset:72 ; 4-byte Folded Reload
	flat_load_dwordx4 v[14:17], v[6:7] offset:96
	s_waitcnt vmcnt(0) lgkmcnt(0)
	buffer_store_dword v14, off, s[0:3], s33 offset:204 ; 4-byte Folded Spill
	s_nop 0
	buffer_store_dword v15, off, s[0:3], s33 offset:208 ; 4-byte Folded Spill
	buffer_store_dword v16, off, s[0:3], s33 offset:212 ; 4-byte Folded Spill
	;; [unrolled: 1-line block ×3, first 2 shown]
	v_or_b32_e32 v6, 0x100, v0
	v_cmp_eq_u64_e32 vcc, 0, v[14:15]
	v_cndmask_b32_e32 v0, v6, v0, vcc
	v_and_b32_e32 v6, 16, v0
	v_cmp_ne_u32_e32 vcc, 0, v6
	buffer_store_dword v0, off, s[0:3], s33 offset:72 ; 4-byte Folded Spill
                                        ; implicit-def: $vgpr6_vgpr7
                                        ; kill: killed $vgpr6_vgpr7
	s_and_saveexec_b64 s[6:7], vcc
	s_cbranch_execz .LBB6_36
; %bb.35:
	buffer_load_dword v6, off, s[0:3], s33 offset:432 ; 4-byte Folded Reload
	buffer_load_dword v7, off, s[0:3], s33 offset:436 ; 4-byte Folded Reload
	s_waitcnt vmcnt(0)
	flat_load_dwordx2 v[8:9], v[6:7] offset:48
	s_waitcnt vmcnt(0) lgkmcnt(0)
	buffer_store_dword v8, off, s[0:3], s33 offset:64 ; 4-byte Folded Spill
	s_nop 0
	buffer_store_dword v9, off, s[0:3], s33 offset:68 ; 4-byte Folded Spill
	flat_load_dwordx2 v[8:9], v[6:7] offset:120
	s_waitcnt vmcnt(0) lgkmcnt(0)
	buffer_store_dword v8, off, s[0:3], s33 offset:220 ; 4-byte Folded Spill
	s_nop 0
	buffer_store_dword v9, off, s[0:3], s33 offset:224 ; 4-byte Folded Spill
	;; [unrolled: 5-line block ×3, first 2 shown]
.LBB6_36:
	s_or_b64 exec, exec, s[6:7]
	buffer_load_dword v6, off, s[0:3], s33 offset:204 ; 4-byte Folded Reload
	buffer_load_dword v7, off, s[0:3], s33 offset:208 ; 4-byte Folded Reload
	;; [unrolled: 1-line block ×4, first 2 shown]
	s_waitcnt vmcnt(1)
	v_add_co_u32_e32 v6, vcc, 3, v8
	s_waitcnt vmcnt(0)
	v_addc_co_u32_e32 v7, vcc, 0, v9, vcc
	v_and_b32_e32 v6, -4, v6
	buffer_store_dword v6, off, s[0:3], s33 offset:84 ; 4-byte Folded Spill
	s_nop 0
	buffer_store_dword v7, off, s[0:3], s33 offset:88 ; 4-byte Folded Spill
	buffer_load_dword v0, off, s[0:3], s33 offset:72 ; 4-byte Folded Reload
	s_waitcnt vmcnt(0)
	v_and_b32_e32 v6, 8, v0
	v_cmp_ne_u32_e32 vcc, 0, v6
	s_and_saveexec_b64 s[6:7], vcc
	s_cbranch_execz .LBB6_40
; %bb.37:
	buffer_load_dword v0, off, s[0:3], s33 offset:72 ; 4-byte Folded Reload
	s_waitcnt vmcnt(0)
	v_and_b32_e32 v6, 0x800, v0
	v_cmp_eq_u32_e32 vcc, 0, v6
	s_and_saveexec_b64 s[10:11], vcc
	s_cbranch_execz .LBB6_39
; %bb.38:
	s_trap 2
	buffer_load_dword v6, off, s[0:3], s33 offset:432 ; 4-byte Folded Reload
	buffer_load_dword v7, off, s[0:3], s33 offset:436 ; 4-byte Folded Reload
	s_waitcnt vmcnt(0)
	ds_write_b64 v0, v[6:7]
.LBB6_39:
	s_or_b64 exec, exec, s[10:11]
	buffer_load_dword v6, off, s[0:3], s33 offset:432 ; 4-byte Folded Reload
	buffer_load_dword v7, off, s[0:3], s33 offset:436 ; 4-byte Folded Reload
	s_waitcnt vmcnt(0)
	flat_load_dwordx2 v[8:9], v[6:7] offset:56
	s_waitcnt vmcnt(0) lgkmcnt(0)
	buffer_store_dword v8, off, s[0:3], s33 offset:64 ; 4-byte Folded Spill
	s_nop 0
	buffer_store_dword v9, off, s[0:3], s33 offset:68 ; 4-byte Folded Spill
	flat_load_dwordx2 v[8:9], v[8:9] glc
	s_waitcnt vmcnt(0) lgkmcnt(0)
	buffer_store_dword v8, off, s[0:3], s33 offset:56 ; 4-byte Folded Spill
	s_nop 0
	buffer_store_dword v9, off, s[0:3], s33 offset:60 ; 4-byte Folded Spill
	flat_load_dword v0, v[6:7] offset:72
	s_nop 0
	flat_load_dwordx2 v[6:7], v[6:7] offset:16
	s_waitcnt vmcnt(0) lgkmcnt(0)
	buffer_store_dword v0, off, s[0:3], s33 offset:232 ; 4-byte Folded Spill
	buffer_store_dword v6, off, s[0:3], s33 offset:196 ; 4-byte Folded Spill
	s_nop 0
	buffer_store_dword v7, off, s[0:3], s33 offset:200 ; 4-byte Folded Spill
.LBB6_40:
	s_or_b64 exec, exec, s[6:7]
.LBB6_41:
	s_or_b64 exec, exec, s[4:5]
	buffer_load_dword v0, off, s[0:3], s33 offset:256 ; 4-byte Folded Reload
	s_waitcnt vmcnt(0)
	v_cmp_eq_u32_e64 s[4:5], 0, v0
	s_and_saveexec_b64 s[6:7], s[4:5]
	s_cbranch_execz .LBB6_43
; %bb.42:
	flat_load_dwordx2 v[6:7], v[2:3] offset:32
	s_waitcnt lgkmcnt(0)
	v_mov_b32_e32 v8, v12
	v_mov_b32_e32 v9, v13
	ds_write2_b64 v0, v[8:9], v[10:11] offset1:1
	s_trap 2
	s_waitcnt vmcnt(0)
	ds_write_b64 v0, v[6:7]
	ds_write_b64 v0, v[4:5]
.LBB6_43:
	s_or_b64 exec, exec, s[6:7]
	v_mov_b32_e32 v4, 0
	v_mov_b32_e32 v5, 0
	buffer_store_dword v4, off, s[0:3], s33 offset:76 ; 4-byte Folded Spill
	s_nop 0
	buffer_store_dword v5, off, s[0:3], s33 offset:80 ; 4-byte Folded Spill
	buffer_load_dword v5, off, s[0:3], s33 offset:408 ; 4-byte Folded Reload
	s_nop 0
	buffer_load_dword v6, off, s[0:3], s33 offset:412 ; 4-byte Folded Reload
	buffer_load_dword v7, off, s[0:3], s33 offset:416 ; 4-byte Folded Reload
	s_waitcnt lgkmcnt(0)
	buffer_load_dword v8, off, s[0:3], s33 offset:420 ; 4-byte Folded Reload
	s_waitcnt vmcnt(2)
	v_cmp_lt_i64_e32 vcc, 0, v[5:6]
	s_mov_b64 s[6:7], exec
	v_writelane_b32 v62, s6, 2
	v_writelane_b32 v62, s7, 3
	s_and_b64 s[6:7], s[6:7], vcc
	s_mov_b64 exec, s[6:7]
	s_cbranch_execnz .LBB6_44
; %bb.16573:
	s_getpc_b64 s[98:99]
.Lpost_getpc23:
	s_add_u32 s98, s98, (.LBB6_16518-.Lpost_getpc23)&4294967295
	s_addc_u32 s99, s99, (.LBB6_16518-.Lpost_getpc23)>>32
	s_setpc_b64 s[98:99]
.LBB6_44:
	flat_load_dword v2, v[2:3] offset:4
	v_writelane_b32 v62, s28, 4
	buffer_load_dword v3, off, s[0:3], s33 offset:256 ; 4-byte Folded Reload
	buffer_load_dword v4, off, s[0:3], s33 offset:232 ; 4-byte Folded Reload
	s_ashr_i32 s69, s68, 31
	buffer_store_dword v31, off, s[0:3], s33 offset:448 ; 4-byte Folded Spill
	v_lshrrev_b32_e32 v48, 6, v1
	v_writelane_b32 v62, s29, 5
	v_and_b32_e32 v0, 63, v31
	s_add_u32 s16, s68, -1
	v_cmp_eq_u32_e64 s[6:7], 64, v1
	v_cmp_ne_u32_e64 s[10:11], 64, v1
	v_writelane_b32 v62, s16, 6
	v_cmp_eq_u32_e64 s[16:17], 0, v0
	s_addc_u32 s24, s69, -1
	v_writelane_b32 v62, s24, 7
	s_movk_i32 s9, 0x400
	v_mov_b32_e32 v53, 0
	v_and_b32_e32 v9, 0x3ffffe00, v18
	v_mov_b32_e32 v10, v53
	s_add_i32 s96, s68, s68
	s_not_b32 s26, s68
	s_cmp_gt_i32 s68, 0
	s_cselect_b32 s26, s26, -1
	s_ashr_i32 s27, s8, 31
	s_add_i32 s97, s26, s96
	s_ashr_i32 s58, s97, 31
	s_mov_b32 s60, 0
	s_mov_b32 s62, -1
	s_mov_b32 s61, 0x1000000
	s_mov_b32 s63, 0xffffff
	s_mov_b64 s[74:75], 0
	s_movk_i32 s70, 0xfc00
	s_movk_i32 s71, 0x1000
	;; [unrolled: 1-line block ×6, first 2 shown]
	s_brev_b32 s84, 1
	s_mov_b64 s[76:77], 0x7f800000
	s_mov_b64 s[78:79], 0x43e00001
	s_movk_i32 s85, 0x7a
	s_mov_b64 s[88:89], 0xffffff
	s_waitcnt vmcnt(0)
	v_cmp_ge_u32_e32 vcc, v3, v1
	v_ashrrev_i32_e32 v4, 31, v4
	buffer_store_dword v4, off, s[0:3], s33 offset:252 ; 4-byte Folded Spill
	s_trap 2
	buffer_load_dword v4, off, s[0:3], s33 offset:440 ; 4-byte Folded Reload
	v_and_b32_e32 v7, 63, v3
	buffer_store_dword v1, off, s[0:3], s33 offset:444 ; 4-byte Folded Spill
	v_lshrrev_b32_e32 v8, 6, v3
	v_lshlrev_b32_e32 v0, 4, v7
	v_cmp_eq_u32_e64 s[18:19], 0, v7
	v_cmp_lt_u32_e64 s[20:21], v7, v19
	v_cmp_le_u32_e64 s[22:23], v7, v19
	s_waitcnt vmcnt(0)
	v_cmp_ne_u32_sdwa s[72:73], v1, v4 src0_sel:DWORD src1_sel:WORD_0
	buffer_load_dword v3, off, s[0:3], s33 offset:220 ; 4-byte Folded Reload
	buffer_load_dword v4, off, s[0:3], s33 offset:224 ; 4-byte Folded Reload
	v_and_b32_e32 v1, 0x3fc0, v1
	s_waitcnt vmcnt(0)
	v_cmp_eq_u64_e64 s[12:13], 0, v[3:4]
	v_cmp_ne_u64_e64 s[14:15], 0, v[3:4]
	v_lshlrev_b32_e32 v3, 13, v48
	v_lshlrev_b32_e32 v4, 11, v48
	buffer_store_dword v3, off, s[0:3], s33 offset:364 ; 4-byte Folded Spill
	buffer_store_dword v4, off, s[0:3], s33 offset:184 ; 4-byte Folded Spill
	;; [unrolled: 1-line block ×3, first 2 shown]
	v_lshlrev_b32_e32 v4, 12, v48
	buffer_store_dword v4, off, s[0:3], s33 offset:192 ; 4-byte Folded Spill
	buffer_store_dword v1, off, s[0:3], s33 offset:188 ; 4-byte Folded Spill
	v_subrev_u32_e32 v1, 64, v1
	v_lshl_or_b32 v4, v8, 12, v0
	v_lshlrev_b32_e32 v3, 10, v48
	buffer_store_dword v4, off, s[0:3], s33 offset:304 ; 4-byte Folded Spill
	buffer_store_dword v3, off, s[0:3], s33 offset:228 ; 4-byte Folded Spill
	v_ashrrev_i32_e32 v4, 31, v1
	v_lshl_or_b32 v0, v8, 13, v0
	buffer_store_dword v1, off, s[0:3], s33 offset:236 ; 4-byte Folded Spill
	v_add_co_u32_e64 v1, s[24:25], 64, v1
	v_add_u32_e32 v3, 0xfffffc00, v3
	buffer_store_dword v8, off, s[0:3], s33 offset:300 ; 4-byte Folded Spill
	buffer_store_dword v0, off, s[0:3], s33 offset:368 ; 4-byte Folded Spill
	;; [unrolled: 1-line block ×4, first 2 shown]
	v_addc_co_u32_e64 v1, s[24:25], 0, v4, s[24:25]
	v_ashrrev_i32_e32 v0, 31, v3
	buffer_store_dword v1, off, s[0:3], s33 offset:248 ; 4-byte Folded Spill
	v_add_co_u32_e64 v1, s[24:25], s9, v3
	buffer_store_dword v3, off, s[0:3], s33 offset:260 ; 4-byte Folded Spill
	buffer_store_dword v1, off, s[0:3], s33 offset:268 ; 4-byte Folded Spill
	;; [unrolled: 1-line block ×3, first 2 shown]
	v_addc_co_u32_e64 v0, s[24:25], 0, v0, s[24:25]
	buffer_store_dword v0, off, s[0:3], s33 offset:272 ; 4-byte Folded Spill
	buffer_store_dword v9, off, s[0:3], s33 offset:356 ; 4-byte Folded Spill
	s_nop 0
	buffer_store_dword v10, off, s[0:3], s33 offset:360 ; 4-byte Folded Spill
	s_lshr_b32 s9, s27, 25
	s_add_i32 s8, s8, s9
	s_ashr_i32 s59, s8, 7
	s_waitcnt lgkmcnt(0)
	v_and_b32_e32 v0, 1, v2
	s_cmp_gt_i32 s68, 2
	v_cmp_eq_u32_e64 s[24:25], 1, v0
	s_cselect_b64 s[90:91], -1, 0
	s_add_i32 s8, s68, 1
	s_xor_b64 s[92:93], s[24:25], -1
	s_cmp_ge_i32 s8, s68
	s_cselect_b32 s9, s68, 0
	s_sub_i32 s57, s8, s9
	v_mov_b32_e32 v7, 0
	v_mov_b32_e32 v0, 0
	s_add_i32 s56, s68, -2
	s_xor_b64 s[94:95], vcc, -1
	s_ashr_i32 s86, s57, 31
	v_mov_b32_e32 v8, 0
	v_mov_b32_e32 v1, 0
	v_mad_i64_i32 v[2:3], s[8:9], v9, s68, 0
	buffer_store_dword v0, off, s[0:3], s33 offset:76 ; 4-byte Folded Spill
	s_nop 0
	buffer_store_dword v1, off, s[0:3], s33 offset:80 ; 4-byte Folded Spill
	buffer_store_dword v48, off, s[0:3], s33 offset:92 ; 4-byte Folded Spill
	;; [unrolled: 1-line block ×3, first 2 shown]
	s_nop 0
	buffer_store_dword v3, off, s[0:3], s33 offset:428 ; 4-byte Folded Spill
	s_branch .LBB6_47
.LBB6_45:                               ;   in Loop: Header=BB6_47 Depth=1
	s_or_b64 exec, exec, s[40:41]
.LBB6_46:                               ;   in Loop: Header=BB6_47 Depth=1
	s_or_b64 exec, exec, s[28:29]
	buffer_load_dword v2, off, s[0:3], s33 offset:424 ; 4-byte Folded Reload
	buffer_load_dword v3, off, s[0:3], s33 offset:428 ; 4-byte Folded Reload
	;; [unrolled: 1-line block ×8, first 2 shown]
	s_waitcnt vmcnt(0)
	v_add_co_u32_e32 v0, vcc, v0, v2
	v_addc_co_u32_e32 v1, vcc, v1, v3, vcc
	v_mov_b32_e32 v8, v1
	v_mov_b32_e32 v7, v0
	v_cmp_ge_i64_e32 vcc, v[7:8], v[5:6]
	s_or_b64 s[74:75], vcc, s[74:75]
	s_andn2_b64 exec, exec, s[74:75]
	s_cbranch_execnz .LBB6_47
; %bb.16575:
	s_getpc_b64 s[98:99]
.Lpost_getpc24:
	s_add_u32 s98, s98, (.LBB6_16517-.Lpost_getpc24)&4294967295
	s_addc_u32 s99, s99, (.LBB6_16517-.Lpost_getpc24)>>32
	s_setpc_b64 s[98:99]
.LBB6_47:                               ; =>This Loop Header: Depth=1
                                        ;     Child Loop BB6_57 Depth 2
                                        ;       Child Loop BB6_65 Depth 3
                                        ;       Child Loop BB6_89 Depth 3
	;; [unrolled: 1-line block ×9, first 2 shown]
                                        ;     Child Loop BB6_197 Depth 2
                                        ;       Child Loop BB6_203 Depth 3
                                        ;       Child Loop BB6_227 Depth 3
	;; [unrolled: 1-line block ×3, first 2 shown]
                                        ;     Child Loop BB6_269 Depth 2
                                        ;       Child Loop BB6_272 Depth 3
                                        ;         Child Loop BB6_280 Depth 4
                                        ;         Child Loop BB6_308 Depth 4
	;; [unrolled: 1-line block ×9, first 2 shown]
                                        ;       Child Loop BB6_5520 Depth 3
                                        ;         Child Loop BB6_5526 Depth 4
                                        ;         Child Loop BB6_5554 Depth 4
                                        ;         Child Loop BB6_5573 Depth 4
                                        ;     Child Loop BB6_5595 Depth 2
                                        ;       Child Loop BB6_5603 Depth 3
                                        ;       Child Loop BB6_5631 Depth 3
	;; [unrolled: 1-line block ×9, first 2 shown]
                                        ;         Child Loop BB6_9156 Depth 4
                                        ;       Child Loop BB6_9212 Depth 3
                                        ;       Child Loop BB6_10752 Depth 3
                                        ;         Child Loop BB6_10801 Depth 4
                                        ;       Child Loop BB6_15942 Depth 3
                                        ;       Child Loop BB6_15961 Depth 3
                                        ;     Child Loop BB6_15979 Depth 2
                                        ;       Child Loop BB6_15985 Depth 3
                                        ;       Child Loop BB6_16013 Depth 3
	;; [unrolled: 1-line block ×3, first 2 shown]
                                        ;     Child Loop BB6_16055 Depth 2
                                        ;       Child Loop BB6_16058 Depth 3
                                        ;         Child Loop BB6_16066 Depth 4
                                        ;         Child Loop BB6_16094 Depth 4
	;; [unrolled: 1-line block ×9, first 2 shown]
                                        ;           Child Loop BB6_16148 Depth 5
                                        ;         Child Loop BB6_16155 Depth 4
                                        ;         Child Loop BB6_16160 Depth 4
                                        ;           Child Loop BB6_16161 Depth 5
                                        ;         Child Loop BB6_16197 Depth 4
                                        ;         Child Loop BB6_16216 Depth 4
                                        ;       Child Loop BB6_16234 Depth 3
                                        ;         Child Loop BB6_16240 Depth 4
                                        ;         Child Loop BB6_16268 Depth 4
                                        ;         Child Loop BB6_16291 Depth 4
                                        ;     Child Loop BB6_16313 Depth 2
                                        ;       Child Loop BB6_16321 Depth 3
                                        ;       Child Loop BB6_16345 Depth 3
	;; [unrolled: 1-line block ×9, first 2 shown]
                                        ;     Child Loop BB6_16451 Depth 2
                                        ;       Child Loop BB6_16457 Depth 3
                                        ;       Child Loop BB6_16481 Depth 3
	;; [unrolled: 1-line block ×3, first 2 shown]
	buffer_store_dword v7, off, s[0:3], s33 offset:380 ; 4-byte Folded Spill
	s_nop 0
	buffer_store_dword v8, off, s[0:3], s33 offset:384 ; 4-byte Folded Spill
	v_sub_co_u32_e32 v0, vcc, v5, v7
	v_subb_co_u32_e32 v1, vcc, v6, v8, vcc
	buffer_store_dword v0, off, s[0:3], s33 offset:348 ; 4-byte Folded Spill
	s_nop 0
	buffer_store_dword v1, off, s[0:3], s33 offset:352 ; 4-byte Folded Spill
	v_cmp_lt_i64_e32 vcc, v[0:1], v[2:3]
	s_and_saveexec_b64 s[28:29], vcc
	s_cbranch_execz .LBB6_53
; %bb.48:                               ;   in Loop: Header=BB6_47 Depth=1
	buffer_load_dword v2, off, s[0:3], s33 offset:348 ; 4-byte Folded Reload
	buffer_load_dword v3, off, s[0:3], s33 offset:352 ; 4-byte Folded Reload
	v_readlane_b32 s8, v62, 7
	v_mov_b32_e32 v0, s8
	v_readlane_b32 s8, v62, 6
	s_waitcnt vmcnt(0)
	v_add_co_u32_e32 v2, vcc, s8, v2
	s_waitcnt vmcnt(0)
	v_addc_co_u32_e32 v3, vcc, v0, v3, vcc
	v_or_b32_e32 v1, s69, v3
	v_mov_b32_e32 v0, v53
	v_cmp_ne_u64_e32 vcc, 0, v[0:1]
                                        ; implicit-def: $vgpr0_vgpr1
	s_and_saveexec_b64 s[8:9], vcc
	s_xor_b64 s[40:41], exec, s[8:9]
	s_cbranch_execz .LBB6_50
; %bb.49:                               ;   in Loop: Header=BB6_47 Depth=1
	s_ashr_i32 s42, s69, 31
	s_add_u32 s8, s68, s42
	s_mov_b32 s43, s42
	s_addc_u32 s9, s69, s42
	s_xor_b64 s[44:45], s[8:9], s[42:43]
	v_cvt_f32_u32_e32 v0, s44
	v_cvt_f32_u32_e32 v1, s45
	s_sub_u32 s26, 0, s44
	s_subb_u32 s27, 0, s45
	v_ashrrev_i32_e32 v4, 31, v3
	v_mac_f32_e32 v0, 0x4f800000, v1
	v_rcp_f32_e32 v0, v0
	v_mul_f32_e32 v0, 0x5f7ffffc, v0
	v_mul_f32_e32 v1, 0x2f800000, v0
	v_trunc_f32_e32 v1, v1
	v_mac_f32_e32 v0, 0xcf800000, v1
	v_cvt_u32_f32_e32 v1, v1
	v_cvt_u32_f32_e32 v0, v0
	v_readfirstlane_b32 s43, v1
	v_readfirstlane_b32 s8, v0
	s_mul_i32 s9, s26, s43
	s_mul_hi_u32 s47, s26, s8
	s_mul_i32 s46, s27, s8
	s_add_i32 s9, s47, s9
	s_add_i32 s9, s9, s46
	s_mul_i32 vcc_lo, s26, s8
	s_mul_i32 s47, s8, s9
	s_mul_hi_u32 vcc_hi, s8, vcc_lo
	s_mul_hi_u32 s46, s8, s9
	s_add_u32 s47, vcc_hi, s47
	s_addc_u32 s46, 0, s46
	s_mul_hi_u32 s30, s43, vcc_lo
	s_mul_i32 vcc_lo, s43, vcc_lo
	s_add_u32 s47, s47, vcc_lo
	s_mul_hi_u32 vcc_hi, s43, s9
	s_addc_u32 s46, s46, s30
	s_addc_u32 s47, vcc_hi, 0
	s_mul_i32 s9, s43, s9
	s_add_u32 s9, s46, s9
	s_addc_u32 s46, 0, s47
	s_add_u32 s47, s8, s9
	s_cselect_b64 s[8:9], -1, 0
	s_cmp_lg_u64 s[8:9], 0
	s_addc_u32 s43, s43, s46
	s_mul_i32 s8, s26, s43
	s_mul_hi_u32 s9, s26, s47
	s_add_i32 s8, s9, s8
	s_mul_i32 s27, s27, s47
	s_add_i32 s8, s8, s27
	s_mul_i32 s26, s26, s47
	s_mul_hi_u32 s27, s43, s26
	s_mul_i32 s46, s43, s26
	s_mul_i32 vcc_hi, s47, s8
	s_mul_hi_u32 s26, s47, s26
	s_mul_hi_u32 vcc_lo, s47, s8
	s_add_u32 s26, s26, vcc_hi
	s_addc_u32 vcc_lo, 0, vcc_lo
	s_add_u32 s26, s26, s46
	s_mul_hi_u32 s9, s43, s8
	s_addc_u32 s26, vcc_lo, s27
	s_addc_u32 s9, s9, 0
	s_mul_i32 s8, s43, s8
	s_add_u32 s8, s26, s8
	s_addc_u32 s26, 0, s9
	s_add_u32 s27, s47, s8
	s_cselect_b64 s[8:9], -1, 0
	s_cmp_lg_u64 s[8:9], 0
	v_add_co_u32_e32 v0, vcc, v2, v4
	s_addc_u32 s26, s43, s26
	v_xor_b32_e32 v5, v0, v4
	v_addc_co_u32_e32 v2, vcc, v3, v4, vcc
	v_mad_u64_u32 v[0:1], s[8:9], v5, s26, 0
	v_mul_hi_u32 v3, v5, s27
	v_xor_b32_e32 v6, v2, v4
	v_add_co_u32_e32 v7, vcc, v3, v0
	v_addc_co_u32_e32 v8, vcc, 0, v1, vcc
	v_mad_u64_u32 v[0:1], s[8:9], v6, s27, 0
	v_mad_u64_u32 v[2:3], s[8:9], v6, s26, 0
	v_add_co_u32_e32 v0, vcc, v7, v0
	v_addc_co_u32_e32 v0, vcc, v8, v1, vcc
	v_addc_co_u32_e32 v1, vcc, 0, v3, vcc
	v_add_co_u32_e32 v2, vcc, v0, v2
	v_addc_co_u32_e32 v3, vcc, 0, v1, vcc
	v_mul_lo_u32 v7, s45, v2
	v_mul_lo_u32 v8, s44, v3
	v_mad_u64_u32 v[0:1], s[8:9], s44, v2, 0
	v_add3_u32 v1, v1, v8, v7
	v_sub_u32_e32 v7, v6, v1
	v_mov_b32_e32 v8, s45
	v_sub_co_u32_e32 v0, vcc, v5, v0
	v_subb_co_u32_e64 v5, s[26:27], v7, v8, vcc
	v_subrev_co_u32_e64 v7, s[26:27], s44, v0
	v_subbrev_co_u32_e64 v5, s[26:27], 0, v5, s[26:27]
	v_cmp_le_u32_e64 s[26:27], s45, v5
	v_cndmask_b32_e64 v8, 0, -1, s[26:27]
	v_cmp_le_u32_e64 s[26:27], s44, v7
	v_cndmask_b32_e64 v7, 0, -1, s[26:27]
	v_cmp_eq_u32_e64 s[26:27], s45, v5
	v_cndmask_b32_e64 v5, v8, v7, s[26:27]
	v_add_co_u32_e64 v7, s[26:27], 2, v2
	v_subb_co_u32_e32 v1, vcc, v6, v1, vcc
	v_addc_co_u32_e64 v8, s[26:27], 0, v3, s[26:27]
	v_cmp_le_u32_e32 vcc, s45, v1
	v_add_co_u32_e64 v9, s[26:27], 1, v2
	v_cndmask_b32_e64 v6, 0, -1, vcc
	v_cmp_le_u32_e32 vcc, s44, v0
	v_addc_co_u32_e64 v10, s[26:27], 0, v3, s[26:27]
	v_cndmask_b32_e64 v0, 0, -1, vcc
	v_cmp_eq_u32_e32 vcc, s45, v1
	v_cmp_ne_u32_e64 s[26:27], 0, v5
	v_cndmask_b32_e32 v0, v6, v0, vcc
	v_cndmask_b32_e64 v5, v10, v8, s[26:27]
	v_cmp_ne_u32_e32 vcc, 0, v0
	v_cndmask_b32_e64 v1, v9, v7, s[26:27]
	v_cndmask_b32_e32 v0, v3, v5, vcc
	v_cndmask_b32_e32 v1, v2, v1, vcc
	v_xor_b32_e32 v2, s42, v4
	v_xor_b32_e32 v3, v0, v2
	;; [unrolled: 1-line block ×3, first 2 shown]
	v_sub_co_u32_e32 v0, vcc, v0, v2
	v_subb_co_u32_e32 v1, vcc, v3, v2, vcc
                                        ; implicit-def: $vgpr2
.LBB6_50:                               ;   in Loop: Header=BB6_47 Depth=1
	s_andn2_saveexec_b64 s[40:41], s[40:41]
	s_cbranch_execz .LBB6_52
; %bb.51:                               ;   in Loop: Header=BB6_47 Depth=1
	v_cvt_f32_u32_e32 v0, s68
	s_sub_i32 s8, 0, s68
	v_rcp_iflag_f32_e32 v0, v0
	v_mul_f32_e32 v0, 0x4f7ffffe, v0
	v_cvt_u32_f32_e32 v0, v0
	v_mul_lo_u32 v1, s8, v0
	v_mul_hi_u32 v1, v0, v1
	v_add_u32_e32 v0, v0, v1
	v_mul_hi_u32 v0, v2, v0
	v_mul_lo_u32 v1, v0, s68
	v_sub_u32_e32 v1, v2, v1
	v_cmp_le_u32_e32 vcc, s68, v1
	v_subrev_u32_e32 v2, s68, v1
	v_cndmask_b32_e32 v1, v1, v2, vcc
	v_cmp_le_u32_e64 s[26:27], s68, v1
	v_add_u32_e32 v1, 1, v0
	v_cndmask_b32_e32 v0, v0, v1, vcc
	v_add_u32_e32 v1, 1, v0
	v_cndmask_b32_e64 v0, v0, v1, s[26:27]
	v_mov_b32_e32 v1, v53
.LBB6_52:                               ;   in Loop: Header=BB6_47 Depth=1
	s_or_b64 exec, exec, s[40:41]
	v_add_co_u32_e32 v0, vcc, 15, v0
	v_addc_co_u32_e32 v1, vcc, 0, v1, vcc
	v_and_b32_e32 v0, -16, v0
	buffer_store_dword v0, off, s[0:3], s33 offset:356 ; 4-byte Folded Spill
	s_nop 0
	buffer_store_dword v1, off, s[0:3], s33 offset:360 ; 4-byte Folded Spill
.LBB6_53:                               ;   in Loop: Header=BB6_47 Depth=1
	s_or_b64 exec, exec, s[28:29]
	buffer_load_dword v4, off, s[0:3], s33 offset:356 ; 4-byte Folded Reload
	buffer_load_dword v5, off, s[0:3], s33 offset:360 ; 4-byte Folded Reload
	v_mov_b32_e32 v17, 0
	s_waitcnt vmcnt(0)
	v_mul_lo_u32 v1, v4, s58
	s_waitcnt vmcnt(0)
	v_mul_lo_u32 v0, v5, s97
	v_mad_u64_u32 v[8:9], s[8:9], v4, s97, 0
	v_add3_u32 v9, v9, v1, v0
	buffer_load_dword v0, off, s[0:3], s33 offset:400 ; 4-byte Folded Reload
	buffer_load_dword v1, off, s[0:3], s33 offset:404 ; 4-byte Folded Reload
	;; [unrolled: 1-line block ×4, first 2 shown]
	s_waitcnt vmcnt(0)
	v_add_co_u32_e32 v0, vcc, v2, v0
	buffer_store_dword v0, off, s[0:3], s33 offset:276 ; 4-byte Folded Spill
	s_waitcnt vmcnt(1)
	v_addc_co_u32_e32 v0, vcc, v3, v1, vcc
	buffer_store_dword v0, off, s[0:3], s33 offset:280 ; 4-byte Folded Spill
	buffer_load_dword v0, off, s[0:3], s33 offset:348 ; 4-byte Folded Reload
	s_nop 0
	buffer_load_dword v1, off, s[0:3], s33 offset:352 ; 4-byte Folded Reload
	s_waitcnt vmcnt(0)
	v_sub_co_u32_e32 v0, vcc, v0, v8
	s_waitcnt vmcnt(0)
	v_subb_co_u32_e32 v1, vcc, v1, v9, vcc
	v_cmp_lt_i64_e32 vcc, v[4:5], v[0:1]
	v_cndmask_b32_e32 v1, v0, v4, vcc
	v_max_i32_e32 v16, 0, v1
	v_add_u32_e32 v2, 31, v16
	v_lshrrev_b32_e32 v2, 1, v2
	v_and_b32_e32 v2, 0x3ffffff0, v2
	v_cmp_lt_i32_e32 vcc, 0, v1
	v_mov_b32_e32 v0, 0
	v_max_i32_e32 v4, s59, v2
	s_and_b64 s[8:9], s[94:95], vcc
	s_and_saveexec_b64 s[28:29], s[8:9]
	s_cbranch_execz .LBB6_193
; %bb.54:                               ;   in Loop: Header=BB6_47 Depth=1
	s_mov_b32 s8, 1
	s_mov_b64 s[42:43], -1
	v_mov_b32_e32 v17, 0
	s_mov_b64 s[40:41], 0
	s_branch .LBB6_57
.LBB6_55:                               ;   in Loop: Header=BB6_57 Depth=2
	s_or_b64 exec, exec, s[44:45]
	buffer_load_dword v2, off, s[0:3], s33 offset:84 ; 4-byte Folded Reload
	buffer_load_dword v3, off, s[0:3], s33 offset:88 ; 4-byte Folded Reload
	;; [unrolled: 1-line block ×4, first 2 shown]
	s_waitcnt vmcnt(0)
	v_add_co_u32_e32 v2, vcc, 2, v2
	v_addc_co_u32_e32 v3, vcc, 0, v3, vcc
	buffer_store_dword v2, off, s[0:3], s33 offset:84 ; 4-byte Folded Spill
	s_nop 0
	buffer_store_dword v3, off, s[0:3], s33 offset:88 ; 4-byte Folded Spill
	flat_store_dwordx2 v[0:1], v[2:3]
.LBB6_56:                               ;   in Loop: Header=BB6_57 Depth=2
	s_or_b64 exec, exec, s[26:27]
	v_add_u32_e32 v17, v4, v17
	v_cmp_ge_i32_e32 vcc, v17, v16
	s_xor_b64 s[26:27], s[42:43], -1
	s_or_b64 s[26:27], s[26:27], vcc
	s_and_b64 s[26:27], exec, s[26:27]
	s_or_b64 s[40:41], s[26:27], s[40:41]
	s_mov_b64 s[42:43], 0
	v_mov_b32_e32 v0, s8
	s_mov_b32 s8, 2
	s_andn2_b64 exec, exec, s[40:41]
	s_cbranch_execz .LBB6_192
.LBB6_57:                               ;   Parent Loop BB6_47 Depth=1
                                        ; =>  This Loop Header: Depth=2
                                        ;       Child Loop BB6_65 Depth 3
                                        ;       Child Loop BB6_89 Depth 3
	;; [unrolled: 1-line block ×9, first 2 shown]
	s_and_saveexec_b64 s[26:27], s[4:5]
	s_cbranch_execz .LBB6_59
; %bb.58:                               ;   in Loop: Header=BB6_57 Depth=2
	s_trap 2
	buffer_load_dword v2, off, s[0:3], s33 offset:276 ; 4-byte Folded Reload
	ds_read_b64 v[0:1], v0
	s_waitcnt vmcnt(0) lgkmcnt(0)
	v_add_co_u32_e32 v0, vcc, v0, v2
	buffer_load_dword v2, off, s[0:3], s33 offset:280 ; 4-byte Folded Reload
	s_waitcnt vmcnt(0)
	v_addc_co_u32_e32 v1, vcc, v1, v2, vcc
	v_add_co_u32_e32 v0, vcc, v0, v8
	v_addc_co_u32_e32 v1, vcc, v1, v9, vcc
	v_ashrrev_i32_e32 v2, 31, v17
	v_add_co_u32_e32 v0, vcc, v0, v17
	v_addc_co_u32_e32 v1, vcc, v1, v2, vcc
	ds_write_b64 v0, v[0:1]
	v_mov_b32_e32 v0, v53
	v_mov_b32_e32 v1, v53
	ds_write_b64 v0, v[0:1]
.LBB6_59:                               ;   in Loop: Header=BB6_57 Depth=2
	s_or_b64 exec, exec, s[26:27]
	v_sub_u32_e32 v0, v16, v17
	v_min_i32_e32 v4, v4, v0
	buffer_load_dword v0, off, s[0:3], s33 offset:72 ; 4-byte Folded Reload
	s_waitcnt vmcnt(0)
	v_and_b32_e32 v0, 8, v0
	v_cmp_ne_u32_e32 vcc, 0, v0
	s_and_saveexec_b64 s[44:45], vcc
	s_cbranch_execz .LBB6_81
; %bb.60:                               ;   in Loop: Header=BB6_57 Depth=2
	buffer_load_dword v0, off, s[0:3], s33 offset:56 ; 4-byte Folded Reload
	buffer_load_dword v1, off, s[0:3], s33 offset:60 ; 4-byte Folded Reload
	;; [unrolled: 1-line block ×4, first 2 shown]
	s_waitcnt vmcnt(0)
	v_add_co_u32_e32 v0, vcc, 8, v0
	s_waitcnt vmcnt(2)
	v_addc_co_u32_e32 v1, vcc, 0, v1, vcc
	s_waitcnt vmcnt(1)
	v_add_co_u32_e32 v2, vcc, 2, v2
	s_waitcnt vmcnt(0)
	v_addc_co_u32_e32 v3, vcc, 0, v3, vcc
	v_cmp_lt_u64_e32 vcc, v[0:1], v[2:3]
	s_and_saveexec_b64 s[46:47], vcc
	s_cbranch_execz .LBB6_72
; %bb.61:                               ;   in Loop: Header=BB6_57 Depth=2
	buffer_load_dword v0, off, s[0:3], s33 offset:72 ; 4-byte Folded Reload
	s_mov_b32 s9, 0
	s_mov_b64 s[30:31], 0
                                        ; implicit-def: $sgpr34_sgpr35
                                        ; implicit-def: $sgpr36_sgpr37
                                        ; implicit-def: $sgpr38_sgpr39
	s_waitcnt vmcnt(0)
	v_and_b32_e32 v0, 64, v0
	v_cmp_eq_u32_e32 vcc, 0, v0
	s_branch .LBB6_65
.LBB6_62:                               ;   in Loop: Header=BB6_65 Depth=3
	buffer_load_dword v5, off, s[0:3], s33 offset:56 ; 4-byte Folded Reload
	buffer_load_dword v6, off, s[0:3], s33 offset:60 ; 4-byte Folded Reload
	s_or_b64 s[52:53], s[52:53], exec
	s_waitcnt vmcnt(1)
	v_add_co_u32_e64 v5, s[26:27], 8, v5
	s_waitcnt vmcnt(0)
	v_addc_co_u32_e64 v6, s[26:27], 0, v6, s[26:27]
	v_cmp_ge_u64_e64 s[26:27], v[5:6], v[2:3]
	s_orn2_b64 s[50:51], s[26:27], exec
.LBB6_63:                               ;   in Loop: Header=BB6_65 Depth=3
	s_or_b64 exec, exec, s[64:65]
	s_andn2_b64 s[26:27], s[38:39], exec
	s_and_b64 s[38:39], s[52:53], exec
	s_or_b64 s[38:39], s[26:27], s[38:39]
	s_andn2_b64 s[26:27], s[36:37], exec
	s_and_b64 s[36:37], s[50:51], exec
	s_or_b64 s[36:37], s[26:27], s[36:37]
.LBB6_64:                               ;   in Loop: Header=BB6_65 Depth=3
	s_or_b64 exec, exec, s[48:49]
	s_and_b64 s[26:27], exec, s[36:37]
	s_or_b64 s[30:31], s[26:27], s[30:31]
	s_andn2_b64 s[26:27], s[34:35], exec
	s_and_b64 s[34:35], s[38:39], exec
	s_or_b64 s[34:35], s[26:27], s[34:35]
	s_andn2_b64 exec, exec, s[30:31]
	s_cbranch_execz .LBB6_69
.LBB6_65:                               ;   Parent Loop BB6_47 Depth=1
                                        ;     Parent Loop BB6_57 Depth=2
                                        ; =>    This Inner Loop Header: Depth=3
	s_sleep 1
	buffer_load_dword v0, off, s[0:3], s33 offset:64 ; 4-byte Folded Reload
	buffer_load_dword v1, off, s[0:3], s33 offset:68 ; 4-byte Folded Reload
	s_or_b64 s[38:39], s[38:39], exec
	s_or_b64 s[36:37], s[36:37], exec
	s_waitcnt vmcnt(0)
	flat_load_dwordx2 v[0:1], v[0:1] glc
	s_waitcnt vmcnt(0) lgkmcnt(0)
	buffer_store_dword v0, off, s[0:3], s33 offset:56 ; 4-byte Folded Spill
	s_nop 0
	buffer_store_dword v1, off, s[0:3], s33 offset:60 ; 4-byte Folded Spill
                                        ; implicit-def: $vgpr0
	s_and_saveexec_b64 s[48:49], vcc
	s_cbranch_execz .LBB6_64
; %bb.66:                               ;   in Loop: Header=BB6_65 Depth=3
	s_cmpk_lt_i32 s9, 0x270f
	s_cselect_b64 s[54:55], -1, 0
	s_cmpk_gt_i32 s9, 0x270e
	s_mov_b64 s[50:51], -1
	s_cbranch_scc0 .LBB6_68
; %bb.67:                               ;   in Loop: Header=BB6_65 Depth=3
	s_trap 2
	ds_read_b64 v[0:1], v0
	s_andn2_b64 s[54:55], s[54:55], exec
	s_mov_b32 s9, 0
	s_mov_b64 s[52:53], 0
	s_waitcnt vmcnt(0) lgkmcnt(0)
	flat_load_dword v0, v[0:1] glc
	s_waitcnt vmcnt(0) lgkmcnt(0)
	buffer_wbinvl1_vol
	v_cmp_eq_u32_e64 s[26:27], 0, v0
	s_and_b64 s[26:27], s[26:27], exec
	s_or_b64 s[54:55], s[54:55], s[26:27]
	s_and_saveexec_b64 s[64:65], s[54:55]
	s_cbranch_execz .LBB6_63
	s_branch .LBB6_62
.LBB6_68:                               ;   in Loop: Header=BB6_65 Depth=3
	s_add_i32 s9, s9, 1
	s_mov_b64 s[52:53], -1
                                        ; implicit-def: $vgpr0
	s_and_saveexec_b64 s[64:65], s[54:55]
	s_cbranch_execz .LBB6_63
	s_branch .LBB6_62
.LBB6_69:                               ;   in Loop: Header=BB6_57 Depth=2
	s_or_b64 exec, exec, s[30:31]
	s_xor_b64 s[26:27], s[34:35], -1
	s_and_saveexec_b64 vcc, s[26:27]
	s_xor_b64 s[26:27], exec, vcc
	s_cbranch_execz .LBB6_71
; %bb.70:                               ;   in Loop: Header=BB6_57 Depth=2
	ds_write_b32 v0, v0
	s_trap 2
	buffer_load_dword v0, off, s[0:3], s33 offset:72 ; 4-byte Folded Reload
	s_waitcnt vmcnt(0)
	v_or_b32_e32 v0, 64, v0
	buffer_store_dword v0, off, s[0:3], s33 offset:72 ; 4-byte Folded Spill
.LBB6_71:                               ;   in Loop: Header=BB6_57 Depth=2
	s_or_b64 exec, exec, s[26:27]
.LBB6_72:                               ;   in Loop: Header=BB6_57 Depth=2
	s_or_b64 exec, exec, s[46:47]
	;;#ASMSTART
	s_wakeup
	;;#ASMEND
	buffer_load_dword v0, off, s[0:3], s33 offset:72 ; 4-byte Folded Reload
	s_mov_b64 s[26:27], -1
	s_waitcnt vmcnt(0)
	v_and_b32_e32 v0, 0x100, v0
	v_cmp_ne_u32_e32 vcc, 0, v0
	buffer_load_dword v0, off, s[0:3], s33 offset:84 ; 4-byte Folded Reload
	buffer_load_dword v1, off, s[0:3], s33 offset:88 ; 4-byte Folded Reload
	s_waitcnt vmcnt(0)
	v_and_b32_e32 v10, 7, v0
                                        ; implicit-def: $vgpr0_vgpr1
	s_and_saveexec_b64 s[46:47], vcc
	s_cbranch_execz .LBB6_76
; %bb.73:                               ;   in Loop: Header=BB6_57 Depth=2
	buffer_load_dword v11, off, s[0:3], s33 offset:204 ; 4-byte Folded Reload
	buffer_load_dword v12, off, s[0:3], s33 offset:208 ; 4-byte Folded Reload
	;; [unrolled: 1-line block ×4, first 2 shown]
	v_ashrrev_i32_e32 v5, 31, v4
	s_waitcnt vmcnt(0)
	v_mad_u64_u32 v[6:7], s[26:27], v10, 24, v[11:12]
	flat_load_dword v0, v[6:7]
	s_nop 0
	flat_store_dwordx2 v[6:7], v[4:5] offset:8
	s_waitcnt vmcnt(0) lgkmcnt(0)
	v_cmp_ne_u32_e32 vcc, 1, v0
	v_cmp_eq_u32_e64 s[26:27], 1, v0
                                        ; implicit-def: $vgpr0_vgpr1
	s_and_saveexec_b64 s[30:31], s[26:27]
	s_cbranch_execz .LBB6_75
; %bb.74:                               ;   in Loop: Header=BB6_57 Depth=2
	flat_load_dword v0, v[6:7] offset:4 glc
	s_waitcnt vmcnt(0) lgkmcnt(0)
	v_ashrrev_i32_e32 v1, 31, v0
.LBB6_75:                               ;   in Loop: Header=BB6_57 Depth=2
	s_or_b64 exec, exec, s[30:31]
	s_orn2_b64 s[26:27], vcc, exec
.LBB6_76:                               ;   in Loop: Header=BB6_57 Depth=2
	s_or_b64 exec, exec, s[46:47]
	s_and_saveexec_b64 s[46:47], s[26:27]
	s_cbranch_execz .LBB6_78
; %bb.77:                               ;   in Loop: Header=BB6_57 Depth=2
	buffer_load_dword v0, off, s[0:3], s33 offset:232 ; 4-byte Folded Reload
	s_waitcnt vmcnt(0)
	v_mad_i64_i32 v[0:1], s[26:27], v10, v0, 0
.LBB6_78:                               ;   in Loop: Header=BB6_57 Depth=2
	s_or_b64 exec, exec, s[46:47]
	buffer_load_dword v5, off, s[0:3], s33 offset:196 ; 4-byte Folded Reload
	buffer_load_dword v6, off, s[0:3], s33 offset:200 ; 4-byte Folded Reload
	s_waitcnt vmcnt(0)
	v_add_co_u32_e32 v0, vcc, v5, v0
	s_waitcnt vmcnt(0)
	v_addc_co_u32_e32 v1, vcc, v6, v1, vcc
	ds_write_b64 v0, v[0:1] offset:784
	buffer_load_dword v0, off, s[0:3], s33 offset:72 ; 4-byte Folded Reload
	s_waitcnt vmcnt(0)
	v_and_b32_e32 v0, 0x2000, v0
	v_cmp_ne_u32_e32 vcc, 0, v0
	s_and_saveexec_b64 s[26:27], vcc
	s_cbranch_execz .LBB6_80
; %bb.79:                               ;   in Loop: Header=BB6_57 Depth=2
	ds_read_b64 v[0:1], v0 offset:872
	s_waitcnt lgkmcnt(0)
	v_add_co_u32_e32 v0, vcc, 1, v0
	v_addc_co_u32_e32 v1, vcc, 0, v1, vcc
	ds_write_b64 v0, v[0:1] offset:872
.LBB6_80:                               ;   in Loop: Header=BB6_57 Depth=2
	s_or_b64 exec, exec, s[26:27]
	buffer_store_dword v2, off, s[0:3], s33 offset:84 ; 4-byte Folded Spill
	s_nop 0
	buffer_store_dword v3, off, s[0:3], s33 offset:88 ; 4-byte Folded Spill
.LBB6_81:                               ;   in Loop: Header=BB6_57 Depth=2
	s_or_b64 exec, exec, s[44:45]
	s_and_saveexec_b64 s[26:27], s[10:11]
	s_cbranch_execz .LBB6_100
; %bb.82:                               ;   in Loop: Header=BB6_57 Depth=2
	s_and_saveexec_b64 s[44:45], s[72:73]
	s_xor_b64 s[44:45], exec, s[44:45]
	s_cbranch_execz .LBB6_97
; %bb.83:                               ;   in Loop: Header=BB6_57 Depth=2
	s_and_saveexec_b64 s[46:47], s[16:17]
	s_cbranch_execz .LBB6_96
; %bb.84:                               ;   in Loop: Header=BB6_57 Depth=2
	s_mov_b64 s[34:35], exec
	v_mbcnt_lo_u32_b32 v0, s34, 0
	v_mbcnt_hi_u32_b32 v0, s35, v0
	v_cmp_eq_u32_e32 vcc, 0, v0
	s_waitcnt vmcnt(0) lgkmcnt(0)
	buffer_wbinvl1_vol
	s_and_saveexec_b64 s[30:31], vcc
	s_cbranch_execz .LBB6_86
; %bb.85:                               ;   in Loop: Header=BB6_57 Depth=2
	s_bcnt1_i32_b64 s9, s[34:35]
	v_mov_b32_e32 v0, s9
	v_mov_b32_e32 v1, v53
	ds_add_u64 v0, v[0:1]
	s_trap 2
.LBB6_86:                               ;   in Loop: Header=BB6_57 Depth=2
	s_or_b64 exec, exec, s[30:31]
	s_trap 2
	ds_read_b64 v[0:1], v0
	s_waitcnt lgkmcnt(0)
	buffer_load_dword v2, off, s[0:3], s33 offset:76 ; 4-byte Folded Reload
	buffer_load_dword v3, off, s[0:3], s33 offset:80 ; 4-byte Folded Reload
	s_waitcnt vmcnt(1)
	v_add_co_u32_e32 v2, vcc, v2, v48
	s_waitcnt vmcnt(0)
	v_addc_co_u32_e32 v3, vcc, 0, v3, vcc
	buffer_store_dword v2, off, s[0:3], s33 offset:76 ; 4-byte Folded Spill
	s_nop 0
	buffer_store_dword v3, off, s[0:3], s33 offset:80 ; 4-byte Folded Spill
	v_cmp_lt_u64_e32 vcc, v[0:1], v[2:3]
	s_and_saveexec_b64 s[30:31], vcc
	s_cbranch_execz .LBB6_95
; %bb.87:                               ;   in Loop: Header=BB6_57 Depth=2
	s_mov_b32 s9, 0
	s_mov_b64 s[34:35], 0
                                        ; implicit-def: $sgpr36_sgpr37
                                        ; implicit-def: $sgpr38_sgpr39
	s_branch .LBB6_89
.LBB6_88:                               ;   in Loop: Header=BB6_89 Depth=3
	s_or_b64 exec, exec, s[50:51]
	s_and_b64 vcc, exec, vcc
	s_or_b64 s[34:35], vcc, s[34:35]
	s_andn2_b64 vcc, s[36:37], exec
	s_and_b64 s[36:37], s[38:39], exec
	s_or_b64 s[36:37], vcc, s[36:37]
	s_andn2_b64 exec, exec, s[34:35]
	s_cbranch_execz .LBB6_93
.LBB6_89:                               ;   Parent Loop BB6_47 Depth=1
                                        ;     Parent Loop BB6_57 Depth=2
                                        ; =>    This Inner Loop Header: Depth=3
	s_add_i32 s9, s9, 1
	s_cmpk_lg_i32 s9, 0x2710
	s_cselect_b64 s[48:49], -1, 0
	s_and_b64 vcc, exec, s[48:49]
	s_cbranch_vccz .LBB6_91
; %bb.90:                               ;   in Loop: Header=BB6_89 Depth=3
	s_mov_b64 vcc, -1
	s_or_b64 s[38:39], s[38:39], exec
	s_and_saveexec_b64 s[50:51], s[48:49]
	s_cbranch_execz .LBB6_88
	s_branch .LBB6_92
.LBB6_91:                               ;   in Loop: Header=BB6_89 Depth=3
	s_trap 2
	ds_read_b64 v[0:1], v0
	s_andn2_b64 s[48:49], s[48:49], exec
	s_mov_b32 s9, 0
	s_waitcnt vmcnt(0) lgkmcnt(0)
	flat_load_dword v0, v[0:1] glc
	s_waitcnt vmcnt(0) lgkmcnt(0)
	buffer_wbinvl1_vol
	v_cmp_eq_u32_e32 vcc, 0, v0
	s_and_b64 vcc, vcc, exec
	s_or_b64 s[48:49], s[48:49], vcc
	s_mov_b64 vcc, -1
	s_or_b64 s[38:39], s[38:39], exec
	s_and_saveexec_b64 s[50:51], s[48:49]
	s_cbranch_execz .LBB6_88
.LBB6_92:                               ;   in Loop: Header=BB6_89 Depth=3
	s_sleep 1
	s_trap 2
	ds_read_b64 v[0:1], v0
	s_waitcnt lgkmcnt(0)
	buffer_load_dword v2, off, s[0:3], s33 offset:76 ; 4-byte Folded Reload
	buffer_load_dword v3, off, s[0:3], s33 offset:80 ; 4-byte Folded Reload
	s_andn2_b64 s[38:39], s[38:39], exec
	s_waitcnt vmcnt(0)
	v_cmp_ge_u64_e32 vcc, v[0:1], v[2:3]
	s_orn2_b64 vcc, vcc, exec
	s_branch .LBB6_88
.LBB6_93:                               ;   in Loop: Header=BB6_57 Depth=2
	s_or_b64 exec, exec, s[34:35]
	s_and_saveexec_b64 vcc, s[36:37]
	s_xor_b64 vcc, exec, vcc
	s_cbranch_execz .LBB6_95
; %bb.94:                               ;   in Loop: Header=BB6_57 Depth=2
	v_mov_b32_e32 v0, 1
	ds_write_b32 v0, v0
	s_trap 2
.LBB6_95:                               ;   in Loop: Header=BB6_57 Depth=2
	s_or_b64 exec, exec, s[30:31]
	;;#ASMSTART
	s_wakeup
	;;#ASMEND
.LBB6_96:                               ;   in Loop: Header=BB6_57 Depth=2
	s_or_b64 exec, exec, s[46:47]
.LBB6_97:                               ;   in Loop: Header=BB6_57 Depth=2
	s_andn2_saveexec_b64 s[44:45], s[44:45]
	s_cbranch_execz .LBB6_99
; %bb.98:                               ;   in Loop: Header=BB6_57 Depth=2
	s_waitcnt vmcnt(0) lgkmcnt(0)
	buffer_wbinvl1_vol
	s_barrier
.LBB6_99:                               ;   in Loop: Header=BB6_57 Depth=2
	s_or_b64 exec, exec, s[44:45]
.LBB6_100:                              ;   in Loop: Header=BB6_57 Depth=2
	s_or_b64 exec, exec, s[26:27]
	s_trap 2
	buffer_load_dword v1, off, s[0:3], s33 offset:72 ; 4-byte Folded Reload
	ds_read_b32 v0, v0
	s_xor_b64 s[26:27], s[6:7], -1
	s_waitcnt vmcnt(0)
	v_and_b32_e32 v1, 0x4000, v1
	v_cmp_ne_u32_e32 vcc, 0, v1
	s_and_b64 s[44:45], s[26:27], vcc
	s_and_saveexec_b64 s[26:27], s[44:45]
	s_cbranch_execz .LBB6_119
; %bb.101:                              ;   in Loop: Header=BB6_57 Depth=2
	s_and_saveexec_b64 s[44:45], s[72:73]
	s_xor_b64 s[44:45], exec, s[44:45]
	s_cbranch_execz .LBB6_116
; %bb.102:                              ;   in Loop: Header=BB6_57 Depth=2
	s_and_saveexec_b64 s[46:47], s[16:17]
	s_cbranch_execz .LBB6_115
; %bb.103:                              ;   in Loop: Header=BB6_57 Depth=2
	s_mov_b64 s[34:35], exec
	v_mbcnt_lo_u32_b32 v1, s34, 0
	v_mbcnt_hi_u32_b32 v1, s35, v1
	v_cmp_eq_u32_e32 vcc, 0, v1
	s_waitcnt lgkmcnt(0)
	buffer_wbinvl1_vol
	s_and_saveexec_b64 s[30:31], vcc
	s_cbranch_execz .LBB6_105
; %bb.104:                              ;   in Loop: Header=BB6_57 Depth=2
	s_bcnt1_i32_b64 s9, s[34:35]
	v_mov_b32_e32 v1, s9
	v_mov_b32_e32 v2, v53
	ds_add_u64 v0, v[1:2]
	s_trap 2
.LBB6_105:                              ;   in Loop: Header=BB6_57 Depth=2
	s_or_b64 exec, exec, s[30:31]
	s_trap 2
	ds_read_b64 v[1:2], v0
	s_waitcnt lgkmcnt(0)
	buffer_load_dword v5, off, s[0:3], s33 offset:76 ; 4-byte Folded Reload
	buffer_load_dword v6, off, s[0:3], s33 offset:80 ; 4-byte Folded Reload
	s_waitcnt vmcnt(1)
	v_add_co_u32_e32 v5, vcc, v5, v48
	s_waitcnt vmcnt(0)
	v_addc_co_u32_e32 v6, vcc, 0, v6, vcc
	buffer_store_dword v5, off, s[0:3], s33 offset:76 ; 4-byte Folded Spill
	s_nop 0
	buffer_store_dword v6, off, s[0:3], s33 offset:80 ; 4-byte Folded Spill
	v_cmp_lt_u64_e32 vcc, v[1:2], v[5:6]
	s_and_saveexec_b64 s[30:31], vcc
	s_cbranch_execz .LBB6_114
; %bb.106:                              ;   in Loop: Header=BB6_57 Depth=2
	s_mov_b32 s9, 0
	s_mov_b64 s[34:35], 0
                                        ; implicit-def: $sgpr36_sgpr37
                                        ; implicit-def: $sgpr38_sgpr39
	s_branch .LBB6_108
.LBB6_107:                              ;   in Loop: Header=BB6_108 Depth=3
	s_or_b64 exec, exec, s[50:51]
	s_and_b64 vcc, exec, vcc
	s_or_b64 s[34:35], vcc, s[34:35]
	s_andn2_b64 vcc, s[36:37], exec
	s_and_b64 s[36:37], s[38:39], exec
	s_or_b64 s[36:37], vcc, s[36:37]
	s_andn2_b64 exec, exec, s[34:35]
	s_cbranch_execz .LBB6_112
.LBB6_108:                              ;   Parent Loop BB6_47 Depth=1
                                        ;     Parent Loop BB6_57 Depth=2
                                        ; =>    This Inner Loop Header: Depth=3
	s_add_i32 s9, s9, 1
	s_cmpk_lg_i32 s9, 0x2710
	s_cselect_b64 s[48:49], -1, 0
	s_and_b64 vcc, exec, s[48:49]
	s_cbranch_vccz .LBB6_110
; %bb.109:                              ;   in Loop: Header=BB6_108 Depth=3
	s_mov_b64 vcc, -1
	s_or_b64 s[38:39], s[38:39], exec
	s_and_saveexec_b64 s[50:51], s[48:49]
	s_cbranch_execz .LBB6_107
	s_branch .LBB6_111
.LBB6_110:                              ;   in Loop: Header=BB6_108 Depth=3
	s_trap 2
	ds_read_b64 v[1:2], v0
	s_andn2_b64 s[48:49], s[48:49], exec
	s_mov_b32 s9, 0
	s_waitcnt vmcnt(0) lgkmcnt(0)
	flat_load_dword v1, v[1:2] glc
	s_waitcnt vmcnt(0) lgkmcnt(0)
	buffer_wbinvl1_vol
	v_cmp_eq_u32_e32 vcc, 0, v1
	s_and_b64 vcc, vcc, exec
	s_or_b64 s[48:49], s[48:49], vcc
	s_mov_b64 vcc, -1
	s_or_b64 s[38:39], s[38:39], exec
	s_and_saveexec_b64 s[50:51], s[48:49]
	s_cbranch_execz .LBB6_107
.LBB6_111:                              ;   in Loop: Header=BB6_108 Depth=3
	s_sleep 1
	s_trap 2
	ds_read_b64 v[1:2], v0
	s_waitcnt lgkmcnt(0)
	buffer_load_dword v5, off, s[0:3], s33 offset:76 ; 4-byte Folded Reload
	buffer_load_dword v6, off, s[0:3], s33 offset:80 ; 4-byte Folded Reload
	s_andn2_b64 s[38:39], s[38:39], exec
	s_waitcnt vmcnt(0)
	v_cmp_ge_u64_e32 vcc, v[1:2], v[5:6]
	s_orn2_b64 vcc, vcc, exec
	s_branch .LBB6_107
.LBB6_112:                              ;   in Loop: Header=BB6_57 Depth=2
	s_or_b64 exec, exec, s[34:35]
	s_and_saveexec_b64 vcc, s[36:37]
	s_xor_b64 vcc, exec, vcc
	s_cbranch_execz .LBB6_114
; %bb.113:                              ;   in Loop: Header=BB6_57 Depth=2
	v_mov_b32_e32 v1, 1
	ds_write_b32 v0, v1
	s_trap 2
.LBB6_114:                              ;   in Loop: Header=BB6_57 Depth=2
	s_or_b64 exec, exec, s[30:31]
	;;#ASMSTART
	s_wakeup
	;;#ASMEND
.LBB6_115:                              ;   in Loop: Header=BB6_57 Depth=2
	s_or_b64 exec, exec, s[46:47]
.LBB6_116:                              ;   in Loop: Header=BB6_57 Depth=2
	s_andn2_saveexec_b64 s[44:45], s[44:45]
	s_cbranch_execz .LBB6_118
; %bb.117:                              ;   in Loop: Header=BB6_57 Depth=2
	s_waitcnt vmcnt(0) lgkmcnt(0)
	buffer_wbinvl1_vol
	s_barrier
.LBB6_118:                              ;   in Loop: Header=BB6_57 Depth=2
	s_or_b64 exec, exec, s[44:45]
.LBB6_119:                              ;   in Loop: Header=BB6_57 Depth=2
	s_or_b64 exec, exec, s[26:27]
	s_trap 2
	s_waitcnt lgkmcnt(0)
	ds_read_b64 v[2:3], v0
	s_waitcnt lgkmcnt(0)
	v_cmp_eq_u64_e32 vcc, 0, v[2:3]
	s_cbranch_vccnz .LBB6_127
; %bb.120:                              ;   in Loop: Header=BB6_57 Depth=2
	s_trap 2
	ds_read_b64 v[10:11], v0
	s_waitcnt lgkmcnt(0)
	v_cmp_eq_u64_e32 vcc, 0, v[10:11]
	s_cbranch_vccnz .LBB6_127
; %bb.121:                              ;   in Loop: Header=BB6_57 Depth=2
	s_mov_b64 s[26:27], -1
	s_and_saveexec_b64 s[44:45], s[18:19]
	s_cbranch_execz .LBB6_123
; %bb.122:                              ;   in Loop: Header=BB6_57 Depth=2
	ds_read_b32 v1, v0 offset:720
	s_waitcnt lgkmcnt(0)
	v_and_b32_e32 v1, 15, v1
	v_cmp_eq_u32_e32 vcc, 0, v1
	s_orn2_b64 s[26:27], vcc, exec
.LBB6_123:                              ;   in Loop: Header=BB6_57 Depth=2
	s_or_b64 exec, exec, s[44:45]
	s_and_saveexec_b64 s[44:45], s[20:21]
	s_cbranch_execz .LBB6_125
; %bb.124:                              ;   in Loop: Header=BB6_57 Depth=2
	ds_read_b32 v1, v0 offset:784
	s_waitcnt lgkmcnt(0)
	v_and_b32_e32 v1, 15, v1
	v_cmp_eq_u32_e32 vcc, 0, v1
	s_and_b64 s[46:47], s[26:27], vcc
	s_andn2_b64 s[26:27], s[26:27], exec
	s_and_b64 s[46:47], s[46:47], exec
	s_or_b64 s[26:27], s[26:27], s[46:47]
.LBB6_125:                              ;   in Loop: Header=BB6_57 Depth=2
	s_or_b64 exec, exec, s[44:45]
	buffer_load_dword v6, off, s[0:3], s33 offset:256 ; 4-byte Folded Reload
	v_cmp_eq_u32_e32 vcc, 0, v0
	s_xor_b64 s[26:27], s[26:27], -1
	v_cndmask_b32_e32 v5, 0, v4, vcc
	v_cndmask_b32_e64 v0, 0, 1, s[26:27]
	s_mov_b64 s[46:47], -1
	v_cmp_ne_u32_e32 vcc, 0, v0
	v_mov_b32_e32 v0, 0
	v_mov_b32_e32 v1, v5
	s_cbranch_vccz .LBB6_133
; %bb.126:                              ;   in Loop: Header=BB6_57 Depth=2
	s_and_saveexec_b64 s[26:27], s[46:47]
	s_cbranch_execnz .LBB6_144
	s_branch .LBB6_152
.LBB6_127:                              ;   in Loop: Header=BB6_57 Depth=2
	s_mov_b64 s[26:27], 0
	s_and_saveexec_b64 s[44:45], s[10:11]
	s_cbranch_execnz .LBB6_153
.LBB6_128:                              ;   in Loop: Header=BB6_57 Depth=2
	s_or_b64 exec, exec, s[44:45]
                                        ; implicit-def: $vgpr0
	s_and_saveexec_b64 s[44:45], s[24:25]
	s_xor_b64 s[44:45], exec, s[44:45]
	s_cbranch_execz .LBB6_171
.LBB6_129:                              ;   in Loop: Header=BB6_57 Depth=2
	buffer_load_dword v1, off, s[0:3], s33 offset:72 ; 4-byte Folded Reload
	s_waitcnt vmcnt(0)
	v_and_b32_e32 v0, 16, v1
	v_and_b32_e32 v1, 16, v1
	v_cmp_ne_u32_e32 vcc, 0, v1
	s_and_b64 s[46:47], vcc, s[26:27]
	s_and_saveexec_b64 s[26:27], s[46:47]
	s_cbranch_execz .LBB6_131
; %bb.130:                              ;   in Loop: Header=BB6_57 Depth=2
	v_mov_b32_e32 v0, 1
	s_waitcnt lgkmcnt(0)
	buffer_wbinvl1_vol
.LBB6_131:                              ;   in Loop: Header=BB6_57 Depth=2
	s_or_b64 exec, exec, s[26:27]
	s_andn2_saveexec_b64 s[26:27], s[44:45]
	s_cbranch_execnz .LBB6_172
.LBB6_132:                              ;   in Loop: Header=BB6_57 Depth=2
	s_or_b64 exec, exec, s[26:27]
	v_cmp_ne_u32_e32 vcc, 0, v0
	s_and_saveexec_b64 s[26:27], vcc
	s_cbranch_execz .LBB6_56
	s_branch .LBB6_190
.LBB6_133:                              ;   in Loop: Header=BB6_57 Depth=2
	buffer_load_dword v1, off, s[0:3], s33 offset:300 ; 4-byte Folded Reload
	v_ashrrev_i32_e32 v0, 31, v5
	v_lshrrev_b32_e32 v0, 19, v0
	v_add_u32_e32 v0, v5, v0
	v_ashrrev_i32_e32 v0, 13, v0
	s_waitcnt vmcnt(0)
	v_sub_u32_e32 v7, v0, v1
	v_cmp_lt_i32_e32 vcc, 0, v7
	s_and_saveexec_b64 s[44:45], vcc
	s_cbranch_execz .LBB6_137
; %bb.134:                              ;   in Loop: Header=BB6_57 Depth=2
	buffer_load_dword v6, off, s[0:3], s33 offset:364 ; 4-byte Folded Reload
	buffer_load_dword v52, off, s[0:3], s33 offset:368 ; 4-byte Folded Reload
	v_mov_b32_e32 v13, v11
	v_mov_b32_e32 v15, v3
	s_mov_b64 s[46:47], 0
	v_mov_b32_e32 v12, v10
	v_mov_b32_e32 v14, v2
	;; [unrolled: 1-line block ×3, first 2 shown]
.LBB6_135:                              ;   Parent Loop BB6_47 Depth=1
                                        ;     Parent Loop BB6_57 Depth=2
                                        ; =>    This Inner Loop Header: Depth=3
	s_waitcnt vmcnt(0)
	v_add_co_u32_e32 v34, vcc, v52, v14
	v_addc_co_u32_e32 v35, vcc, 0, v15, vcc
	v_add_co_u32_e32 v54, vcc, s71, v34
	v_addc_co_u32_e32 v55, vcc, 0, v35, vcc
	global_load_dwordx4 v[18:21], v[34:35], off glc slc
	global_load_dwordx4 v[22:25], v[34:35], off offset:1024 glc slc
	global_load_dwordx4 v[26:29], v[34:35], off offset:2048 glc slc
	;; [unrolled: 1-line block ×3, first 2 shown]
	s_nop 0
	global_load_dwordx4 v[34:37], v[54:55], off glc slc
	global_load_dwordx4 v[48:51], v[54:55], off offset:1024 glc slc
	global_load_dwordx4 v[38:41], v[54:55], off offset:2048 glc slc
	;; [unrolled: 1-line block ×3, first 2 shown]
	v_add_co_u32_e32 v54, vcc, v52, v12
	v_addc_co_u32_e32 v55, vcc, 0, v13, vcc
	v_add_co_u32_e32 v14, vcc, v14, v6
	v_addc_co_u32_e32 v15, vcc, 0, v15, vcc
	v_sub_u32_e32 v7, v7, v1
	v_add_co_u32_e32 v12, vcc, v12, v6
	v_addc_co_u32_e32 v13, vcc, 0, v13, vcc
	v_cmp_gt_i32_e64 s[26:27], 1, v7
	v_add_co_u32_e32 v46, vcc, s71, v54
	s_or_b64 s[46:47], s[26:27], s[46:47]
	v_addc_co_u32_e32 v47, vcc, 0, v55, vcc
	s_waitcnt vmcnt(7)
	global_store_dwordx4 v[54:55], v[18:21], off glc slc
	s_waitcnt vmcnt(7)
	global_store_dwordx4 v[54:55], v[22:25], off offset:1024 glc slc
	s_waitcnt vmcnt(7)
	global_store_dwordx4 v[54:55], v[26:29], off offset:2048 glc slc
	;; [unrolled: 2-line block ×3, first 2 shown]
	s_waitcnt vmcnt(7)
	global_store_dwordx4 v[46:47], v[34:37], off glc slc
	s_waitcnt vmcnt(7)
	global_store_dwordx4 v[46:47], v[48:51], off offset:1024 glc slc
	s_waitcnt vmcnt(7)
	global_store_dwordx4 v[46:47], v[38:41], off offset:2048 glc slc
	;; [unrolled: 2-line block ×3, first 2 shown]
	s_andn2_b64 exec, exec, s[46:47]
	s_cbranch_execnz .LBB6_135
; %bb.136:                              ;   in Loop: Header=BB6_57 Depth=2
	s_or_b64 exec, exec, s[46:47]
	v_mov_b32_e32 v48, v1
.LBB6_137:                              ;   in Loop: Header=BB6_57 Depth=2
	s_or_b64 exec, exec, s[44:45]
	v_lshlrev_b32_e32 v12, 13, v0
	v_cmp_ne_u32_e32 vcc, v5, v12
	s_mov_b64 s[46:47], 0
	v_mov_b32_e32 v0, 0
                                        ; implicit-def: $vgpr1
                                        ; implicit-def: $vgpr6
	s_and_saveexec_b64 s[44:45], vcc
	s_cbranch_execz .LBB6_143
; %bb.138:                              ;   in Loop: Header=BB6_57 Depth=2
	buffer_load_dword v6, off, s[0:3], s33 offset:328 ; 4-byte Folded Reload
	v_lshlrev_b32_e32 v0, 6, v7
	v_sub_u32_e32 v1, v5, v12
	s_waitcnt vmcnt(0)
	v_sub_u32_e32 v0, v6, v0
	v_ashrrev_i32_e32 v6, 31, v0
	v_lshrrev_b32_e32 v6, 26, v6
	v_add_u32_e32 v6, v0, v6
	v_ashrrev_i32_e32 v7, 6, v6
	v_and_b32_e32 v6, 0xffffffc0, v6
	v_sub_u32_e32 v6, v0, v6
	v_lshlrev_b32_e32 v0, 4, v6
	v_lshl_add_u32 v14, v7, 10, v0
	v_ashrrev_i32_e32 v0, 31, v1
	v_lshrrev_b32_e32 v0, 22, v0
	v_add_u32_e32 v0, v1, v0
	v_ashrrev_i32_e32 v15, 10, v0
	v_and_b32_e32 v0, 0xfffffc00, v0
	v_sub_u32_e32 v13, v1, v14
	v_sub_u32_e32 v1, v1, v0
	v_cmp_lt_i32_e32 vcc, 15, v1
	v_addc_co_u32_e64 v15, s[26:27], 0, v15, vcc
	v_sub_u32_e32 v7, v15, v7
	v_cmp_lt_i32_e64 s[26:27], 15, v13
	s_and_saveexec_b64 s[46:47], s[26:27]
	s_cbranch_execz .LBB6_142
; %bb.139:                              ;   in Loop: Header=BB6_57 Depth=2
	buffer_load_dword v24, off, s[0:3], s33 offset:228 ; 4-byte Folded Reload
	v_add_u32_e32 v14, v14, v12
	v_ashrrev_i32_e32 v15, 31, v14
	s_mov_b64 s[30:31], 0
.LBB6_140:                              ;   Parent Loop BB6_47 Depth=1
                                        ;     Parent Loop BB6_57 Depth=2
                                        ; =>    This Inner Loop Header: Depth=3
	v_add_co_u32_e64 v18, s[26:27], v2, v14
	v_addc_co_u32_e64 v19, s[26:27], v3, v15, s[26:27]
	global_load_dwordx4 v[18:21], v[18:19], off glc slc
	v_add_co_u32_e64 v22, s[26:27], v10, v14
	v_addc_co_u32_e64 v23, s[26:27], v11, v15, s[26:27]
	s_waitcnt vmcnt(1)
	v_add_co_u32_e64 v14, s[26:27], v14, v24
	v_sub_u32_e32 v13, v13, v24
	v_addc_co_u32_e64 v15, s[26:27], 0, v15, s[26:27]
	v_cmp_gt_i32_e64 s[26:27], 16, v13
	v_sub_u32_e32 v7, v7, v48
	s_or_b64 s[30:31], s[26:27], s[30:31]
	s_waitcnt vmcnt(0)
	global_store_dwordx4 v[22:23], v[18:21], off glc slc
	s_andn2_b64 exec, exec, s[30:31]
	s_cbranch_execnz .LBB6_140
; %bb.141:                              ;   in Loop: Header=BB6_57 Depth=2
	s_or_b64 exec, exec, s[30:31]
.LBB6_142:                              ;   in Loop: Header=BB6_57 Depth=2
	s_or_b64 exec, exec, s[46:47]
	v_and_b32_e32 v13, 15, v5
	v_sub_u32_e32 v14, v1, v13
	v_cndmask_b32_e32 v14, 0, v14, vcc
	v_cndmask_b32_e32 v1, v1, v13, vcc
	v_cmp_lt_i32_e32 vcc, 0, v7
	v_add3_u32 v0, v0, v12, v14
	v_cndmask_b32_e32 v12, 0, v48, vcc
	v_sub_u32_e32 v7, v12, v7
	v_cmp_ne_u32_e32 vcc, 0, v1
	v_lshl_add_u32 v6, v7, 6, v6
	s_and_b64 s[46:47], vcc, exec
.LBB6_143:                              ;   in Loop: Header=BB6_57 Depth=2
	s_or_b64 exec, exec, s[44:45]
	s_and_saveexec_b64 s[26:27], s[46:47]
	s_cbranch_execz .LBB6_152
.LBB6_144:                              ;   in Loop: Header=BB6_57 Depth=2
	s_waitcnt vmcnt(0)
	v_ashrrev_i32_e32 v7, 31, v6
	v_ashrrev_i32_e32 v12, 31, v1
	v_lshrrev_b32_e32 v7, 26, v7
	v_lshrrev_b32_e32 v12, 21, v12
	v_add_u32_e32 v14, v6, v7
	v_add_u32_e32 v12, v1, v12
	v_ashrrev_i32_e32 v7, 6, v14
	v_ashrrev_i32_e32 v13, 11, v12
	v_sub_u32_e32 v12, v13, v7
	v_cmp_lt_i32_e32 vcc, 0, v12
	s_and_saveexec_b64 s[44:45], vcc
	s_cbranch_execz .LBB6_148
; %bb.145:                              ;   in Loop: Header=BB6_57 Depth=2
	buffer_load_dword v46, off, s[0:3], s33 offset:184 ; 4-byte Folded Reload
	v_and_b32_e32 v14, 0xffffffc0, v14
	v_sub_u32_e32 v14, v6, v14
	v_lshlrev_b32_e32 v15, 11, v7
	v_add3_u32 v14, v0, v14, v15
	v_ashrrev_i32_e32 v15, 31, v14
	s_mov_b64 s[46:47], 0
	v_mov_b32_e32 v45, v48
.LBB6_146:                              ;   Parent Loop BB6_47 Depth=1
                                        ;     Parent Loop BB6_57 Depth=2
                                        ; =>    This Inner Loop Header: Depth=3
	v_add_co_u32_e32 v18, vcc, v14, v2
	v_addc_co_u32_e32 v19, vcc, v15, v3, vcc
	flat_load_ubyte v20, v[18:19] glc slc
	flat_load_ubyte v21, v[18:19] offset:64 glc slc
	flat_load_ubyte v22, v[18:19] offset:128 glc slc
	;; [unrolled: 1-line block ×31, first 2 shown]
	v_add_co_u32_e32 v18, vcc, v14, v10
	v_addc_co_u32_e32 v19, vcc, v15, v11, vcc
	s_waitcnt vmcnt(0)
	v_add_co_u32_e32 v2, vcc, v2, v46
	v_addc_co_u32_e32 v3, vcc, 0, v3, vcc
	v_add_co_u32_e32 v10, vcc, v10, v46
	v_sub_u32_e32 v12, v12, v45
	v_addc_co_u32_e32 v11, vcc, 0, v11, vcc
	v_cmp_gt_i32_e32 vcc, 1, v12
	s_or_b64 s[46:47], vcc, s[46:47]
	s_waitcnt lgkmcnt(0)
	flat_store_byte v[18:19], v20 glc slc
	flat_store_byte v[18:19], v21 offset:64 glc slc
	flat_store_byte v[18:19], v22 offset:128 glc slc
	;; [unrolled: 1-line block ×31, first 2 shown]
	s_andn2_b64 exec, exec, s[46:47]
	s_cbranch_execnz .LBB6_146
; %bb.147:                              ;   in Loop: Header=BB6_57 Depth=2
	s_or_b64 exec, exec, s[46:47]
	v_mov_b32_e32 v48, v45
.LBB6_148:                              ;   in Loop: Header=BB6_57 Depth=2
	s_or_b64 exec, exec, s[44:45]
	v_lshlrev_b32_e32 v2, 11, v13
	buffer_load_dword v13, off, s[0:3], s33 offset:188 ; 4-byte Folded Reload
	v_cmp_ne_u32_e32 vcc, v1, v2
	s_and_b64 s[44:45], exec, vcc
	s_mov_b64 exec, s[44:45]
	s_cbranch_execz .LBB6_152
; %bb.149:                              ;   in Loop: Header=BB6_57 Depth=2
	v_lshlrev_b32_e32 v3, 6, v7
	v_sub_u32_e32 v3, v6, v3
	v_lshlrev_b32_e32 v6, 6, v12
	v_sub_u32_e32 v3, v3, v6
	v_add_u32_e32 v3, v2, v3
	v_sub_u32_e32 v2, v1, v3
	v_cmp_lt_i32_e32 vcc, 0, v2
	s_and_b64 exec, exec, vcc
	s_cbranch_execz .LBB6_152
; %bb.150:                              ;   in Loop: Header=BB6_57 Depth=2
	v_add_u32_e32 v3, v3, v0
	s_trap 2
	ds_read_b64 v[0:1], v0
	v_ashrrev_i32_e32 v6, 31, v3
	s_mov_b64 s[44:45], 0
.LBB6_151:                              ;   Parent Loop BB6_47 Depth=1
                                        ;     Parent Loop BB6_57 Depth=2
                                        ; =>    This Inner Loop Header: Depth=3
	s_waitcnt lgkmcnt(0)
	v_add_co_u32_e32 v10, vcc, v0, v3
	v_addc_co_u32_e32 v11, vcc, v1, v6, vcc
	flat_load_ubyte v7, v[10:11] glc slc
	s_waitcnt vmcnt(0)
	v_add_co_u32_e32 v3, vcc, v3, v13
	v_sub_u32_e32 v2, v2, v13
	v_addc_co_u32_e32 v6, vcc, 0, v6, vcc
	v_cmp_gt_i32_e32 vcc, 1, v2
	s_or_b64 s[44:45], vcc, s[44:45]
	s_waitcnt lgkmcnt(0)
	flat_store_byte v[10:11], v7 glc slc
	s_andn2_b64 exec, exec, s[44:45]
	s_cbranch_execnz .LBB6_151
.LBB6_152:                              ;   in Loop: Header=BB6_57 Depth=2
	s_or_b64 exec, exec, s[26:27]
	v_cmp_lt_i32_e64 s[26:27], 0, v5
	s_and_saveexec_b64 s[44:45], s[10:11]
	s_cbranch_execz .LBB6_128
.LBB6_153:                              ;   in Loop: Header=BB6_57 Depth=2
	s_and_saveexec_b64 s[46:47], s[72:73]
	s_xor_b64 s[46:47], exec, s[46:47]
	s_cbranch_execz .LBB6_168
; %bb.154:                              ;   in Loop: Header=BB6_57 Depth=2
	s_and_saveexec_b64 s[30:31], s[16:17]
	s_cbranch_execz .LBB6_167
; %bb.155:                              ;   in Loop: Header=BB6_57 Depth=2
	s_mov_b64 s[36:37], exec
	v_mbcnt_lo_u32_b32 v0, s36, 0
	v_mbcnt_hi_u32_b32 v0, s37, v0
	v_cmp_eq_u32_e32 vcc, 0, v0
	s_waitcnt vmcnt(0) lgkmcnt(0)
	buffer_wbinvl1_vol
	s_and_saveexec_b64 s[34:35], vcc
	s_cbranch_execz .LBB6_157
; %bb.156:                              ;   in Loop: Header=BB6_57 Depth=2
	s_bcnt1_i32_b64 s9, s[36:37]
	v_mov_b32_e32 v0, s9
	v_mov_b32_e32 v1, v53
	ds_add_u64 v0, v[0:1]
	s_trap 2
.LBB6_157:                              ;   in Loop: Header=BB6_57 Depth=2
	s_or_b64 exec, exec, s[34:35]
	s_trap 2
	ds_read_b64 v[0:1], v0
	s_waitcnt lgkmcnt(0)
	buffer_load_dword v2, off, s[0:3], s33 offset:76 ; 4-byte Folded Reload
	buffer_load_dword v3, off, s[0:3], s33 offset:80 ; 4-byte Folded Reload
	s_waitcnt vmcnt(1)
	v_add_co_u32_e32 v2, vcc, v2, v48
	s_waitcnt vmcnt(0)
	v_addc_co_u32_e32 v3, vcc, 0, v3, vcc
	buffer_store_dword v2, off, s[0:3], s33 offset:76 ; 4-byte Folded Spill
	s_nop 0
	buffer_store_dword v3, off, s[0:3], s33 offset:80 ; 4-byte Folded Spill
	v_cmp_lt_u64_e32 vcc, v[0:1], v[2:3]
	s_and_saveexec_b64 s[34:35], vcc
	s_cbranch_execz .LBB6_166
; %bb.158:                              ;   in Loop: Header=BB6_57 Depth=2
	s_mov_b32 s9, 0
	s_mov_b64 s[36:37], 0
                                        ; implicit-def: $sgpr38_sgpr39
                                        ; implicit-def: $sgpr48_sgpr49
	s_branch .LBB6_160
.LBB6_159:                              ;   in Loop: Header=BB6_160 Depth=3
	s_or_b64 exec, exec, s[52:53]
	s_and_b64 vcc, exec, vcc
	s_or_b64 s[36:37], vcc, s[36:37]
	s_andn2_b64 vcc, s[38:39], exec
	s_and_b64 s[38:39], s[48:49], exec
	s_or_b64 s[38:39], vcc, s[38:39]
	s_andn2_b64 exec, exec, s[36:37]
	s_cbranch_execz .LBB6_164
.LBB6_160:                              ;   Parent Loop BB6_47 Depth=1
                                        ;     Parent Loop BB6_57 Depth=2
                                        ; =>    This Inner Loop Header: Depth=3
	s_add_i32 s9, s9, 1
	s_cmpk_lg_i32 s9, 0x2710
	s_cselect_b64 s[50:51], -1, 0
	s_and_b64 vcc, exec, s[50:51]
	s_cbranch_vccz .LBB6_162
; %bb.161:                              ;   in Loop: Header=BB6_160 Depth=3
	s_mov_b64 vcc, -1
	s_or_b64 s[48:49], s[48:49], exec
	s_and_saveexec_b64 s[52:53], s[50:51]
	s_cbranch_execz .LBB6_159
	s_branch .LBB6_163
.LBB6_162:                              ;   in Loop: Header=BB6_160 Depth=3
	s_trap 2
	ds_read_b64 v[0:1], v0
	s_andn2_b64 s[50:51], s[50:51], exec
	s_mov_b32 s9, 0
	s_waitcnt vmcnt(0) lgkmcnt(0)
	flat_load_dword v0, v[0:1] glc
	s_waitcnt vmcnt(0) lgkmcnt(0)
	buffer_wbinvl1_vol
	v_cmp_eq_u32_e32 vcc, 0, v0
	s_and_b64 vcc, vcc, exec
	s_or_b64 s[50:51], s[50:51], vcc
	s_mov_b64 vcc, -1
	s_or_b64 s[48:49], s[48:49], exec
	s_and_saveexec_b64 s[52:53], s[50:51]
	s_cbranch_execz .LBB6_159
.LBB6_163:                              ;   in Loop: Header=BB6_160 Depth=3
	s_sleep 1
	s_trap 2
	ds_read_b64 v[0:1], v0
	s_waitcnt lgkmcnt(0)
	buffer_load_dword v2, off, s[0:3], s33 offset:76 ; 4-byte Folded Reload
	buffer_load_dword v3, off, s[0:3], s33 offset:80 ; 4-byte Folded Reload
	s_andn2_b64 s[48:49], s[48:49], exec
	s_waitcnt vmcnt(0)
	v_cmp_ge_u64_e32 vcc, v[0:1], v[2:3]
	s_orn2_b64 vcc, vcc, exec
	s_branch .LBB6_159
.LBB6_164:                              ;   in Loop: Header=BB6_57 Depth=2
	s_or_b64 exec, exec, s[36:37]
	s_and_saveexec_b64 vcc, s[38:39]
	s_xor_b64 vcc, exec, vcc
	s_cbranch_execz .LBB6_166
; %bb.165:                              ;   in Loop: Header=BB6_57 Depth=2
	v_mov_b32_e32 v0, 1
	ds_write_b32 v0, v0
	s_trap 2
.LBB6_166:                              ;   in Loop: Header=BB6_57 Depth=2
	s_or_b64 exec, exec, s[34:35]
	;;#ASMSTART
	s_wakeup
	;;#ASMEND
.LBB6_167:                              ;   in Loop: Header=BB6_57 Depth=2
	s_or_b64 exec, exec, s[30:31]
.LBB6_168:                              ;   in Loop: Header=BB6_57 Depth=2
	s_andn2_saveexec_b64 s[46:47], s[46:47]
	s_cbranch_execz .LBB6_170
; %bb.169:                              ;   in Loop: Header=BB6_57 Depth=2
	s_waitcnt vmcnt(0) lgkmcnt(0)
	buffer_wbinvl1_vol
	s_barrier
.LBB6_170:                              ;   in Loop: Header=BB6_57 Depth=2
	s_or_b64 exec, exec, s[46:47]
	s_or_b64 exec, exec, s[44:45]
                                        ; implicit-def: $vgpr0
	s_and_saveexec_b64 s[44:45], s[24:25]
	s_xor_b64 s[44:45], exec, s[44:45]
	s_cbranch_execnz .LBB6_129
.LBB6_171:                              ;   in Loop: Header=BB6_57 Depth=2
	s_andn2_saveexec_b64 s[26:27], s[44:45]
	s_cbranch_execz .LBB6_132
.LBB6_172:                              ;   in Loop: Header=BB6_57 Depth=2
	s_and_saveexec_b64 s[44:45], s[72:73]
	s_xor_b64 s[44:45], exec, s[44:45]
	s_cbranch_execz .LBB6_187
; %bb.173:                              ;   in Loop: Header=BB6_57 Depth=2
	s_and_saveexec_b64 s[46:47], s[16:17]
	s_cbranch_execz .LBB6_186
; %bb.174:                              ;   in Loop: Header=BB6_57 Depth=2
	s_mov_b64 s[34:35], exec
	v_mbcnt_lo_u32_b32 v0, s34, 0
	v_mbcnt_hi_u32_b32 v0, s35, v0
	v_cmp_eq_u32_e32 vcc, 0, v0
	;;#ASMSTART
	s_waitcnt lgkmcnt(0) vmcnt(0)
	;;#ASMEND
	s_and_saveexec_b64 s[30:31], vcc
	s_cbranch_execz .LBB6_176
; %bb.175:                              ;   in Loop: Header=BB6_57 Depth=2
	s_bcnt1_i32_b64 s9, s[34:35]
	v_mov_b32_e32 v0, s9
	v_mov_b32_e32 v1, v53
	s_waitcnt lgkmcnt(0)
	ds_add_u64 v0, v[0:1]
	s_trap 2
.LBB6_176:                              ;   in Loop: Header=BB6_57 Depth=2
	s_or_b64 exec, exec, s[30:31]
	s_trap 2
	ds_read_b64 v[0:1], v0
	s_waitcnt lgkmcnt(0)
	buffer_load_dword v2, off, s[0:3], s33 offset:76 ; 4-byte Folded Reload
	buffer_load_dword v3, off, s[0:3], s33 offset:80 ; 4-byte Folded Reload
	s_waitcnt vmcnt(0)
	v_add_co_u32_e32 v2, vcc, v2, v48
	v_addc_co_u32_e32 v3, vcc, 0, v3, vcc
	buffer_store_dword v2, off, s[0:3], s33 offset:76 ; 4-byte Folded Spill
	s_nop 0
	buffer_store_dword v3, off, s[0:3], s33 offset:80 ; 4-byte Folded Spill
	v_cmp_lt_u64_e32 vcc, v[0:1], v[2:3]
	s_and_saveexec_b64 s[30:31], vcc
	s_cbranch_execz .LBB6_185
; %bb.177:                              ;   in Loop: Header=BB6_57 Depth=2
	s_mov_b32 s9, 0
	s_mov_b64 s[34:35], 0
                                        ; implicit-def: $sgpr36_sgpr37
                                        ; implicit-def: $sgpr38_sgpr39
	s_branch .LBB6_179
.LBB6_178:                              ;   in Loop: Header=BB6_179 Depth=3
	s_or_b64 exec, exec, s[50:51]
	s_and_b64 vcc, exec, vcc
	s_or_b64 s[34:35], vcc, s[34:35]
	s_andn2_b64 vcc, s[36:37], exec
	s_and_b64 s[36:37], s[38:39], exec
	s_or_b64 s[36:37], vcc, s[36:37]
	s_andn2_b64 exec, exec, s[34:35]
	s_cbranch_execz .LBB6_183
.LBB6_179:                              ;   Parent Loop BB6_47 Depth=1
                                        ;     Parent Loop BB6_57 Depth=2
                                        ; =>    This Inner Loop Header: Depth=3
	s_add_i32 s9, s9, 1
	s_cmpk_lg_i32 s9, 0x2710
	s_cselect_b64 s[48:49], -1, 0
	s_and_b64 vcc, exec, s[48:49]
	s_cbranch_vccz .LBB6_181
; %bb.180:                              ;   in Loop: Header=BB6_179 Depth=3
	s_mov_b64 vcc, -1
	s_or_b64 s[38:39], s[38:39], exec
	s_and_saveexec_b64 s[50:51], s[48:49]
	s_cbranch_execz .LBB6_178
	s_branch .LBB6_182
.LBB6_181:                              ;   in Loop: Header=BB6_179 Depth=3
	s_trap 2
	ds_read_b64 v[0:1], v0
	s_andn2_b64 s[48:49], s[48:49], exec
	s_mov_b32 s9, 0
	s_waitcnt vmcnt(0) lgkmcnt(0)
	flat_load_dword v0, v[0:1] glc
	s_waitcnt vmcnt(0) lgkmcnt(0)
	buffer_wbinvl1_vol
	v_cmp_eq_u32_e32 vcc, 0, v0
	s_and_b64 vcc, vcc, exec
	s_or_b64 s[48:49], s[48:49], vcc
	s_mov_b64 vcc, -1
	s_or_b64 s[38:39], s[38:39], exec
	s_and_saveexec_b64 s[50:51], s[48:49]
	s_cbranch_execz .LBB6_178
.LBB6_182:                              ;   in Loop: Header=BB6_179 Depth=3
	s_sleep 1
	s_trap 2
	ds_read_b64 v[0:1], v0
	s_waitcnt lgkmcnt(0)
	buffer_load_dword v2, off, s[0:3], s33 offset:76 ; 4-byte Folded Reload
	buffer_load_dword v3, off, s[0:3], s33 offset:80 ; 4-byte Folded Reload
	s_andn2_b64 s[38:39], s[38:39], exec
	s_waitcnt vmcnt(0)
	v_cmp_ge_u64_e32 vcc, v[0:1], v[2:3]
	s_orn2_b64 vcc, vcc, exec
	s_branch .LBB6_178
.LBB6_183:                              ;   in Loop: Header=BB6_57 Depth=2
	s_or_b64 exec, exec, s[34:35]
	s_and_saveexec_b64 vcc, s[36:37]
	s_xor_b64 vcc, exec, vcc
	s_cbranch_execz .LBB6_185
; %bb.184:                              ;   in Loop: Header=BB6_57 Depth=2
	v_mov_b32_e32 v0, 1
	ds_write_b32 v0, v0
	s_trap 2
.LBB6_185:                              ;   in Loop: Header=BB6_57 Depth=2
	s_or_b64 exec, exec, s[30:31]
	;;#ASMSTART
	s_wakeup
	;;#ASMEND
.LBB6_186:                              ;   in Loop: Header=BB6_57 Depth=2
	s_or_b64 exec, exec, s[46:47]
.LBB6_187:                              ;   in Loop: Header=BB6_57 Depth=2
	s_andn2_saveexec_b64 s[44:45], s[44:45]
	s_cbranch_execz .LBB6_189
; %bb.188:                              ;   in Loop: Header=BB6_57 Depth=2
	;;#ASMSTART
	s_waitcnt lgkmcnt(0) vmcnt(0)
	;;#ASMEND
	s_waitcnt vmcnt(0) lgkmcnt(0)
	s_barrier
.LBB6_189:                              ;   in Loop: Header=BB6_57 Depth=2
	s_or_b64 exec, exec, s[44:45]
	buffer_load_dword v0, off, s[0:3], s33 offset:72 ; 4-byte Folded Reload
	s_waitcnt vmcnt(0)
	v_and_b32_e32 v0, 16, v0
	s_or_b64 exec, exec, s[26:27]
	v_cmp_ne_u32_e32 vcc, 0, v0
	s_and_saveexec_b64 s[26:27], vcc
	s_cbranch_execz .LBB6_56
.LBB6_190:                              ;   in Loop: Header=BB6_57 Depth=2
	s_and_saveexec_b64 s[44:45], s[14:15]
	s_cbranch_execz .LBB6_55
; %bb.191:                              ;   in Loop: Header=BB6_57 Depth=2
	buffer_load_dword v0, off, s[0:3], s33 offset:220 ; 4-byte Folded Reload
	buffer_load_dword v1, off, s[0:3], s33 offset:224 ; 4-byte Folded Reload
	v_mov_b32_e32 v2, 1
	s_waitcnt vmcnt(0)
	flat_store_dword v[0:1], v2
	s_branch .LBB6_55
.LBB6_192:                              ;   in Loop: Header=BB6_47 Depth=1
	s_or_b64 exec, exec, s[40:41]
.LBB6_193:                              ;   in Loop: Header=BB6_47 Depth=1
	s_or_b64 exec, exec, s[28:29]
	v_cmp_gt_i32_e32 vcc, 2, v0
	s_and_saveexec_b64 s[28:29], vcc
	s_cbranch_execz .LBB6_265
; %bb.194:                              ;   in Loop: Header=BB6_47 Depth=1
	v_cmp_eq_u32_e64 s[42:43], 0, v0
	s_mov_b64 s[40:41], 0
	s_branch .LBB6_197
.LBB6_195:                              ;   in Loop: Header=BB6_197 Depth=2
	s_or_b64 exec, exec, s[42:43]
	buffer_load_dword v2, off, s[0:3], s33 offset:84 ; 4-byte Folded Reload
	buffer_load_dword v3, off, s[0:3], s33 offset:88 ; 4-byte Folded Reload
	;; [unrolled: 1-line block ×4, first 2 shown]
	s_waitcnt vmcnt(0)
	v_add_co_u32_e32 v2, vcc, 2, v2
	v_addc_co_u32_e32 v3, vcc, 0, v3, vcc
	buffer_store_dword v2, off, s[0:3], s33 offset:84 ; 4-byte Folded Spill
	s_nop 0
	buffer_store_dword v3, off, s[0:3], s33 offset:88 ; 4-byte Folded Spill
	flat_store_dwordx2 v[0:1], v[2:3]
.LBB6_196:                              ;   in Loop: Header=BB6_197 Depth=2
	s_or_b64 exec, exec, s[26:27]
	v_add_u32_e32 v17, v4, v17
	s_mov_b64 s[42:43], 0
	s_andn2_b64 exec, exec, s[40:41]
	s_cbranch_execz .LBB6_264
.LBB6_197:                              ;   Parent Loop BB6_47 Depth=1
                                        ; =>  This Loop Header: Depth=2
                                        ;       Child Loop BB6_203 Depth 3
                                        ;       Child Loop BB6_227 Depth 3
	;; [unrolled: 1-line block ×3, first 2 shown]
	v_sub_u32_e32 v0, v16, v17
	v_min_i32_e32 v4, v4, v0
	buffer_load_dword v0, off, s[0:3], s33 offset:72 ; 4-byte Folded Reload
	s_waitcnt vmcnt(0)
	v_and_b32_e32 v0, 8, v0
	v_cmp_ne_u32_e32 vcc, 0, v0
	s_and_saveexec_b64 s[44:45], vcc
	s_cbranch_execz .LBB6_219
; %bb.198:                              ;   in Loop: Header=BB6_197 Depth=2
	buffer_load_dword v0, off, s[0:3], s33 offset:56 ; 4-byte Folded Reload
	buffer_load_dword v1, off, s[0:3], s33 offset:60 ; 4-byte Folded Reload
	;; [unrolled: 1-line block ×4, first 2 shown]
	s_waitcnt vmcnt(0)
	v_add_co_u32_e32 v0, vcc, 8, v0
	v_addc_co_u32_e32 v1, vcc, 0, v1, vcc
	v_add_co_u32_e32 v2, vcc, 2, v2
	v_addc_co_u32_e32 v3, vcc, 0, v3, vcc
	v_cmp_lt_u64_e32 vcc, v[0:1], v[2:3]
	s_and_saveexec_b64 s[46:47], vcc
	s_cbranch_execz .LBB6_210
; %bb.199:                              ;   in Loop: Header=BB6_197 Depth=2
	buffer_load_dword v0, off, s[0:3], s33 offset:72 ; 4-byte Folded Reload
	s_mov_b32 s8, 0
	s_mov_b64 s[30:31], 0
                                        ; implicit-def: $sgpr34_sgpr35
                                        ; implicit-def: $sgpr36_sgpr37
                                        ; implicit-def: $sgpr38_sgpr39
	s_waitcnt vmcnt(0)
	v_and_b32_e32 v0, 64, v0
	v_cmp_eq_u32_e32 vcc, 0, v0
	s_branch .LBB6_203
.LBB6_200:                              ;   in Loop: Header=BB6_203 Depth=3
	buffer_load_dword v5, off, s[0:3], s33 offset:56 ; 4-byte Folded Reload
	buffer_load_dword v6, off, s[0:3], s33 offset:60 ; 4-byte Folded Reload
	s_or_b64 s[52:53], s[52:53], exec
	s_waitcnt vmcnt(1)
	v_add_co_u32_e64 v5, s[26:27], 8, v5
	s_waitcnt vmcnt(0)
	v_addc_co_u32_e64 v6, s[26:27], 0, v6, s[26:27]
	v_cmp_ge_u64_e64 s[26:27], v[5:6], v[2:3]
	s_orn2_b64 s[50:51], s[26:27], exec
.LBB6_201:                              ;   in Loop: Header=BB6_203 Depth=3
	s_or_b64 exec, exec, s[64:65]
	s_andn2_b64 s[26:27], s[38:39], exec
	s_and_b64 s[38:39], s[52:53], exec
	s_or_b64 s[38:39], s[26:27], s[38:39]
	s_andn2_b64 s[26:27], s[36:37], exec
	s_and_b64 s[36:37], s[50:51], exec
	s_or_b64 s[36:37], s[26:27], s[36:37]
.LBB6_202:                              ;   in Loop: Header=BB6_203 Depth=3
	s_or_b64 exec, exec, s[48:49]
	s_and_b64 s[26:27], exec, s[36:37]
	s_or_b64 s[30:31], s[26:27], s[30:31]
	s_andn2_b64 s[26:27], s[34:35], exec
	s_and_b64 s[34:35], s[38:39], exec
	s_or_b64 s[34:35], s[26:27], s[34:35]
	s_andn2_b64 exec, exec, s[30:31]
	s_cbranch_execz .LBB6_207
.LBB6_203:                              ;   Parent Loop BB6_47 Depth=1
                                        ;     Parent Loop BB6_197 Depth=2
                                        ; =>    This Inner Loop Header: Depth=3
	s_sleep 1
	buffer_load_dword v0, off, s[0:3], s33 offset:64 ; 4-byte Folded Reload
	buffer_load_dword v1, off, s[0:3], s33 offset:68 ; 4-byte Folded Reload
	s_or_b64 s[38:39], s[38:39], exec
	s_or_b64 s[36:37], s[36:37], exec
	s_waitcnt vmcnt(0)
	flat_load_dwordx2 v[0:1], v[0:1] glc
	s_waitcnt vmcnt(0) lgkmcnt(0)
	buffer_store_dword v0, off, s[0:3], s33 offset:56 ; 4-byte Folded Spill
	s_nop 0
	buffer_store_dword v1, off, s[0:3], s33 offset:60 ; 4-byte Folded Spill
                                        ; implicit-def: $vgpr0
	s_and_saveexec_b64 s[48:49], vcc
	s_cbranch_execz .LBB6_202
; %bb.204:                              ;   in Loop: Header=BB6_203 Depth=3
	s_cmpk_lt_i32 s8, 0x270f
	s_cselect_b64 s[54:55], -1, 0
	s_cmpk_gt_i32 s8, 0x270e
	s_mov_b64 s[50:51], -1
	s_cbranch_scc0 .LBB6_206
; %bb.205:                              ;   in Loop: Header=BB6_203 Depth=3
	s_trap 2
	ds_read_b64 v[0:1], v0
	s_andn2_b64 s[54:55], s[54:55], exec
	s_mov_b32 s8, 0
	s_mov_b64 s[52:53], 0
	s_waitcnt vmcnt(0) lgkmcnt(0)
	flat_load_dword v0, v[0:1] glc
	s_waitcnt vmcnt(0) lgkmcnt(0)
	buffer_wbinvl1_vol
	v_cmp_eq_u32_e64 s[26:27], 0, v0
	s_and_b64 s[26:27], s[26:27], exec
	s_or_b64 s[54:55], s[54:55], s[26:27]
	s_and_saveexec_b64 s[64:65], s[54:55]
	s_cbranch_execz .LBB6_201
	s_branch .LBB6_200
.LBB6_206:                              ;   in Loop: Header=BB6_203 Depth=3
	s_add_i32 s8, s8, 1
	s_mov_b64 s[52:53], -1
                                        ; implicit-def: $vgpr0
	s_and_saveexec_b64 s[64:65], s[54:55]
	s_cbranch_execz .LBB6_201
	s_branch .LBB6_200
.LBB6_207:                              ;   in Loop: Header=BB6_197 Depth=2
	s_or_b64 exec, exec, s[30:31]
	s_xor_b64 s[8:9], s[34:35], -1
	s_and_saveexec_b64 s[26:27], s[8:9]
	s_xor_b64 s[26:27], exec, s[26:27]
	s_cbranch_execz .LBB6_209
; %bb.208:                              ;   in Loop: Header=BB6_197 Depth=2
	ds_write_b32 v0, v0
	s_trap 2
	buffer_load_dword v0, off, s[0:3], s33 offset:72 ; 4-byte Folded Reload
	s_waitcnt vmcnt(0)
	v_or_b32_e32 v0, 64, v0
	buffer_store_dword v0, off, s[0:3], s33 offset:72 ; 4-byte Folded Spill
.LBB6_209:                              ;   in Loop: Header=BB6_197 Depth=2
	s_or_b64 exec, exec, s[26:27]
.LBB6_210:                              ;   in Loop: Header=BB6_197 Depth=2
	s_or_b64 exec, exec, s[46:47]
	;;#ASMSTART
	s_wakeup
	;;#ASMEND
	buffer_load_dword v0, off, s[0:3], s33 offset:72 ; 4-byte Folded Reload
	s_mov_b64 s[26:27], -1
	s_waitcnt vmcnt(0)
	v_and_b32_e32 v0, 0x100, v0
	v_cmp_ne_u32_e32 vcc, 0, v0
	buffer_load_dword v0, off, s[0:3], s33 offset:84 ; 4-byte Folded Reload
	buffer_load_dword v1, off, s[0:3], s33 offset:88 ; 4-byte Folded Reload
	s_waitcnt vmcnt(0)
	v_and_b32_e32 v8, 7, v0
                                        ; implicit-def: $vgpr0_vgpr1
	s_and_saveexec_b64 s[46:47], vcc
	s_cbranch_execz .LBB6_214
; %bb.211:                              ;   in Loop: Header=BB6_197 Depth=2
	buffer_load_dword v9, off, s[0:3], s33 offset:204 ; 4-byte Folded Reload
	buffer_load_dword v10, off, s[0:3], s33 offset:208 ; 4-byte Folded Reload
	buffer_load_dword v11, off, s[0:3], s33 offset:212 ; 4-byte Folded Reload
	buffer_load_dword v12, off, s[0:3], s33 offset:216 ; 4-byte Folded Reload
	v_ashrrev_i32_e32 v5, 31, v4
	s_waitcnt vmcnt(0)
	v_mad_u64_u32 v[6:7], s[8:9], v8, 24, v[9:10]
	flat_load_dword v0, v[6:7]
	s_nop 0
	flat_store_dwordx2 v[6:7], v[4:5] offset:8
	s_waitcnt vmcnt(0) lgkmcnt(0)
	v_cmp_ne_u32_e32 vcc, 1, v0
	v_cmp_eq_u32_e64 s[26:27], 1, v0
                                        ; implicit-def: $vgpr0_vgpr1
	s_and_saveexec_b64 s[30:31], s[26:27]
	s_cbranch_execz .LBB6_213
; %bb.212:                              ;   in Loop: Header=BB6_197 Depth=2
	flat_load_dword v0, v[6:7] offset:4 glc
	s_waitcnt vmcnt(0) lgkmcnt(0)
	v_ashrrev_i32_e32 v1, 31, v0
.LBB6_213:                              ;   in Loop: Header=BB6_197 Depth=2
	s_or_b64 exec, exec, s[30:31]
	s_orn2_b64 s[26:27], vcc, exec
.LBB6_214:                              ;   in Loop: Header=BB6_197 Depth=2
	s_or_b64 exec, exec, s[46:47]
	s_and_saveexec_b64 s[46:47], s[26:27]
	s_cbranch_execz .LBB6_216
; %bb.215:                              ;   in Loop: Header=BB6_197 Depth=2
	buffer_load_dword v0, off, s[0:3], s33 offset:232 ; 4-byte Folded Reload
	s_waitcnt vmcnt(0)
	v_mad_i64_i32 v[0:1], s[8:9], v8, v0, 0
.LBB6_216:                              ;   in Loop: Header=BB6_197 Depth=2
	s_or_b64 exec, exec, s[46:47]
	buffer_load_dword v5, off, s[0:3], s33 offset:196 ; 4-byte Folded Reload
	buffer_load_dword v6, off, s[0:3], s33 offset:200 ; 4-byte Folded Reload
	s_waitcnt vmcnt(0)
	v_add_co_u32_e32 v0, vcc, v5, v0
	v_addc_co_u32_e32 v1, vcc, v6, v1, vcc
	ds_write_b64 v0, v[0:1] offset:784
	buffer_load_dword v0, off, s[0:3], s33 offset:72 ; 4-byte Folded Reload
	s_waitcnt vmcnt(0)
	v_and_b32_e32 v0, 0x2000, v0
	v_cmp_ne_u32_e32 vcc, 0, v0
	s_and_saveexec_b64 s[26:27], vcc
	s_cbranch_execz .LBB6_218
; %bb.217:                              ;   in Loop: Header=BB6_197 Depth=2
	ds_read_b64 v[0:1], v0 offset:872
	s_waitcnt lgkmcnt(0)
	v_add_co_u32_e32 v0, vcc, 1, v0
	v_addc_co_u32_e32 v1, vcc, 0, v1, vcc
	ds_write_b64 v0, v[0:1] offset:872
.LBB6_218:                              ;   in Loop: Header=BB6_197 Depth=2
	s_or_b64 exec, exec, s[26:27]
	buffer_store_dword v2, off, s[0:3], s33 offset:84 ; 4-byte Folded Spill
	s_nop 0
	buffer_store_dword v3, off, s[0:3], s33 offset:88 ; 4-byte Folded Spill
.LBB6_219:                              ;   in Loop: Header=BB6_197 Depth=2
	s_or_b64 exec, exec, s[44:45]
	s_xor_b64 s[8:9], s[42:43], -1
	s_and_b64 s[8:9], exec, s[8:9]
	s_or_b64 s[40:41], s[8:9], s[40:41]
	s_and_saveexec_b64 s[26:27], s[10:11]
	s_cbranch_execz .LBB6_238
; %bb.220:                              ;   in Loop: Header=BB6_197 Depth=2
	s_and_saveexec_b64 s[8:9], s[72:73]
	s_xor_b64 s[42:43], exec, s[8:9]
	s_cbranch_execz .LBB6_235
; %bb.221:                              ;   in Loop: Header=BB6_197 Depth=2
	s_and_saveexec_b64 s[44:45], s[16:17]
	s_cbranch_execz .LBB6_234
; %bb.222:                              ;   in Loop: Header=BB6_197 Depth=2
	s_mov_b64 s[30:31], exec
	v_mbcnt_lo_u32_b32 v0, s30, 0
	v_mbcnt_hi_u32_b32 v0, s31, v0
	v_cmp_eq_u32_e32 vcc, 0, v0
	s_waitcnt vmcnt(0) lgkmcnt(0)
	buffer_wbinvl1_vol
	s_and_saveexec_b64 s[46:47], vcc
	s_cbranch_execz .LBB6_224
; %bb.223:                              ;   in Loop: Header=BB6_197 Depth=2
	s_bcnt1_i32_b64 s8, s[30:31]
	v_mov_b32_e32 v0, s8
	v_mov_b32_e32 v1, v53
	ds_add_u64 v0, v[0:1]
	s_trap 2
.LBB6_224:                              ;   in Loop: Header=BB6_197 Depth=2
	s_or_b64 exec, exec, s[46:47]
	s_trap 2
	ds_read_b64 v[0:1], v0
	s_waitcnt lgkmcnt(0)
	buffer_load_dword v2, off, s[0:3], s33 offset:76 ; 4-byte Folded Reload
	buffer_load_dword v3, off, s[0:3], s33 offset:80 ; 4-byte Folded Reload
	s_waitcnt vmcnt(1)
	v_add_co_u32_e32 v2, vcc, v2, v48
	s_waitcnt vmcnt(0)
	v_addc_co_u32_e32 v3, vcc, 0, v3, vcc
	buffer_store_dword v2, off, s[0:3], s33 offset:76 ; 4-byte Folded Spill
	s_nop 0
	buffer_store_dword v3, off, s[0:3], s33 offset:80 ; 4-byte Folded Spill
	v_cmp_lt_u64_e32 vcc, v[0:1], v[2:3]
	s_and_saveexec_b64 s[46:47], vcc
	s_cbranch_execz .LBB6_233
; %bb.225:                              ;   in Loop: Header=BB6_197 Depth=2
	s_mov_b32 s8, 0
	s_mov_b64 s[30:31], 0
                                        ; implicit-def: $sgpr34_sgpr35
                                        ; implicit-def: $sgpr36_sgpr37
	s_branch .LBB6_227
.LBB6_226:                              ;   in Loop: Header=BB6_227 Depth=3
	s_or_b64 exec, exec, s[48:49]
	s_and_b64 vcc, exec, vcc
	s_or_b64 s[30:31], vcc, s[30:31]
	s_andn2_b64 vcc, s[34:35], exec
	s_and_b64 s[34:35], s[36:37], exec
	s_or_b64 s[34:35], vcc, s[34:35]
	s_andn2_b64 exec, exec, s[30:31]
	s_cbranch_execz .LBB6_231
.LBB6_227:                              ;   Parent Loop BB6_47 Depth=1
                                        ;     Parent Loop BB6_197 Depth=2
                                        ; =>    This Inner Loop Header: Depth=3
	s_add_i32 s8, s8, 1
	s_cmpk_lg_i32 s8, 0x2710
	s_cselect_b64 s[38:39], -1, 0
	s_and_b64 vcc, exec, s[38:39]
	s_cbranch_vccz .LBB6_229
; %bb.228:                              ;   in Loop: Header=BB6_227 Depth=3
	s_mov_b64 vcc, -1
	s_or_b64 s[36:37], s[36:37], exec
	s_and_saveexec_b64 s[48:49], s[38:39]
	s_cbranch_execz .LBB6_226
	s_branch .LBB6_230
.LBB6_229:                              ;   in Loop: Header=BB6_227 Depth=3
	s_trap 2
	ds_read_b64 v[0:1], v0
	s_andn2_b64 s[38:39], s[38:39], exec
	s_mov_b32 s8, 0
	s_waitcnt vmcnt(0) lgkmcnt(0)
	flat_load_dword v0, v[0:1] glc
	s_waitcnt vmcnt(0) lgkmcnt(0)
	buffer_wbinvl1_vol
	v_cmp_eq_u32_e32 vcc, 0, v0
	s_and_b64 vcc, vcc, exec
	s_or_b64 s[38:39], s[38:39], vcc
	s_mov_b64 vcc, -1
	s_or_b64 s[36:37], s[36:37], exec
	s_and_saveexec_b64 s[48:49], s[38:39]
	s_cbranch_execz .LBB6_226
.LBB6_230:                              ;   in Loop: Header=BB6_227 Depth=3
	s_sleep 1
	s_trap 2
	ds_read_b64 v[0:1], v0
	s_waitcnt lgkmcnt(0)
	buffer_load_dword v2, off, s[0:3], s33 offset:76 ; 4-byte Folded Reload
	buffer_load_dword v3, off, s[0:3], s33 offset:80 ; 4-byte Folded Reload
	s_andn2_b64 s[36:37], s[36:37], exec
	s_waitcnt vmcnt(0)
	v_cmp_ge_u64_e32 vcc, v[0:1], v[2:3]
	s_orn2_b64 vcc, vcc, exec
	s_branch .LBB6_226
.LBB6_231:                              ;   in Loop: Header=BB6_197 Depth=2
	s_or_b64 exec, exec, s[30:31]
	s_and_saveexec_b64 s[8:9], s[34:35]
	s_xor_b64 s[8:9], exec, s[8:9]
	s_cbranch_execz .LBB6_233
; %bb.232:                              ;   in Loop: Header=BB6_197 Depth=2
	v_mov_b32_e32 v0, 1
	ds_write_b32 v0, v0
	s_trap 2
.LBB6_233:                              ;   in Loop: Header=BB6_197 Depth=2
	s_or_b64 exec, exec, s[46:47]
	;;#ASMSTART
	s_wakeup
	;;#ASMEND
.LBB6_234:                              ;   in Loop: Header=BB6_197 Depth=2
	s_or_b64 exec, exec, s[44:45]
.LBB6_235:                              ;   in Loop: Header=BB6_197 Depth=2
	s_andn2_saveexec_b64 s[42:43], s[42:43]
	s_cbranch_execz .LBB6_237
; %bb.236:                              ;   in Loop: Header=BB6_197 Depth=2
	s_waitcnt vmcnt(0) lgkmcnt(0)
	buffer_wbinvl1_vol
	s_barrier
.LBB6_237:                              ;   in Loop: Header=BB6_197 Depth=2
	s_or_b64 exec, exec, s[42:43]
.LBB6_238:                              ;   in Loop: Header=BB6_197 Depth=2
	s_or_b64 exec, exec, s[26:27]
                                        ; implicit-def: $vgpr0
	s_and_saveexec_b64 s[8:9], s[24:25]
	s_xor_b64 s[26:27], exec, s[8:9]
	s_cbranch_execz .LBB6_243
; %bb.239:                              ;   in Loop: Header=BB6_197 Depth=2
	s_trap 2
	buffer_load_dword v1, off, s[0:3], s33 offset:72 ; 4-byte Folded Reload
	ds_read_b32 v0, v0
	v_cmp_lt_i32_e32 vcc, 0, v4
	s_waitcnt lgkmcnt(0)
	v_readfirstlane_b32 s8, v0
	s_cmp_eq_u32 s8, 0
	s_cselect_b64 s[8:9], -1, 0
	s_and_b64 s[8:9], vcc, s[8:9]
	s_waitcnt vmcnt(0)
	v_and_b32_e32 v0, 16, v1
	v_and_b32_e32 v1, 16, v1
	v_cmp_ne_u32_e32 vcc, 0, v1
	s_and_b64 s[8:9], vcc, s[8:9]
	s_and_saveexec_b64 s[42:43], s[8:9]
	s_cbranch_execz .LBB6_241
; %bb.240:                              ;   in Loop: Header=BB6_197 Depth=2
	v_mov_b32_e32 v0, 1
	buffer_wbinvl1_vol
.LBB6_241:                              ;   in Loop: Header=BB6_197 Depth=2
	s_or_b64 exec, exec, s[42:43]
	s_andn2_saveexec_b64 s[26:27], s[26:27]
	s_cbranch_execnz .LBB6_244
.LBB6_242:                              ;   in Loop: Header=BB6_197 Depth=2
	s_or_b64 exec, exec, s[26:27]
	v_cmp_ne_u32_e32 vcc, 0, v0
	s_and_saveexec_b64 s[26:27], vcc
	s_cbranch_execz .LBB6_196
	s_branch .LBB6_262
.LBB6_243:                              ;   in Loop: Header=BB6_197 Depth=2
	s_andn2_saveexec_b64 s[26:27], s[26:27]
	s_cbranch_execz .LBB6_242
.LBB6_244:                              ;   in Loop: Header=BB6_197 Depth=2
	s_and_saveexec_b64 s[8:9], s[72:73]
	s_xor_b64 s[42:43], exec, s[8:9]
	s_cbranch_execz .LBB6_259
; %bb.245:                              ;   in Loop: Header=BB6_197 Depth=2
	s_and_saveexec_b64 s[44:45], s[16:17]
	s_cbranch_execz .LBB6_258
; %bb.246:                              ;   in Loop: Header=BB6_197 Depth=2
	s_mov_b64 s[30:31], exec
	v_mbcnt_lo_u32_b32 v0, s30, 0
	v_mbcnt_hi_u32_b32 v0, s31, v0
	v_cmp_eq_u32_e32 vcc, 0, v0
	;;#ASMSTART
	s_waitcnt lgkmcnt(0) vmcnt(0)
	;;#ASMEND
	s_and_saveexec_b64 s[46:47], vcc
	s_cbranch_execz .LBB6_248
; %bb.247:                              ;   in Loop: Header=BB6_197 Depth=2
	s_bcnt1_i32_b64 s8, s[30:31]
	v_mov_b32_e32 v0, s8
	v_mov_b32_e32 v1, v53
	s_waitcnt lgkmcnt(0)
	ds_add_u64 v0, v[0:1]
	s_trap 2
.LBB6_248:                              ;   in Loop: Header=BB6_197 Depth=2
	s_or_b64 exec, exec, s[46:47]
	s_trap 2
	ds_read_b64 v[0:1], v0
	s_waitcnt lgkmcnt(0)
	buffer_load_dword v2, off, s[0:3], s33 offset:76 ; 4-byte Folded Reload
	buffer_load_dword v3, off, s[0:3], s33 offset:80 ; 4-byte Folded Reload
	s_waitcnt vmcnt(1)
	v_add_co_u32_e32 v2, vcc, v2, v48
	s_waitcnt vmcnt(0)
	v_addc_co_u32_e32 v3, vcc, 0, v3, vcc
	buffer_store_dword v2, off, s[0:3], s33 offset:76 ; 4-byte Folded Spill
	s_nop 0
	buffer_store_dword v3, off, s[0:3], s33 offset:80 ; 4-byte Folded Spill
	v_cmp_lt_u64_e32 vcc, v[0:1], v[2:3]
	s_and_saveexec_b64 s[46:47], vcc
	s_cbranch_execz .LBB6_257
; %bb.249:                              ;   in Loop: Header=BB6_197 Depth=2
	s_mov_b32 s8, 0
	s_mov_b64 s[30:31], 0
                                        ; implicit-def: $sgpr34_sgpr35
                                        ; implicit-def: $sgpr36_sgpr37
	s_branch .LBB6_251
.LBB6_250:                              ;   in Loop: Header=BB6_251 Depth=3
	s_or_b64 exec, exec, s[48:49]
	s_and_b64 vcc, exec, vcc
	s_or_b64 s[30:31], vcc, s[30:31]
	s_andn2_b64 vcc, s[34:35], exec
	s_and_b64 s[34:35], s[36:37], exec
	s_or_b64 s[34:35], vcc, s[34:35]
	s_andn2_b64 exec, exec, s[30:31]
	s_cbranch_execz .LBB6_255
.LBB6_251:                              ;   Parent Loop BB6_47 Depth=1
                                        ;     Parent Loop BB6_197 Depth=2
                                        ; =>    This Inner Loop Header: Depth=3
	s_add_i32 s8, s8, 1
	s_cmpk_lg_i32 s8, 0x2710
	s_cselect_b64 s[38:39], -1, 0
	s_and_b64 vcc, exec, s[38:39]
	s_cbranch_vccz .LBB6_253
; %bb.252:                              ;   in Loop: Header=BB6_251 Depth=3
	s_mov_b64 vcc, -1
	s_or_b64 s[36:37], s[36:37], exec
	s_and_saveexec_b64 s[48:49], s[38:39]
	s_cbranch_execz .LBB6_250
	s_branch .LBB6_254
.LBB6_253:                              ;   in Loop: Header=BB6_251 Depth=3
	s_trap 2
	ds_read_b64 v[0:1], v0
	s_andn2_b64 s[38:39], s[38:39], exec
	s_mov_b32 s8, 0
	s_waitcnt vmcnt(0) lgkmcnt(0)
	flat_load_dword v0, v[0:1] glc
	s_waitcnt vmcnt(0) lgkmcnt(0)
	buffer_wbinvl1_vol
	v_cmp_eq_u32_e32 vcc, 0, v0
	s_and_b64 vcc, vcc, exec
	s_or_b64 s[38:39], s[38:39], vcc
	s_mov_b64 vcc, -1
	s_or_b64 s[36:37], s[36:37], exec
	s_and_saveexec_b64 s[48:49], s[38:39]
	s_cbranch_execz .LBB6_250
.LBB6_254:                              ;   in Loop: Header=BB6_251 Depth=3
	s_sleep 1
	s_trap 2
	ds_read_b64 v[0:1], v0
	s_waitcnt lgkmcnt(0)
	buffer_load_dword v2, off, s[0:3], s33 offset:76 ; 4-byte Folded Reload
	buffer_load_dword v3, off, s[0:3], s33 offset:80 ; 4-byte Folded Reload
	s_andn2_b64 s[36:37], s[36:37], exec
	s_waitcnt vmcnt(0)
	v_cmp_ge_u64_e32 vcc, v[0:1], v[2:3]
	s_orn2_b64 vcc, vcc, exec
	s_branch .LBB6_250
.LBB6_255:                              ;   in Loop: Header=BB6_197 Depth=2
	s_or_b64 exec, exec, s[30:31]
	s_and_saveexec_b64 s[8:9], s[34:35]
	s_xor_b64 s[8:9], exec, s[8:9]
	s_cbranch_execz .LBB6_257
; %bb.256:                              ;   in Loop: Header=BB6_197 Depth=2
	v_mov_b32_e32 v0, 1
	ds_write_b32 v0, v0
	s_trap 2
.LBB6_257:                              ;   in Loop: Header=BB6_197 Depth=2
	s_or_b64 exec, exec, s[46:47]
	;;#ASMSTART
	s_wakeup
	;;#ASMEND
.LBB6_258:                              ;   in Loop: Header=BB6_197 Depth=2
	s_or_b64 exec, exec, s[44:45]
.LBB6_259:                              ;   in Loop: Header=BB6_197 Depth=2
	s_andn2_saveexec_b64 s[42:43], s[42:43]
	s_cbranch_execz .LBB6_261
; %bb.260:                              ;   in Loop: Header=BB6_197 Depth=2
	;;#ASMSTART
	s_waitcnt lgkmcnt(0) vmcnt(0)
	;;#ASMEND
	s_waitcnt vmcnt(0) lgkmcnt(0)
	s_barrier
.LBB6_261:                              ;   in Loop: Header=BB6_197 Depth=2
	s_or_b64 exec, exec, s[42:43]
	buffer_load_dword v0, off, s[0:3], s33 offset:72 ; 4-byte Folded Reload
	s_waitcnt vmcnt(0)
	v_and_b32_e32 v0, 16, v0
	s_or_b64 exec, exec, s[26:27]
	v_cmp_ne_u32_e32 vcc, 0, v0
	s_and_saveexec_b64 s[26:27], vcc
	s_cbranch_execz .LBB6_196
.LBB6_262:                              ;   in Loop: Header=BB6_197 Depth=2
	s_and_saveexec_b64 s[42:43], s[14:15]
	s_cbranch_execz .LBB6_195
; %bb.263:                              ;   in Loop: Header=BB6_197 Depth=2
	buffer_load_dword v0, off, s[0:3], s33 offset:220 ; 4-byte Folded Reload
	buffer_load_dword v1, off, s[0:3], s33 offset:224 ; 4-byte Folded Reload
	v_mov_b32_e32 v2, 1
	s_waitcnt vmcnt(0)
	flat_store_dword v[0:1], v2
	s_branch .LBB6_195
.LBB6_264:                              ;   in Loop: Header=BB6_47 Depth=1
	s_or_b64 exec, exec, s[40:41]
.LBB6_265:                              ;   in Loop: Header=BB6_47 Depth=1
	s_or_b64 exec, exec, s[28:29]
	v_cndmask_b32_e64 v0, 0, 1, s[90:91]
	v_cmp_ne_u32_e64 s[26:27], 1, v0
	s_andn2_b64 vcc, exec, s[90:91]
	s_cbranch_vccz .LBB6_266
; %bb.16577:                            ;   in Loop: Header=BB6_47 Depth=1
	s_getpc_b64 s[98:99]
.Lpost_getpc25:
	s_add_u32 s98, s98, (.LBB6_5592-.Lpost_getpc25)&4294967295
	s_addc_u32 s99, s99, (.LBB6_5592-.Lpost_getpc25)>>32
	s_setpc_b64 s[98:99]
.LBB6_266:                              ;   in Loop: Header=BB6_47 Depth=1
	s_mov_b32 s8, 2
	s_branch .LBB6_269
.LBB6_267:                              ;   in Loop: Header=BB6_269 Depth=2
	s_or_b64 exec, exec, s[42:43]
.LBB6_268:                              ;   in Loop: Header=BB6_269 Depth=2
	s_or_b64 exec, exec, s[40:41]
	s_add_i32 s8, s8, 1
	s_cmp_eq_u32 s8, s68
	s_cbranch_scc0 .LBB6_269
; %bb.16579:                            ;   in Loop: Header=BB6_47 Depth=1
	s_getpc_b64 s[98:99]
.Lpost_getpc26:
	s_add_u32 s98, s98, (.LBB6_5592-.Lpost_getpc26)&4294967295
	s_addc_u32 s99, s99, (.LBB6_5592-.Lpost_getpc26)>>32
	s_setpc_b64 s[98:99]
.LBB6_269:                              ;   Parent Loop BB6_47 Depth=1
                                        ; =>  This Loop Header: Depth=2
                                        ;       Child Loop BB6_272 Depth 3
                                        ;         Child Loop BB6_280 Depth 4
                                        ;         Child Loop BB6_308 Depth 4
	;; [unrolled: 1-line block ×9, first 2 shown]
                                        ;       Child Loop BB6_5520 Depth 3
                                        ;         Child Loop BB6_5526 Depth 4
                                        ;         Child Loop BB6_5554 Depth 4
	;; [unrolled: 1-line block ×3, first 2 shown]
	buffer_load_dword v2, off, s[0:3], s33 offset:356 ; 4-byte Folded Reload
	buffer_load_dword v3, off, s[0:3], s33 offset:360 ; 4-byte Folded Reload
	s_sub_i32 s9, s96, s8
	s_cmp_ge_i32 s9, s68
	s_cselect_b32 s28, s68, 0
	s_sub_i32 s9, s9, s28
	s_ashr_i32 s40, s9, 31
	v_mov_b32_e32 v39, 0
	s_waitcnt vmcnt(0)
	v_mad_u64_u32 v[54:55], s[28:29], v2, s9, 0
	v_mul_lo_u32 v0, v3, s9
	v_mul_lo_u32 v1, v2, s40
	v_add3_u32 v55, v55, v1, v0
	buffer_load_dword v0, off, s[0:3], s33 offset:348 ; 4-byte Folded Reload
	buffer_load_dword v1, off, s[0:3], s33 offset:352 ; 4-byte Folded Reload
	s_waitcnt vmcnt(0)
	v_sub_co_u32_e32 v0, vcc, v0, v54
	v_subb_co_u32_e32 v1, vcc, v1, v55, vcc
	v_cmp_lt_i64_e32 vcc, v[2:3], v[0:1]
	v_cndmask_b32_e32 v0, v0, v2, vcc
	v_max_i32_e32 v38, 0, v0
	v_add_u32_e32 v1, 31, v38
	v_lshrrev_b32_e32 v1, 1, v1
	v_and_b32_e32 v1, 0x3ffffff0, v1
	v_cmp_lt_i32_e32 vcc, 0, v0
	v_max_i32_e32 v49, s59, v1
	s_and_b64 s[28:29], s[94:95], vcc
	v_mov_b32_e32 v0, 0
	s_and_saveexec_b64 s[30:31], s[28:29]
	s_cbranch_execnz .LBB6_270
; %bb.16581:                            ;   in Loop: Header=BB6_269 Depth=2
	s_getpc_b64 s[98:99]
.Lpost_getpc27:
	s_add_u32 s98, s98, (.LBB6_5517-.Lpost_getpc27)&4294967295
	s_addc_u32 s99, s99, (.LBB6_5517-.Lpost_getpc27)>>32
	s_setpc_b64 s[98:99]
.LBB6_270:                              ;   in Loop: Header=BB6_269 Depth=2
	s_mov_b32 s9, 1
	s_mov_b64 s[36:37], -1
	v_mov_b32_e32 v39, 0
	s_mov_b64 s[34:35], 0
	buffer_store_dword v38, off, s[0:3], s33 offset:308 ; 4-byte Folded Spill
	buffer_store_dword v54, off, s[0:3], s33 offset:312 ; 4-byte Folded Spill
	s_nop 0
	buffer_store_dword v55, off, s[0:3], s33 offset:316 ; 4-byte Folded Spill
	s_branch .LBB6_272
.LBB6_271:                              ;   in Loop: Header=BB6_272 Depth=3
	s_or_b64 exec, exec, s[28:29]
	v_add_u32_e32 v39, v49, v39
	v_cmp_ge_i32_e32 vcc, v39, v38
	s_xor_b64 s[28:29], s[36:37], -1
	s_or_b64 s[28:29], s[28:29], vcc
	s_and_b64 s[28:29], exec, s[28:29]
	s_or_b64 s[34:35], s[28:29], s[34:35]
	s_mov_b64 s[36:37], 0
	v_mov_b32_e32 v0, s9
	s_mov_b32 s9, 2
	s_andn2_b64 exec, exec, s[34:35]
	s_cbranch_execnz .LBB6_272
; %bb.16583:                            ;   in Loop: Header=BB6_269 Depth=2
	s_getpc_b64 s[98:99]
.Lpost_getpc28:
	s_add_u32 s98, s98, (.LBB6_5516-.Lpost_getpc28)&4294967295
	s_addc_u32 s99, s99, (.LBB6_5516-.Lpost_getpc28)>>32
	s_setpc_b64 s[98:99]
.LBB6_272:                              ;   Parent Loop BB6_47 Depth=1
                                        ;     Parent Loop BB6_269 Depth=2
                                        ; =>    This Loop Header: Depth=3
                                        ;         Child Loop BB6_280 Depth 4
                                        ;         Child Loop BB6_308 Depth 4
                                        ;         Child Loop BB6_327 Depth 4
                                        ;         Child Loop BB6_354 Depth 4
                                        ;         Child Loop BB6_3175 Depth 4
                                        ;         Child Loop BB6_3885 Depth 4
                                        ;         Child Loop BB6_5426 Depth 4
                                        ;         Child Loop BB6_5482 Depth 4
                                        ;         Child Loop BB6_5501 Depth 4
	s_and_saveexec_b64 s[28:29], s[4:5]
	s_cbranch_execz .LBB6_274
; %bb.273:                              ;   in Loop: Header=BB6_272 Depth=3
	s_trap 2
	buffer_load_dword v2, off, s[0:3], s33 offset:276 ; 4-byte Folded Reload
	ds_read_b64 v[0:1], v0
	s_waitcnt vmcnt(0) lgkmcnt(0)
	v_add_co_u32_e32 v0, vcc, v0, v2
	buffer_load_dword v2, off, s[0:3], s33 offset:280 ; 4-byte Folded Reload
	s_waitcnt vmcnt(0)
	v_addc_co_u32_e32 v1, vcc, v1, v2, vcc
	v_add_co_u32_e32 v0, vcc, v0, v54
	v_addc_co_u32_e32 v1, vcc, v1, v55, vcc
	v_ashrrev_i32_e32 v2, 31, v39
	v_add_co_u32_e32 v0, vcc, v0, v39
	v_addc_co_u32_e32 v1, vcc, v1, v2, vcc
	ds_write_b64 v0, v[0:1]
	v_mov_b32_e32 v0, v53
	v_mov_b32_e32 v1, v53
	ds_write_b64 v0, v[0:1]
.LBB6_274:                              ;   in Loop: Header=BB6_272 Depth=3
	s_or_b64 exec, exec, s[28:29]
	v_sub_u32_e32 v0, v38, v39
	v_min_i32_e32 v49, v49, v0
	buffer_load_dword v0, off, s[0:3], s33 offset:72 ; 4-byte Folded Reload
	s_waitcnt vmcnt(0)
	v_and_b32_e32 v0, 12, v0
	v_cmp_ne_u32_e32 vcc, 0, v0
	s_and_saveexec_b64 s[40:41], vcc
	s_cbranch_execz .LBB6_300
; %bb.275:                              ;   in Loop: Header=BB6_272 Depth=3
	buffer_load_dword v0, off, s[0:3], s33 offset:72 ; 4-byte Folded Reload
	s_waitcnt vmcnt(0)
	v_and_b32_e32 v4, 8, v0
	buffer_load_dword v0, off, s[0:3], s33 offset:56 ; 4-byte Folded Reload
	buffer_load_dword v1, off, s[0:3], s33 offset:60 ; 4-byte Folded Reload
	;; [unrolled: 1-line block ×4, first 2 shown]
	s_waitcnt vmcnt(0)
	v_add_co_u32_e32 v0, vcc, v0, v4
	v_addc_co_u32_e32 v1, vcc, 0, v1, vcc
	v_add_co_u32_e32 v2, vcc, 2, v2
	v_addc_co_u32_e32 v3, vcc, 0, v3, vcc
	v_cmp_lt_u64_e32 vcc, v[0:1], v[2:3]
	s_and_saveexec_b64 s[42:43], vcc
	s_cbranch_execz .LBB6_287
; %bb.276:                              ;   in Loop: Header=BB6_272 Depth=3
	buffer_load_dword v0, off, s[0:3], s33 offset:72 ; 4-byte Folded Reload
	s_mov_b32 s87, 0
	s_mov_b64 s[44:45], 0
                                        ; implicit-def: $sgpr46_sgpr47
                                        ; implicit-def: $sgpr38_sgpr39
                                        ; implicit-def: $sgpr48_sgpr49
	s_waitcnt vmcnt(0)
	v_and_b32_e32 v0, 64, v0
	v_cmp_eq_u32_e32 vcc, 0, v0
	s_branch .LBB6_280
.LBB6_277:                              ;   in Loop: Header=BB6_280 Depth=4
	buffer_load_dword v5, off, s[0:3], s33 offset:56 ; 4-byte Folded Reload
	buffer_load_dword v6, off, s[0:3], s33 offset:60 ; 4-byte Folded Reload
	s_or_b64 s[54:55], s[54:55], exec
	s_waitcnt vmcnt(1)
	v_add_co_u32_e64 v5, s[28:29], v5, v4
	s_waitcnt vmcnt(0)
	v_addc_co_u32_e64 v6, s[28:29], 0, v6, s[28:29]
	v_cmp_ge_u64_e64 s[28:29], v[5:6], v[2:3]
	s_orn2_b64 s[52:53], s[28:29], exec
.LBB6_278:                              ;   in Loop: Header=BB6_280 Depth=4
	s_or_b64 exec, exec, s[66:67]
	s_andn2_b64 s[28:29], s[48:49], exec
	s_and_b64 s[48:49], s[54:55], exec
	s_or_b64 s[48:49], s[28:29], s[48:49]
	s_andn2_b64 s[28:29], s[38:39], exec
	s_and_b64 s[38:39], s[52:53], exec
	s_or_b64 s[38:39], s[28:29], s[38:39]
.LBB6_279:                              ;   in Loop: Header=BB6_280 Depth=4
	s_or_b64 exec, exec, s[50:51]
	s_and_b64 s[28:29], exec, s[38:39]
	s_or_b64 s[44:45], s[28:29], s[44:45]
	s_andn2_b64 s[28:29], s[46:47], exec
	s_and_b64 s[46:47], s[48:49], exec
	s_or_b64 s[46:47], s[28:29], s[46:47]
	s_andn2_b64 exec, exec, s[44:45]
	s_cbranch_execz .LBB6_284
.LBB6_280:                              ;   Parent Loop BB6_47 Depth=1
                                        ;     Parent Loop BB6_269 Depth=2
                                        ;       Parent Loop BB6_272 Depth=3
                                        ; =>      This Inner Loop Header: Depth=4
	s_sleep 1
	buffer_load_dword v0, off, s[0:3], s33 offset:64 ; 4-byte Folded Reload
	buffer_load_dword v1, off, s[0:3], s33 offset:68 ; 4-byte Folded Reload
	s_or_b64 s[48:49], s[48:49], exec
	s_or_b64 s[38:39], s[38:39], exec
	s_waitcnt vmcnt(0)
	flat_load_dwordx2 v[0:1], v[0:1] glc
	s_waitcnt vmcnt(0) lgkmcnt(0)
	buffer_store_dword v0, off, s[0:3], s33 offset:56 ; 4-byte Folded Spill
	s_nop 0
	buffer_store_dword v1, off, s[0:3], s33 offset:60 ; 4-byte Folded Spill
                                        ; implicit-def: $vgpr0
	s_and_saveexec_b64 s[50:51], vcc
	s_cbranch_execz .LBB6_279
; %bb.281:                              ;   in Loop: Header=BB6_280 Depth=4
	s_cmpk_lt_i32 s87, 0x270f
	s_cselect_b64 s[64:65], -1, 0
	s_cmpk_gt_i32 s87, 0x270e
	s_mov_b64 s[52:53], -1
	s_cbranch_scc0 .LBB6_283
; %bb.282:                              ;   in Loop: Header=BB6_280 Depth=4
	s_trap 2
	ds_read_b64 v[0:1], v0
	s_andn2_b64 s[64:65], s[64:65], exec
	s_mov_b32 s87, 0
	s_mov_b64 s[54:55], 0
	s_waitcnt vmcnt(0) lgkmcnt(0)
	flat_load_dword v0, v[0:1] glc
	s_waitcnt vmcnt(0) lgkmcnt(0)
	buffer_wbinvl1_vol
	v_cmp_eq_u32_e64 s[28:29], 0, v0
	s_and_b64 s[28:29], s[28:29], exec
	s_or_b64 s[64:65], s[64:65], s[28:29]
	s_and_saveexec_b64 s[66:67], s[64:65]
	s_cbranch_execz .LBB6_278
	s_branch .LBB6_277
.LBB6_283:                              ;   in Loop: Header=BB6_280 Depth=4
	s_add_i32 s87, s87, 1
	s_mov_b64 s[54:55], -1
                                        ; implicit-def: $vgpr0
	s_and_saveexec_b64 s[66:67], s[64:65]
	s_cbranch_execz .LBB6_278
	s_branch .LBB6_277
.LBB6_284:                              ;   in Loop: Header=BB6_272 Depth=3
	s_or_b64 exec, exec, s[44:45]
	s_xor_b64 s[28:29], s[46:47], -1
	s_and_saveexec_b64 s[44:45], s[28:29]
	s_xor_b64 s[28:29], exec, s[44:45]
	s_cbranch_execz .LBB6_286
; %bb.285:                              ;   in Loop: Header=BB6_272 Depth=3
	ds_write_b32 v0, v0
	s_trap 2
	buffer_load_dword v0, off, s[0:3], s33 offset:72 ; 4-byte Folded Reload
	s_waitcnt vmcnt(0)
	v_or_b32_e32 v0, 64, v0
	buffer_store_dword v0, off, s[0:3], s33 offset:72 ; 4-byte Folded Spill
.LBB6_286:                              ;   in Loop: Header=BB6_272 Depth=3
	s_or_b64 exec, exec, s[28:29]
.LBB6_287:                              ;   in Loop: Header=BB6_272 Depth=3
	s_or_b64 exec, exec, s[42:43]
	;;#ASMSTART
	s_wakeup
	;;#ASMEND
	buffer_load_dword v0, off, s[0:3], s33 offset:72 ; 4-byte Folded Reload
                                        ; implicit-def: $vgpr8_vgpr9
	s_waitcnt vmcnt(0)
	v_and_b32_e32 v0, 0x108, v0
	v_cmp_ne_u32_e32 vcc, s81, v0
	s_and_saveexec_b64 s[28:29], vcc
	s_xor_b64 s[28:29], exec, s[28:29]
	s_cbranch_execz .LBB6_289
; %bb.288:                              ;   in Loop: Header=BB6_272 Depth=3
	buffer_load_dword v0, off, s[0:3], s33 offset:84 ; 4-byte Folded Reload
	buffer_load_dword v1, off, s[0:3], s33 offset:88 ; 4-byte Folded Reload
	v_mov_b32_e32 v9, v53
	s_waitcnt vmcnt(0)
	v_and_b32_e32 v8, 7, v0
                                        ; implicit-def: $vgpr0_vgpr1
                                        ; kill: killed $vgpr0_vgpr1
.LBB6_289:                              ;   in Loop: Header=BB6_272 Depth=3
	s_andn2_saveexec_b64 s[28:29], s[28:29]
	s_cbranch_execz .LBB6_291
; %bb.290:                              ;   in Loop: Header=BB6_272 Depth=3
	buffer_load_dword v0, off, s[0:3], s33 offset:84 ; 4-byte Folded Reload
	buffer_load_dword v1, off, s[0:3], s33 offset:88 ; 4-byte Folded Reload
	;; [unrolled: 1-line block ×6, first 2 shown]
	v_ashrrev_i32_e32 v50, 31, v49
	s_waitcnt vmcnt(0)
	v_and_b32_e32 v8, 7, v0
	v_mad_u64_u32 v[0:1], s[42:43], v8, 24, v[9:10]
	v_mov_b32_e32 v9, v53
	flat_store_dwordx2 v[0:1], v[49:50] offset:8
.LBB6_291:                              ;   in Loop: Header=BB6_272 Depth=3
	s_or_b64 exec, exec, s[28:29]
	buffer_load_dword v0, off, s[0:3], s33 offset:72 ; 4-byte Folded Reload
	s_mov_b64 s[28:29], -1
	s_waitcnt vmcnt(0)
	v_and_b32_e32 v0, 0x100, v0
	v_cmp_ne_u32_e32 vcc, 0, v0
                                        ; implicit-def: $vgpr0_vgpr1
	s_and_saveexec_b64 s[42:43], vcc
	s_cbranch_execz .LBB6_295
; %bb.292:                              ;   in Loop: Header=BB6_272 Depth=3
	buffer_load_dword v10, off, s[0:3], s33 offset:204 ; 4-byte Folded Reload
	buffer_load_dword v11, off, s[0:3], s33 offset:208 ; 4-byte Folded Reload
	;; [unrolled: 1-line block ×4, first 2 shown]
	s_waitcnt vmcnt(0)
	v_mad_u64_u32 v[5:6], s[28:29], v8, 24, v[10:11]
	v_mov_b32_e32 v0, v6
	v_mad_u64_u32 v[0:1], s[28:29], v9, 24, v[0:1]
	v_mov_b32_e32 v6, v0
	flat_load_dword v0, v[5:6]
	s_waitcnt vmcnt(0) lgkmcnt(0)
	v_cmp_ne_u32_e32 vcc, 1, v0
	v_cmp_eq_u32_e64 s[28:29], 1, v0
                                        ; implicit-def: $vgpr0_vgpr1
	s_and_saveexec_b64 s[44:45], s[28:29]
	s_cbranch_execz .LBB6_294
; %bb.293:                              ;   in Loop: Header=BB6_272 Depth=3
	flat_load_dword v0, v[5:6] offset:4 glc
	s_waitcnt vmcnt(0) lgkmcnt(0)
	v_ashrrev_i32_e32 v1, 31, v0
.LBB6_294:                              ;   in Loop: Header=BB6_272 Depth=3
	s_or_b64 exec, exec, s[44:45]
	s_orn2_b64 s[28:29], vcc, exec
.LBB6_295:                              ;   in Loop: Header=BB6_272 Depth=3
	s_or_b64 exec, exec, s[42:43]
	s_and_saveexec_b64 s[42:43], s[28:29]
	s_cbranch_execz .LBB6_297
; %bb.296:                              ;   in Loop: Header=BB6_272 Depth=3
	buffer_load_dword v0, off, s[0:3], s33 offset:232 ; 4-byte Folded Reload
	buffer_load_dword v1, off, s[0:3], s33 offset:252 ; 4-byte Folded Reload
	s_waitcnt vmcnt(0)
	v_mul_lo_u32 v5, v9, v0
	v_mul_lo_u32 v6, v8, v1
	v_mad_u64_u32 v[0:1], s[28:29], v8, v0, 0
	v_add3_u32 v1, v1, v6, v5
.LBB6_297:                              ;   in Loop: Header=BB6_272 Depth=3
	s_or_b64 exec, exec, s[42:43]
	v_cmp_eq_u32_e32 vcc, 0, v4
	v_mov_b32_e32 v4, 0xc8
	v_mov_b32_e32 v5, 0x90
	v_cndmask_b32_e32 v4, v4, v5, vcc
	buffer_load_dword v5, off, s[0:3], s33 offset:196 ; 4-byte Folded Reload
	buffer_load_dword v6, off, s[0:3], s33 offset:200 ; 4-byte Folded Reload
	s_waitcnt vmcnt(0)
	v_add_co_u32_e32 v0, vcc, v5, v0
	v_addc_co_u32_e32 v1, vcc, v6, v1, vcc
	v_add_u32_e32 v4, v0, v4
	ds_write_b64 v4, v[0:1] offset:584
	buffer_load_dword v0, off, s[0:3], s33 offset:72 ; 4-byte Folded Reload
	s_waitcnt vmcnt(0)
	v_and_b32_e32 v0, 0x2000, v0
	v_cmp_ne_u32_e32 vcc, 0, v0
	s_and_saveexec_b64 s[28:29], vcc
	s_cbranch_execz .LBB6_299
; %bb.298:                              ;   in Loop: Header=BB6_272 Depth=3
	ds_read_b64 v[0:1], v0 offset:872
	s_waitcnt lgkmcnt(0)
	v_add_co_u32_e32 v0, vcc, 1, v0
	v_addc_co_u32_e32 v1, vcc, 0, v1, vcc
	ds_write_b64 v0, v[0:1] offset:872
.LBB6_299:                              ;   in Loop: Header=BB6_272 Depth=3
	s_or_b64 exec, exec, s[28:29]
	buffer_store_dword v2, off, s[0:3], s33 offset:84 ; 4-byte Folded Spill
	s_nop 0
	buffer_store_dword v3, off, s[0:3], s33 offset:88 ; 4-byte Folded Spill
.LBB6_300:                              ;   in Loop: Header=BB6_272 Depth=3
	s_or_b64 exec, exec, s[40:41]
	s_and_saveexec_b64 s[28:29], s[10:11]
	s_cbranch_execz .LBB6_319
; %bb.301:                              ;   in Loop: Header=BB6_272 Depth=3
	s_and_saveexec_b64 s[40:41], s[72:73]
	s_xor_b64 s[40:41], exec, s[40:41]
	s_cbranch_execz .LBB6_316
; %bb.302:                              ;   in Loop: Header=BB6_272 Depth=3
	s_and_saveexec_b64 s[42:43], s[16:17]
	s_cbranch_execz .LBB6_315
; %bb.303:                              ;   in Loop: Header=BB6_272 Depth=3
	s_mov_b64 s[46:47], exec
	v_mbcnt_lo_u32_b32 v0, s46, 0
	v_mbcnt_hi_u32_b32 v0, s47, v0
	v_cmp_eq_u32_e32 vcc, 0, v0
	s_waitcnt vmcnt(0) lgkmcnt(0)
	buffer_wbinvl1_vol
	s_and_saveexec_b64 s[44:45], vcc
	s_cbranch_execz .LBB6_305
; %bb.304:                              ;   in Loop: Header=BB6_272 Depth=3
	s_bcnt1_i32_b64 s46, s[46:47]
	v_mov_b32_e32 v0, s46
	v_mov_b32_e32 v1, v53
	ds_add_u64 v0, v[0:1]
	s_trap 2
.LBB6_305:                              ;   in Loop: Header=BB6_272 Depth=3
	s_or_b64 exec, exec, s[44:45]
	s_trap 2
	ds_read_b64 v[0:1], v0
	s_waitcnt lgkmcnt(0)
	buffer_load_dword v2, off, s[0:3], s33 offset:76 ; 4-byte Folded Reload
	buffer_load_dword v3, off, s[0:3], s33 offset:80 ; 4-byte Folded Reload
	s_waitcnt vmcnt(1)
	v_add_co_u32_e32 v2, vcc, v2, v48
	s_waitcnt vmcnt(0)
	v_addc_co_u32_e32 v3, vcc, 0, v3, vcc
	buffer_store_dword v2, off, s[0:3], s33 offset:76 ; 4-byte Folded Spill
	s_nop 0
	buffer_store_dword v3, off, s[0:3], s33 offset:80 ; 4-byte Folded Spill
	v_cmp_lt_u64_e32 vcc, v[0:1], v[2:3]
	s_and_saveexec_b64 s[44:45], vcc
	s_cbranch_execz .LBB6_314
; %bb.306:                              ;   in Loop: Header=BB6_272 Depth=3
	s_mov_b32 s54, 0
	s_mov_b64 s[46:47], 0
                                        ; implicit-def: $sgpr38_sgpr39
                                        ; implicit-def: $sgpr48_sgpr49
	s_branch .LBB6_308
.LBB6_307:                              ;   in Loop: Header=BB6_308 Depth=4
	s_or_b64 exec, exec, s[52:53]
	s_and_b64 vcc, exec, vcc
	s_or_b64 s[46:47], vcc, s[46:47]
	s_andn2_b64 vcc, s[38:39], exec
	s_and_b64 s[38:39], s[48:49], exec
	s_or_b64 s[38:39], vcc, s[38:39]
	s_andn2_b64 exec, exec, s[46:47]
	s_cbranch_execz .LBB6_312
.LBB6_308:                              ;   Parent Loop BB6_47 Depth=1
                                        ;     Parent Loop BB6_269 Depth=2
                                        ;       Parent Loop BB6_272 Depth=3
                                        ; =>      This Inner Loop Header: Depth=4
	s_add_i32 s54, s54, 1
	s_cmpk_lg_i32 s54, 0x2710
	s_cselect_b64 s[50:51], -1, 0
	s_and_b64 vcc, exec, s[50:51]
	s_cbranch_vccz .LBB6_310
; %bb.309:                              ;   in Loop: Header=BB6_308 Depth=4
	s_mov_b64 vcc, -1
	s_or_b64 s[48:49], s[48:49], exec
	s_and_saveexec_b64 s[52:53], s[50:51]
	s_cbranch_execz .LBB6_307
	s_branch .LBB6_311
.LBB6_310:                              ;   in Loop: Header=BB6_308 Depth=4
	s_trap 2
	ds_read_b64 v[0:1], v0
	s_andn2_b64 s[50:51], s[50:51], exec
	s_mov_b32 s54, 0
	s_waitcnt vmcnt(0) lgkmcnt(0)
	flat_load_dword v0, v[0:1] glc
	s_waitcnt vmcnt(0) lgkmcnt(0)
	buffer_wbinvl1_vol
	v_cmp_eq_u32_e32 vcc, 0, v0
	s_and_b64 vcc, vcc, exec
	s_or_b64 s[50:51], s[50:51], vcc
	s_mov_b64 vcc, -1
	s_or_b64 s[48:49], s[48:49], exec
	s_and_saveexec_b64 s[52:53], s[50:51]
	s_cbranch_execz .LBB6_307
.LBB6_311:                              ;   in Loop: Header=BB6_308 Depth=4
	s_sleep 1
	s_trap 2
	ds_read_b64 v[0:1], v0
	s_waitcnt lgkmcnt(0)
	buffer_load_dword v2, off, s[0:3], s33 offset:76 ; 4-byte Folded Reload
	buffer_load_dword v3, off, s[0:3], s33 offset:80 ; 4-byte Folded Reload
	s_andn2_b64 s[48:49], s[48:49], exec
	s_waitcnt vmcnt(0)
	v_cmp_ge_u64_e32 vcc, v[0:1], v[2:3]
	s_orn2_b64 vcc, vcc, exec
	s_branch .LBB6_307
.LBB6_312:                              ;   in Loop: Header=BB6_272 Depth=3
	s_or_b64 exec, exec, s[46:47]
	s_and_saveexec_b64 s[46:47], s[38:39]
	s_xor_b64 s[46:47], exec, s[46:47]
	s_cbranch_execz .LBB6_314
; %bb.313:                              ;   in Loop: Header=BB6_272 Depth=3
	v_mov_b32_e32 v0, 1
	ds_write_b32 v0, v0
	s_trap 2
.LBB6_314:                              ;   in Loop: Header=BB6_272 Depth=3
	s_or_b64 exec, exec, s[44:45]
	;;#ASMSTART
	s_wakeup
	;;#ASMEND
.LBB6_315:                              ;   in Loop: Header=BB6_272 Depth=3
	s_or_b64 exec, exec, s[42:43]
.LBB6_316:                              ;   in Loop: Header=BB6_272 Depth=3
	s_andn2_saveexec_b64 s[40:41], s[40:41]
	s_cbranch_execz .LBB6_318
; %bb.317:                              ;   in Loop: Header=BB6_272 Depth=3
	s_waitcnt vmcnt(0) lgkmcnt(0)
	buffer_wbinvl1_vol
	s_barrier
.LBB6_318:                              ;   in Loop: Header=BB6_272 Depth=3
	s_or_b64 exec, exec, s[40:41]
.LBB6_319:                              ;   in Loop: Header=BB6_272 Depth=3
	s_or_b64 exec, exec, s[28:29]
	s_trap 2
	buffer_load_dword v1, off, s[0:3], s33 offset:72 ; 4-byte Folded Reload
	ds_read_b32 v0, v0
	s_xor_b64 s[28:29], s[6:7], -1
	s_waitcnt vmcnt(0)
	v_and_b32_e32 v1, 0x4000, v1
	v_cmp_ne_u32_e32 vcc, 0, v1
	s_and_b64 s[40:41], s[28:29], vcc
	s_and_saveexec_b64 s[28:29], s[40:41]
	s_cbranch_execz .LBB6_338
; %bb.320:                              ;   in Loop: Header=BB6_272 Depth=3
	s_and_saveexec_b64 s[40:41], s[72:73]
	s_xor_b64 s[40:41], exec, s[40:41]
	s_cbranch_execz .LBB6_335
; %bb.321:                              ;   in Loop: Header=BB6_272 Depth=3
	s_and_saveexec_b64 s[42:43], s[16:17]
	s_cbranch_execz .LBB6_334
; %bb.322:                              ;   in Loop: Header=BB6_272 Depth=3
	s_mov_b64 s[46:47], exec
	v_mbcnt_lo_u32_b32 v1, s46, 0
	v_mbcnt_hi_u32_b32 v1, s47, v1
	v_cmp_eq_u32_e32 vcc, 0, v1
	s_waitcnt lgkmcnt(0)
	buffer_wbinvl1_vol
	s_and_saveexec_b64 s[44:45], vcc
	s_cbranch_execz .LBB6_324
; %bb.323:                              ;   in Loop: Header=BB6_272 Depth=3
	s_bcnt1_i32_b64 s46, s[46:47]
	v_mov_b32_e32 v1, s46
	v_mov_b32_e32 v2, v53
	ds_add_u64 v0, v[1:2]
	s_trap 2
.LBB6_324:                              ;   in Loop: Header=BB6_272 Depth=3
	s_or_b64 exec, exec, s[44:45]
	s_trap 2
	ds_read_b64 v[1:2], v0
	s_waitcnt lgkmcnt(0)
	buffer_load_dword v3, off, s[0:3], s33 offset:76 ; 4-byte Folded Reload
	buffer_load_dword v4, off, s[0:3], s33 offset:80 ; 4-byte Folded Reload
	s_waitcnt vmcnt(1)
	v_add_co_u32_e32 v3, vcc, v3, v48
	s_waitcnt vmcnt(0)
	v_addc_co_u32_e32 v4, vcc, 0, v4, vcc
	buffer_store_dword v3, off, s[0:3], s33 offset:76 ; 4-byte Folded Spill
	s_nop 0
	buffer_store_dword v4, off, s[0:3], s33 offset:80 ; 4-byte Folded Spill
	v_cmp_lt_u64_e32 vcc, v[1:2], v[3:4]
	s_and_saveexec_b64 s[44:45], vcc
	s_cbranch_execz .LBB6_333
; %bb.325:                              ;   in Loop: Header=BB6_272 Depth=3
	s_mov_b32 s54, 0
	s_mov_b64 s[46:47], 0
                                        ; implicit-def: $sgpr38_sgpr39
                                        ; implicit-def: $sgpr48_sgpr49
	s_branch .LBB6_327
.LBB6_326:                              ;   in Loop: Header=BB6_327 Depth=4
	s_or_b64 exec, exec, s[52:53]
	s_and_b64 vcc, exec, vcc
	s_or_b64 s[46:47], vcc, s[46:47]
	s_andn2_b64 vcc, s[38:39], exec
	s_and_b64 s[38:39], s[48:49], exec
	s_or_b64 s[38:39], vcc, s[38:39]
	s_andn2_b64 exec, exec, s[46:47]
	s_cbranch_execz .LBB6_331
.LBB6_327:                              ;   Parent Loop BB6_47 Depth=1
                                        ;     Parent Loop BB6_269 Depth=2
                                        ;       Parent Loop BB6_272 Depth=3
                                        ; =>      This Inner Loop Header: Depth=4
	s_add_i32 s54, s54, 1
	s_cmpk_lg_i32 s54, 0x2710
	s_cselect_b64 s[50:51], -1, 0
	s_and_b64 vcc, exec, s[50:51]
	s_cbranch_vccz .LBB6_329
; %bb.328:                              ;   in Loop: Header=BB6_327 Depth=4
	s_mov_b64 vcc, -1
	s_or_b64 s[48:49], s[48:49], exec
	s_and_saveexec_b64 s[52:53], s[50:51]
	s_cbranch_execz .LBB6_326
	s_branch .LBB6_330
.LBB6_329:                              ;   in Loop: Header=BB6_327 Depth=4
	s_trap 2
	ds_read_b64 v[1:2], v0
	s_andn2_b64 s[50:51], s[50:51], exec
	s_mov_b32 s54, 0
	s_waitcnt vmcnt(0) lgkmcnt(0)
	flat_load_dword v1, v[1:2] glc
	s_waitcnt vmcnt(0) lgkmcnt(0)
	buffer_wbinvl1_vol
	v_cmp_eq_u32_e32 vcc, 0, v1
	s_and_b64 vcc, vcc, exec
	s_or_b64 s[50:51], s[50:51], vcc
	s_mov_b64 vcc, -1
	s_or_b64 s[48:49], s[48:49], exec
	s_and_saveexec_b64 s[52:53], s[50:51]
	s_cbranch_execz .LBB6_326
.LBB6_330:                              ;   in Loop: Header=BB6_327 Depth=4
	s_sleep 1
	s_trap 2
	ds_read_b64 v[1:2], v0
	s_waitcnt lgkmcnt(0)
	buffer_load_dword v3, off, s[0:3], s33 offset:76 ; 4-byte Folded Reload
	buffer_load_dword v4, off, s[0:3], s33 offset:80 ; 4-byte Folded Reload
	s_andn2_b64 s[48:49], s[48:49], exec
	s_waitcnt vmcnt(0)
	v_cmp_ge_u64_e32 vcc, v[1:2], v[3:4]
	s_orn2_b64 vcc, vcc, exec
	s_branch .LBB6_326
.LBB6_331:                              ;   in Loop: Header=BB6_272 Depth=3
	s_or_b64 exec, exec, s[46:47]
	s_and_saveexec_b64 s[46:47], s[38:39]
	s_xor_b64 s[46:47], exec, s[46:47]
	s_cbranch_execz .LBB6_333
; %bb.332:                              ;   in Loop: Header=BB6_272 Depth=3
	v_mov_b32_e32 v1, 1
	ds_write_b32 v0, v1
	s_trap 2
.LBB6_333:                              ;   in Loop: Header=BB6_272 Depth=3
	s_or_b64 exec, exec, s[44:45]
	;;#ASMSTART
	s_wakeup
	;;#ASMEND
.LBB6_334:                              ;   in Loop: Header=BB6_272 Depth=3
	s_or_b64 exec, exec, s[42:43]
.LBB6_335:                              ;   in Loop: Header=BB6_272 Depth=3
	s_andn2_saveexec_b64 s[40:41], s[40:41]
	s_cbranch_execz .LBB6_337
; %bb.336:                              ;   in Loop: Header=BB6_272 Depth=3
	s_waitcnt vmcnt(0) lgkmcnt(0)
	buffer_wbinvl1_vol
	s_barrier
.LBB6_337:                              ;   in Loop: Header=BB6_272 Depth=3
	s_or_b64 exec, exec, s[40:41]
.LBB6_338:                              ;   in Loop: Header=BB6_272 Depth=3
	s_or_b64 exec, exec, s[28:29]
	s_trap 2
	s_waitcnt lgkmcnt(0)
	ds_read_b64 v[42:43], v0
	s_waitcnt lgkmcnt(0)
	v_cmp_eq_u64_e32 vcc, 0, v[42:43]
	s_cbranch_vccnz .LBB6_346
; %bb.339:                              ;   in Loop: Header=BB6_272 Depth=3
	s_trap 2
	ds_read_b64 v[40:41], v0
	s_waitcnt lgkmcnt(0)
	v_cmp_eq_u64_e32 vcc, 0, v[40:41]
	s_cbranch_vccnz .LBB6_346
; %bb.340:                              ;   in Loop: Header=BB6_272 Depth=3
	s_trap 2
	ds_read_b64 v[1:2], v0
	s_mov_b64 s[40:41], -1
	s_waitcnt lgkmcnt(0)
	v_readfirstlane_b32 s87, v1
	s_and_saveexec_b64 s[28:29], s[22:23]
	s_cbranch_execz .LBB6_342
; %bb.341:                              ;   in Loop: Header=BB6_272 Depth=3
	ds_read_b32 v1, v0 offset:720
	s_waitcnt lgkmcnt(0)
	v_and_b32_e32 v1, 15, v1
	v_cmp_eq_u32_e32 vcc, 0, v1
	s_orn2_b64 s[40:41], vcc, exec
.LBB6_342:                              ;   in Loop: Header=BB6_272 Depth=3
	s_or_b64 exec, exec, s[28:29]
	s_and_saveexec_b64 s[28:29], s[20:21]
	s_cbranch_execz .LBB6_344
; %bb.343:                              ;   in Loop: Header=BB6_272 Depth=3
	ds_read_b32 v1, v0 offset:784
	s_waitcnt lgkmcnt(0)
	v_and_b32_e32 v1, 15, v1
	v_cmp_eq_u32_e32 vcc, 0, v1
	s_and_b64 s[42:43], s[40:41], vcc
	s_andn2_b64 s[40:41], s[40:41], exec
	s_and_b64 s[42:43], s[42:43], exec
	s_or_b64 s[40:41], s[40:41], s[42:43]
.LBB6_344:                              ;   in Loop: Header=BB6_272 Depth=3
	s_or_b64 exec, exec, s[28:29]
	buffer_load_dword v2, off, s[0:3], s33 offset:256 ; 4-byte Folded Reload
	v_cmp_eq_u32_e32 vcc, 0, v0
	s_xor_b64 s[40:41], s[40:41], -1
	v_cndmask_b32_e32 v50, 0, v49, vcc
	v_cndmask_b32_e64 v0, 0, 1, s[40:41]
	s_mov_b64 s[28:29], -1
	v_cmp_ne_u32_e32 vcc, 0, v0
	v_mov_b32_e32 v3, 0
	v_mov_b32_e32 v5, v50
	s_cbranch_vccz .LBB6_351
; %bb.345:                              ;   in Loop: Header=BB6_272 Depth=3
	s_and_saveexec_b64 s[44:45], s[28:29]
	s_cbranch_execnz .LBB6_3882
; %bb.16555:                            ;   in Loop: Header=BB6_272 Depth=3
	s_getpc_b64 s[98:99]
.Lpost_getpc14:
	s_add_u32 s98, s98, (.LBB6_5474-.Lpost_getpc14)&4294967295
	s_addc_u32 s99, s99, (.LBB6_5474-.Lpost_getpc14)>>32
	s_setpc_b64 s[98:99]
.LBB6_346:                              ;   in Loop: Header=BB6_272 Depth=3
	s_mov_b64 s[28:29], 0
	s_and_saveexec_b64 s[40:41], s[10:11]
	s_cbranch_execz .LBB6_347
; %bb.16585:                            ;   in Loop: Header=BB6_272 Depth=3
	s_getpc_b64 s[98:99]
.Lpost_getpc29:
	s_add_u32 s98, s98, (.LBB6_5475-.Lpost_getpc29)&4294967295
	s_addc_u32 s99, s99, (.LBB6_5475-.Lpost_getpc29)>>32
	s_setpc_b64 s[98:99]
.LBB6_347:                              ;   in Loop: Header=BB6_272 Depth=3
	s_or_b64 exec, exec, s[40:41]
                                        ; implicit-def: $vgpr0
	s_and_saveexec_b64 s[40:41], s[24:25]
	s_xor_b64 s[40:41], exec, s[40:41]
	s_cbranch_execnz .LBB6_348
; %bb.16587:                            ;   in Loop: Header=BB6_272 Depth=3
	s_getpc_b64 s[98:99]
.Lpost_getpc30:
	s_add_u32 s98, s98, (.LBB6_5493-.Lpost_getpc30)&4294967295
	s_addc_u32 s99, s99, (.LBB6_5493-.Lpost_getpc30)>>32
	s_setpc_b64 s[98:99]
.LBB6_348:                              ;   in Loop: Header=BB6_272 Depth=3
	buffer_load_dword v1, off, s[0:3], s33 offset:72 ; 4-byte Folded Reload
	s_waitcnt vmcnt(0)
	v_and_b32_e32 v0, 16, v1
	v_and_b32_e32 v1, 16, v1
	v_cmp_ne_u32_e32 vcc, 0, v1
	s_and_b64 s[42:43], vcc, s[28:29]
	s_and_saveexec_b64 s[28:29], s[42:43]
	s_cbranch_execz .LBB6_350
; %bb.349:                              ;   in Loop: Header=BB6_272 Depth=3
	v_mov_b32_e32 v0, 1
	s_waitcnt lgkmcnt(0)
	buffer_wbinvl1_vol
.LBB6_350:                              ;   in Loop: Header=BB6_272 Depth=3
	s_or_b64 exec, exec, s[28:29]
	s_andn2_saveexec_b64 s[28:29], s[40:41]
	s_cbranch_execnz .LBB6_16557
; %bb.16589:                            ;   in Loop: Header=BB6_272 Depth=3
	s_getpc_b64 s[98:99]
.Lpost_getpc31:
	s_add_u32 s98, s98, (.LBB6_5512-.Lpost_getpc31)&4294967295
	s_addc_u32 s99, s99, (.LBB6_5512-.Lpost_getpc31)>>32
	s_setpc_b64 s[98:99]
.LBB6_16557:                            ;   in Loop: Header=BB6_272 Depth=3
	s_getpc_b64 s[98:99]
.Lpost_getpc15:
	s_add_u32 s98, s98, (.LBB6_5494-.Lpost_getpc15)&4294967295
	s_addc_u32 s99, s99, (.LBB6_5494-.Lpost_getpc15)>>32
	s_setpc_b64 s[98:99]
.LBB6_351:                              ;   in Loop: Header=BB6_272 Depth=3
	v_ashrrev_i32_e32 v0, 31, v50
	v_lshrrev_b32_e32 v0, 20, v0
	v_add_u32_e32 v0, v50, v0
	v_ashrrev_i32_e32 v1, 12, v0
	buffer_load_dword v0, off, s[0:3], s33 offset:300 ; 4-byte Folded Reload
	s_waitcnt vmcnt(0)
	v_sub_u32_e32 v61, v1, v0
	v_cmp_lt_i32_e32 vcc, 0, v61
	s_and_saveexec_b64 s[42:43], vcc
	s_cbranch_execz .LBB6_3171
; %bb.352:                              ;   in Loop: Header=BB6_272 Depth=3
	buffer_store_dword v1, off, s[0:3], s33 offset:340 ; 4-byte Folded Spill
	buffer_store_dword v50, off, s[0:3], s33 offset:296 ; 4-byte Folded Spill
	;; [unrolled: 1-line block ×4, first 2 shown]
	s_nop 0
	buffer_store_dword v50, off, s[0:3], s33 offset:288 ; 4-byte Folded Spill
	s_trap 2
	buffer_load_dword v2, off, s[0:3], s33 offset:304 ; 4-byte Folded Reload
	ds_read_b64 v[0:1], v0
	s_bitcmp1_b32 s87, 0
	s_mov_b64 s[44:45], 0
	s_cselect_b64 s[46:47], -1, 0
	s_waitcnt vmcnt(0)
	v_add_co_u32_e32 v30, vcc, v42, v2
	buffer_store_dword v42, off, s[0:3], s33 offset:332 ; 4-byte Folded Spill
	s_nop 0
	buffer_store_dword v43, off, s[0:3], s33 offset:336 ; 4-byte Folded Spill
	v_addc_co_u32_e32 v31, vcc, 0, v43, vcc
	s_waitcnt lgkmcnt(0)
	v_add_co_u32_e32 v6, vcc, v0, v2
	v_addc_co_u32_e32 v7, vcc, 0, v1, vcc
	v_add_co_u32_e32 v44, vcc, v40, v2
	buffer_store_dword v40, off, s[0:3], s33 offset:320 ; 4-byte Folded Spill
	s_nop 0
	buffer_store_dword v41, off, s[0:3], s33 offset:324 ; 4-byte Folded Spill
	v_addc_co_u32_e32 v45, vcc, 0, v41, vcc
	s_branch .LBB6_354
.LBB6_353:                              ;   in Loop: Header=BB6_354 Depth=4
	s_or_b64 exec, exec, s[28:29]
	v_lshl_or_b32 v1, v37, 8, v25
	v_lshl_or_b32 v2, v35, 8, v34
	v_lshlrev_b32_e32 v9, 16, v20
	v_lshlrev_b32_e32 v10, 24, v32
	;; [unrolled: 1-line block ×4, first 2 shown]
	v_or3_b32 v35, v1, v9, v10
	v_or3_b32 v34, v2, v11, v14
	v_lshl_or_b32 v1, v40, 8, v21
	v_lshlrev_b32_e32 v2, 16, v41
	v_lshlrev_b32_e32 v9, 24, v36
	v_or3_b32 v36, v1, v2, v9
	v_lshl_or_b32 v1, v38, 8, v54
	v_lshlrev_b32_e32 v2, 24, v18
	v_lshlrev_b32_e32 v9, 16, v58
	v_or3_b32 v37, v1, v9, v2
	buffer_load_dword v1, off, s[0:3], s33 offset:168 ; 4-byte Folded Reload
	buffer_load_dword v2, off, s[0:3], s33 offset:172 ; 4-byte Folded Reload
	v_lshlrev_b32_e32 v9, 24, v48
	buffer_load_dword v10, off, s[0:3], s33 offset:156 ; 4-byte Folded Reload
	buffer_load_dword v11, off, s[0:3], s33 offset:160 ; 4-byte Folded Reload
	v_lshlrev_b32_e32 v0, 24, v0
	s_waitcnt vmcnt(3)
	v_lshl_or_b32 v1, v1, 8, v47
	s_waitcnt vmcnt(2)
	v_lshlrev_b32_e32 v2, 16, v2
	v_or3_b32 v47, v1, v2, v9
	buffer_load_dword v1, off, s[0:3], s33 offset:164 ; 4-byte Folded Reload
	s_waitcnt vmcnt(1)
	v_lshl_or_b32 v10, v11, 8, v10
	v_lshlrev_b32_e32 v2, 24, v46
	s_waitcnt vmcnt(0)
	v_lshlrev_b32_e32 v1, 16, v1
	v_or3_b32 v46, v10, v1, v2
	v_lshl_or_b32 v1, v4, 8, v33
	v_lshlrev_b32_e32 v2, 16, v49
	v_lshlrev_b32_e32 v4, 24, v42
	v_or3_b32 v48, v1, v2, v4
	buffer_load_dword v2, off, s[0:3], s33 offset:176 ; 4-byte Folded Reload
	v_lshlrev_b32_e32 v1, 24, v27
	v_lshl_or_b32 v4, v26, 8, v59
	s_waitcnt vmcnt(0)
	v_lshlrev_b32_e32 v2, 16, v2
	v_or3_b32 v49, v4, v2, v1
	buffer_load_dword v1, off, s[0:3], s33 offset:136 ; 4-byte Folded Reload
	buffer_load_dword v4, off, s[0:3], s33 offset:120 ; 4-byte Folded Reload
	v_lshlrev_b32_e32 v2, 16, v52
	s_waitcnt vmcnt(1)
	v_lshl_or_b32 v1, v51, 8, v1
	s_waitcnt vmcnt(0)
	v_lshlrev_b32_e32 v4, 24, v4
	v_or3_b32 v25, v1, v2, v4
	buffer_load_dword v4, off, s[0:3], s33 offset:180 ; 4-byte Folded Reload
	v_lshl_or_b32 v1, v28, 8, v15
	v_lshlrev_b32_e32 v2, 16, v29
	s_waitcnt vmcnt(0)
	v_lshlrev_b32_e32 v4, 24, v4
	v_or3_b32 v24, v1, v2, v4
	buffer_load_dword v1, off, s[0:3], s33 offset:124 ; 4-byte Folded Reload
	buffer_load_dword v2, off, s[0:3], s33 offset:128 ; 4-byte Folded Reload
	v_lshlrev_b32_e32 v4, 24, v55
	s_waitcnt vmcnt(0)
	v_lshl_or_b32 v1, v2, 8, v1
	buffer_load_dword v2, off, s[0:3], s33 offset:132 ; 4-byte Folded Reload
	s_waitcnt vmcnt(0)
	v_lshlrev_b32_e32 v2, 16, v2
	v_or3_b32 v26, v1, v2, v4
	buffer_load_dword v1, off, s[0:3], s33 offset:152 ; 4-byte Folded Reload
	buffer_load_dword v2, off, s[0:3], s33 offset:148 ; 4-byte Folded Reload
	;; [unrolled: 1-line block ×4, first 2 shown]
	s_waitcnt vmcnt(3)
	v_lshlrev_b32_e32 v1, 24, v1
	s_waitcnt vmcnt(2)
	v_lshlrev_b32_e32 v2, 16, v2
	s_waitcnt vmcnt(0)
	v_lshl_or_b32 v4, v9, 8, v4
	v_or3_b32 v27, v4, v2, v1
	v_lshl_or_b32 v1, v17, 8, v16
	v_lshlrev_b32_e32 v2, 16, v57
	v_lshlrev_b32_e32 v4, 24, v12
	v_or3_b32 v10, v1, v2, v4
	v_lshl_or_b32 v1, v22, 8, v19
	v_lshlrev_b32_e32 v2, 16, v23
	v_lshlrev_b32_e32 v4, 24, v56
	;; [unrolled: 4-line block ×3, first 2 shown]
	v_or3_b32 v11, v1, v2, v4
	v_lshlrev_b32_e32 v1, 16, v5
	v_lshl_or_b32 v2, v3, 8, v8
	v_or3_b32 v12, v2, v1, v0
	global_store_dwordx4 v[44:45], v[24:27], off glc slc
	global_store_dwordx4 v[44:45], v[46:49], off offset:1024 glc slc
	global_store_dwordx4 v[44:45], v[34:37], off offset:2048 glc slc
	global_store_dwordx4 v[44:45], v[9:12], off offset:3072 glc slc
	buffer_load_dword v0, off, s[0:3], s33 offset:192 ; 4-byte Folded Reload
	s_nop 0
	buffer_load_dword v48, off, s[0:3], s33 offset:92 ; 4-byte Folded Reload
	s_waitcnt vmcnt(1)
	v_add_co_u32_e32 v30, vcc, v30, v0
	v_addc_co_u32_e32 v31, vcc, 0, v31, vcc
	v_add_co_u32_e32 v6, vcc, v6, v0
	v_addc_co_u32_e32 v7, vcc, 0, v7, vcc
	s_waitcnt vmcnt(0)
	v_sub_u32_e32 v61, v61, v48
	v_cmp_gt_i32_e32 vcc, 1, v61
	s_or_b64 s[44:45], vcc, s[44:45]
	v_add_co_u32_e32 v44, vcc, v44, v0
	v_addc_co_u32_e32 v45, vcc, 0, v45, vcc
	s_andn2_b64 exec, exec, s[44:45]
	s_cbranch_execz .LBB6_3170
.LBB6_354:                              ;   Parent Loop BB6_47 Depth=1
                                        ;     Parent Loop BB6_269 Depth=2
                                        ;       Parent Loop BB6_272 Depth=3
                                        ; =>      This Inner Loop Header: Depth=4
	global_load_dwordx4 v[48:51], v[30:31], off glc slc
	global_load_dwordx4 v[32:35], v[30:31], off offset:1024 glc slc
	global_load_dwordx4 v[20:23], v[30:31], off offset:2048 glc slc
	;; [unrolled: 1-line block ×3, first 2 shown]
	global_load_dwordx4 v[36:39], v[6:7], off glc slc
	global_load_dwordx4 v[24:27], v[6:7], off offset:1024 glc slc
	global_load_dwordx4 v[16:19], v[6:7], off offset:2048 glc slc
	;; [unrolled: 1-line block ×3, first 2 shown]
	s_mov_b64 s[40:41], -1
	s_and_b64 vcc, exec, s[46:47]
                                        ; implicit-def: $vgpr0
	s_waitcnt vmcnt(7)
	v_cmp_ne_u16_sdwa s[28:29], v48, v53 src0_sel:BYTE_0 src1_sel:DWORD
	s_cbranch_vccz .LBB6_368
; %bb.355:                              ;   in Loop: Header=BB6_354 Depth=4
	v_mov_b32_e32 v1, 0
	v_mov_b32_e32 v0, 0
	s_and_saveexec_b64 s[40:41], s[28:29]
	s_cbranch_execz .LBB6_361
; %bb.356:                              ;   in Loop: Header=BB6_354 Depth=4
	v_cmp_ne_u16_sdwa vcc, v48, s82 src0_sel:BYTE_0 src1_sel:DWORD
	v_bfrev_b32_e32 v0, 1
	s_and_saveexec_b64 s[38:39], vcc
	s_cbranch_execz .LBB6_360
; %bb.357:                              ;   in Loop: Header=BB6_354 Depth=4
	v_and_b32_e32 v2, 0x7f, v48
	v_cmp_ne_u32_e32 vcc, s83, v2
	v_mov_b32_e32 v0, 0x7f800001
	s_and_saveexec_b64 s[48:49], vcc
	s_cbranch_execz .LBB6_359
; %bb.358:                              ;   in Loop: Header=BB6_354 Depth=4
	v_and_b32_e32 v0, 7, v48
	v_ffbh_u32_e32 v0, v0
	v_min_u32_e32 v0, 32, v0
	v_lshrrev_b32_e32 v3, 3, v2
	v_cmp_gt_u32_e32 vcc, 8, v2
	v_subrev_u32_e32 v2, 28, v0
	v_sub_u32_e32 v0, 29, v0
	v_cndmask_b32_e32 v2, 0, v2, vcc
	v_cndmask_b32_e32 v0, v3, v0, vcc
	v_lshlrev_b64 v[2:3], v2, v[48:49]
	v_lshlrev_b32_e32 v3, 24, v48
	v_lshlrev_b32_e32 v2, 20, v2
	v_bfrev_b32_e32 v4, 60
	v_and_b32_e32 v2, 0x700000, v2
	v_and_b32_e32 v3, 0x80000000, v3
	v_lshl_add_u32 v0, v0, 23, v4
	v_or3_b32 v0, v3, v0, v2
.LBB6_359:                              ;   in Loop: Header=BB6_354 Depth=4
	s_or_b64 exec, exec, s[48:49]
.LBB6_360:                              ;   in Loop: Header=BB6_354 Depth=4
	s_or_b64 exec, exec, s[38:39]
.LBB6_361:                              ;   in Loop: Header=BB6_354 Depth=4
	s_or_b64 exec, exec, s[40:41]
	s_waitcnt vmcnt(3)
	v_cmp_ne_u16_sdwa vcc, v36, v53 src0_sel:BYTE_0 src1_sel:DWORD
	s_and_saveexec_b64 s[40:41], vcc
	s_cbranch_execz .LBB6_367
; %bb.362:                              ;   in Loop: Header=BB6_354 Depth=4
	v_cmp_ne_u16_sdwa vcc, v36, s82 src0_sel:BYTE_0 src1_sel:DWORD
	v_bfrev_b32_e32 v1, 1
	s_and_saveexec_b64 s[38:39], vcc
	s_cbranch_execz .LBB6_366
; %bb.363:                              ;   in Loop: Header=BB6_354 Depth=4
	v_and_b32_e32 v2, 0x7f, v36
	v_cmp_ne_u32_e32 vcc, s83, v2
	v_mov_b32_e32 v1, 0x7f800001
	s_and_saveexec_b64 s[48:49], vcc
	s_cbranch_execz .LBB6_365
; %bb.364:                              ;   in Loop: Header=BB6_354 Depth=4
	v_and_b32_e32 v1, 7, v36
	v_ffbh_u32_e32 v1, v1
	v_min_u32_e32 v1, 32, v1
	v_lshrrev_b32_e32 v3, 3, v2
	v_cmp_gt_u32_e32 vcc, 8, v2
	v_subrev_u32_e32 v2, 28, v1
	v_sub_u32_e32 v1, 29, v1
	v_cndmask_b32_e32 v3, v3, v1, vcc
	v_cndmask_b32_e32 v1, 0, v2, vcc
	v_lshlrev_b64 v[1:2], v1, v[36:37]
	v_lshlrev_b32_e32 v2, 24, v36
	v_lshlrev_b32_e32 v1, 20, v1
	v_bfrev_b32_e32 v4, 60
	v_and_b32_e32 v1, 0x700000, v1
	v_and_b32_e32 v2, 0x80000000, v2
	v_lshl_add_u32 v3, v3, 23, v4
	v_or3_b32 v1, v2, v3, v1
.LBB6_365:                              ;   in Loop: Header=BB6_354 Depth=4
	s_or_b64 exec, exec, s[48:49]
.LBB6_366:                              ;   in Loop: Header=BB6_354 Depth=4
	s_or_b64 exec, exec, s[38:39]
.LBB6_367:                              ;   in Loop: Header=BB6_354 Depth=4
	s_or_b64 exec, exec, s[40:41]
	v_max_f32_e32 v1, v1, v1
	v_max_f32_e32 v0, v0, v0
	;; [unrolled: 1-line block ×3, first 2 shown]
	s_mov_b64 s[40:41], 0
.LBB6_368:                              ;   in Loop: Header=BB6_354 Depth=4
	s_and_b64 vcc, exec, s[40:41]
	s_cbranch_vccz .LBB6_382
; %bb.369:                              ;   in Loop: Header=BB6_354 Depth=4
	v_mov_b32_e32 v1, 0
	v_mov_b32_e32 v0, 0
	s_and_saveexec_b64 s[40:41], s[28:29]
	s_cbranch_execz .LBB6_375
; %bb.370:                              ;   in Loop: Header=BB6_354 Depth=4
	v_cmp_ne_u16_sdwa vcc, v48, s82 src0_sel:BYTE_0 src1_sel:DWORD
	v_bfrev_b32_e32 v0, 1
	s_and_saveexec_b64 s[28:29], vcc
	s_cbranch_execz .LBB6_374
; %bb.371:                              ;   in Loop: Header=BB6_354 Depth=4
	v_and_b32_e32 v2, 0x7f, v48
	v_cmp_ne_u32_e32 vcc, s83, v2
	v_mov_b32_e32 v0, 0x7f800001
	s_and_saveexec_b64 s[38:39], vcc
	s_cbranch_execz .LBB6_373
; %bb.372:                              ;   in Loop: Header=BB6_354 Depth=4
	v_and_b32_e32 v0, 7, v48
	v_ffbh_u32_e32 v0, v0
	v_min_u32_e32 v0, 32, v0
	v_lshrrev_b32_e32 v3, 3, v2
	v_cmp_gt_u32_e32 vcc, 8, v2
	v_subrev_u32_e32 v2, 28, v0
	v_sub_u32_e32 v0, 29, v0
	v_cndmask_b32_e32 v2, 0, v2, vcc
	v_cndmask_b32_e32 v0, v3, v0, vcc
	v_lshlrev_b64 v[2:3], v2, v[48:49]
	v_lshlrev_b32_e32 v3, 24, v48
	v_lshlrev_b32_e32 v2, 20, v2
	v_bfrev_b32_e32 v4, 60
	v_and_b32_e32 v2, 0x700000, v2
	v_and_b32_e32 v3, 0x80000000, v3
	v_lshl_add_u32 v0, v0, 23, v4
	v_or3_b32 v0, v3, v0, v2
.LBB6_373:                              ;   in Loop: Header=BB6_354 Depth=4
	s_or_b64 exec, exec, s[38:39]
.LBB6_374:                              ;   in Loop: Header=BB6_354 Depth=4
	s_or_b64 exec, exec, s[28:29]
.LBB6_375:                              ;   in Loop: Header=BB6_354 Depth=4
	s_or_b64 exec, exec, s[40:41]
	s_waitcnt vmcnt(3)
	v_cmp_ne_u16_sdwa s[40:41], v36, v53 src0_sel:BYTE_0 src1_sel:DWORD
	s_and_saveexec_b64 s[28:29], s[40:41]
	s_cbranch_execz .LBB6_381
; %bb.376:                              ;   in Loop: Header=BB6_354 Depth=4
	v_cmp_ne_u16_sdwa vcc, v36, s82 src0_sel:BYTE_0 src1_sel:DWORD
	v_bfrev_b32_e32 v1, 1
	s_and_saveexec_b64 s[40:41], vcc
	s_cbranch_execz .LBB6_380
; %bb.377:                              ;   in Loop: Header=BB6_354 Depth=4
	v_and_b32_e32 v2, 0x7f, v36
	v_cmp_ne_u32_e32 vcc, s83, v2
	v_mov_b32_e32 v1, 0x7f800001
	s_and_saveexec_b64 s[38:39], vcc
	s_cbranch_execz .LBB6_379
; %bb.378:                              ;   in Loop: Header=BB6_354 Depth=4
	v_and_b32_e32 v1, 7, v36
	v_ffbh_u32_e32 v1, v1
	v_min_u32_e32 v1, 32, v1
	v_lshrrev_b32_e32 v3, 3, v2
	v_cmp_gt_u32_e32 vcc, 8, v2
	v_subrev_u32_e32 v2, 28, v1
	v_sub_u32_e32 v1, 29, v1
	v_cndmask_b32_e32 v3, v3, v1, vcc
	v_cndmask_b32_e32 v1, 0, v2, vcc
	v_lshlrev_b64 v[1:2], v1, v[36:37]
	v_lshlrev_b32_e32 v2, 24, v36
	v_lshlrev_b32_e32 v1, 20, v1
	v_bfrev_b32_e32 v4, 60
	v_and_b32_e32 v1, 0x700000, v1
	v_and_b32_e32 v2, 0x80000000, v2
	v_lshl_add_u32 v3, v3, 23, v4
	v_or3_b32 v1, v2, v3, v1
.LBB6_379:                              ;   in Loop: Header=BB6_354 Depth=4
	s_or_b64 exec, exec, s[38:39]
.LBB6_380:                              ;   in Loop: Header=BB6_354 Depth=4
	s_or_b64 exec, exec, s[40:41]
.LBB6_381:                              ;   in Loop: Header=BB6_354 Depth=4
	s_or_b64 exec, exec, s[28:29]
	v_max_f32_e32 v1, v1, v1
	v_max_f32_e32 v0, v0, v0
	v_min_f32_e32 v0, v0, v1
.LBB6_382:                              ;   in Loop: Header=BB6_354 Depth=4
	v_and_b32_e32 v52, 0x7f800000, v0
	v_cmp_ne_u64_e32 vcc, s[76:77], v[52:53]
                                        ; implicit-def: $vgpr52
	s_and_saveexec_b64 s[28:29], vcc
	s_xor_b64 s[40:41], exec, s[28:29]
	s_cbranch_execz .LBB6_396
; %bb.383:                              ;   in Loop: Header=BB6_354 Depth=4
	v_and_b32_e32 v52, 0x7fffffff, v0
	v_cmp_gt_u64_e32 vcc, s[78:79], v[52:53]
	v_and_b32_sdwa v3, v0, s82 dst_sel:DWORD dst_unused:UNUSED_PAD src0_sel:BYTE_3 src1_sel:DWORD
                                        ; implicit-def: $vgpr52
	s_and_saveexec_b64 s[28:29], vcc
	s_xor_b64 s[38:39], exec, s[28:29]
	s_cbranch_execz .LBB6_393
; %bb.384:                              ;   in Loop: Header=BB6_354 Depth=4
	v_mov_b32_e32 v52, 0
	v_cmp_ne_u32_e32 vcc, 0, v0
	s_and_saveexec_b64 s[48:49], vcc
	s_cbranch_execz .LBB6_392
; %bb.385:                              ;   in Loop: Header=BB6_354 Depth=4
	v_bfe_u32 v4, v0, 23, 8
	v_and_b32_e32 v1, 0x7fffff, v0
	v_cmp_gt_u32_e64 s[28:29], s85, v4
	v_sub_u32_e32 v0, 0x79, v4
	v_cmp_eq_u32_e32 vcc, 0, v4
	v_cndmask_b32_e64 v0, 0, v0, s[28:29]
	v_mov_b32_e32 v5, 0x78
	v_cndmask_b32_e32 v5, v0, v5, vcc
	v_or_b32_e32 v2, 0x800000, v1
	v_add_u32_e32 v0, 20, v5
	v_cndmask_b32_e32 v52, v2, v1, vcc
	v_lshlrev_b64 v[0:1], v0, -1
	v_add_u32_e32 v2, 19, v5
	v_lshlrev_b64 v[28:29], v2, 1
	v_bfi_b32 v1, v1, 0, 0
	v_bfi_b32 v0, v0, 0, v52
	v_cmp_eq_u64_e64 s[28:29], v[0:1], v[28:29]
	v_lshrrev_b64 v[0:1], v5, v[52:53]
	v_mov_b32_e32 v2, v1
	v_mov_b32_e32 v1, v0
	s_and_saveexec_b64 s[50:51], s[28:29]
; %bb.386:                              ;   in Loop: Header=BB6_354 Depth=4
	v_bfe_u32 v1, v0, 20, 1
	v_add_co_u32_e64 v1, s[28:29], v0, v1
	v_add_co_u32_e64 v1, s[28:29], -1, v1
; %bb.387:                              ;   in Loop: Header=BB6_354 Depth=4
	s_or_b64 exec, exec, s[50:51]
	v_add_u32_e32 v2, 0xffffff81, v4
	v_mov_b32_e32 v4, 0xffffff82
	v_cndmask_b32_e32 v2, v2, v4, vcc
	v_lshrrev_b32_e32 v4, 23, v0
	v_add3_u32 v5, v5, v2, v4
	v_add_u32_e32 v4, 6, v5
	v_and_b32_e32 v1, 0xfffff, v1
	v_add_u32_e32 v52, v1, v0
	v_cmp_ne_u32_e32 vcc, 0, v4
                                        ; implicit-def: $vgpr0_vgpr1
                                        ; implicit-def: $vgpr2
	s_and_saveexec_b64 s[28:29], vcc
	s_xor_b64 s[28:29], exec, s[28:29]
; %bb.388:                              ;   in Loop: Header=BB6_354 Depth=4
	v_cmp_lt_u64_e32 vcc, s[88:89], v[52:53]
	v_add_u32_e32 v0, 7, v5
	v_cndmask_b32_e32 v2, v4, v0, vcc
	v_cndmask_b32_e64 v0, 0, 1, vcc
	v_lshrrev_b64 v[0:1], v0, v[52:53]
; %bb.389:                              ;   in Loop: Header=BB6_354 Depth=4
	s_andn2_saveexec_b64 s[28:29], s[28:29]
; %bb.390:                              ;   in Loop: Header=BB6_354 Depth=4
	v_mov_b32_e32 v0, v52
	v_bfe_u32 v2, v52, 23, 1
	v_mov_b32_e32 v1, v53
; %bb.391:                              ;   in Loop: Header=BB6_354 Depth=4
	s_or_b64 exec, exec, s[28:29]
	v_lshrrev_b64 v[0:1], 20, v[0:1]
	v_cmp_gt_i32_e32 vcc, 16, v2
	v_cndmask_b32_e32 v1, 0, v1, vcc
	v_cndmask_b32_e32 v0, 7, v0, vcc
	v_cmp_eq_u64_e64 s[28:29], 0, v[0:1]
	v_min_i32_e32 v1, 15, v2
	v_lshlrev_b32_e32 v1, 3, v1
	v_cmp_eq_u32_e32 vcc, 0, v2
	v_and_b32_e32 v1, 0xf8, v1
	v_and_or_b32 v0, v0, 7, v1
	s_and_b64 s[28:29], vcc, s[28:29]
	v_cndmask_b32_e64 v0, v0, 0, s[28:29]
	v_or_b32_e32 v52, v0, v3
.LBB6_392:                              ;   in Loop: Header=BB6_354 Depth=4
	s_or_b64 exec, exec, s[48:49]
                                        ; implicit-def: $vgpr3
.LBB6_393:                              ;   in Loop: Header=BB6_354 Depth=4
	s_andn2_saveexec_b64 s[28:29], s[38:39]
; %bb.394:                              ;   in Loop: Header=BB6_354 Depth=4
	v_or_b32_e32 v52, 0x7e, v3
; %bb.395:                              ;   in Loop: Header=BB6_354 Depth=4
	s_or_b64 exec, exec, s[28:29]
                                        ; implicit-def: $vgpr0
.LBB6_396:                              ;   in Loop: Header=BB6_354 Depth=4
	s_andn2_saveexec_b64 s[28:29], s[40:41]
; %bb.397:                              ;   in Loop: Header=BB6_354 Depth=4
	v_or_b32_sdwa v52, v0, s83 dst_sel:DWORD dst_unused:UNUSED_PAD src0_sel:BYTE_3 src1_sel:DWORD
; %bb.398:                              ;   in Loop: Header=BB6_354 Depth=4
	s_or_b64 exec, exec, s[28:29]
	v_lshrrev_b16_e32 v2, 8, v48
	s_waitcnt vmcnt(3)
	v_lshrrev_b16_e32 v0, 8, v36
	v_cmp_ne_u16_e64 s[28:29], 0, v2
	s_mov_b64 s[40:41], -1
	s_and_b64 vcc, exec, s[46:47]
                                        ; implicit-def: $vgpr1
	s_cbranch_vccz .LBB6_412
; %bb.399:                              ;   in Loop: Header=BB6_354 Depth=4
	v_mov_b32_e32 v3, 0
	v_mov_b32_e32 v1, 0
	s_and_saveexec_b64 s[40:41], s[28:29]
	s_cbranch_execz .LBB6_405
; %bb.400:                              ;   in Loop: Header=BB6_354 Depth=4
	v_cmp_ne_u16_e32 vcc, s82, v2
	v_bfrev_b32_e32 v1, 1
	s_and_saveexec_b64 s[38:39], vcc
	s_cbranch_execz .LBB6_404
; %bb.401:                              ;   in Loop: Header=BB6_354 Depth=4
	v_and_b32_e32 v4, 0x7f, v2
	v_cmp_ne_u32_e32 vcc, s83, v4
	v_mov_b32_e32 v1, 0x7f800001
	s_and_saveexec_b64 s[48:49], vcc
	s_cbranch_execz .LBB6_403
; %bb.402:                              ;   in Loop: Header=BB6_354 Depth=4
	v_and_b32_e32 v1, 7, v2
	v_lshrrev_b32_e32 v28, 3, v4
	v_cmp_gt_u32_e32 vcc, 8, v4
	v_ffbh_u32_e32 v4, v1
	v_min_u32_e32 v29, 32, v4
	v_subrev_u32_e32 v4, 28, v29
	v_lshlrev_b64 v[4:5], v4, v[2:3]
	v_sub_u32_e32 v5, 29, v29
	v_and_b32_e32 v4, 7, v4
	v_cndmask_b32_e32 v5, v28, v5, vcc
	v_cndmask_b32_e32 v1, v1, v4, vcc
	v_lshlrev_b32_e32 v4, 16, v48
	v_bfrev_b32_e32 v28, 60
	v_lshlrev_b32_e32 v1, 20, v1
	v_and_b32_e32 v4, 0x80000000, v4
	v_lshl_add_u32 v5, v5, 23, v28
	v_or3_b32 v1, v4, v5, v1
.LBB6_403:                              ;   in Loop: Header=BB6_354 Depth=4
	s_or_b64 exec, exec, s[48:49]
.LBB6_404:                              ;   in Loop: Header=BB6_354 Depth=4
	s_or_b64 exec, exec, s[38:39]
.LBB6_405:                              ;   in Loop: Header=BB6_354 Depth=4
	s_or_b64 exec, exec, s[40:41]
	v_cmp_ne_u16_e32 vcc, 0, v0
	s_and_saveexec_b64 s[40:41], vcc
	s_cbranch_execz .LBB6_411
; %bb.406:                              ;   in Loop: Header=BB6_354 Depth=4
	v_cmp_ne_u16_e32 vcc, s82, v0
	v_bfrev_b32_e32 v3, 1
	s_and_saveexec_b64 s[38:39], vcc
	s_cbranch_execz .LBB6_410
; %bb.407:                              ;   in Loop: Header=BB6_354 Depth=4
	v_and_b32_e32 v4, 0x7f, v0
	v_cmp_ne_u32_e32 vcc, s83, v4
	v_mov_b32_e32 v3, 0x7f800001
	s_and_saveexec_b64 s[48:49], vcc
	s_cbranch_execz .LBB6_409
; %bb.408:                              ;   in Loop: Header=BB6_354 Depth=4
	v_and_b32_e32 v5, 7, v0
	v_ffbh_u32_e32 v3, v5
	v_min_u32_e32 v29, 32, v3
	v_subrev_u32_e32 v3, 28, v29
	v_lshrrev_b32_e32 v28, 3, v4
	v_cmp_gt_u32_e32 vcc, 8, v4
	v_lshlrev_b64 v[3:4], v3, v[0:1]
	v_sub_u32_e32 v4, 29, v29
	v_and_b32_e32 v3, 7, v3
	v_cndmask_b32_e32 v4, v28, v4, vcc
	v_cndmask_b32_e32 v3, v5, v3, vcc
	v_lshlrev_b32_e32 v5, 16, v36
	v_bfrev_b32_e32 v28, 60
	v_lshlrev_b32_e32 v3, 20, v3
	v_and_b32_e32 v5, 0x80000000, v5
	v_lshl_add_u32 v4, v4, 23, v28
	v_or3_b32 v3, v5, v4, v3
.LBB6_409:                              ;   in Loop: Header=BB6_354 Depth=4
	s_or_b64 exec, exec, s[48:49]
.LBB6_410:                              ;   in Loop: Header=BB6_354 Depth=4
	s_or_b64 exec, exec, s[38:39]
.LBB6_411:                              ;   in Loop: Header=BB6_354 Depth=4
	s_or_b64 exec, exec, s[40:41]
	v_max_f32_e32 v3, v3, v3
	v_max_f32_e32 v1, v1, v1
	;; [unrolled: 1-line block ×3, first 2 shown]
	s_mov_b64 s[40:41], 0
.LBB6_412:                              ;   in Loop: Header=BB6_354 Depth=4
	s_and_b64 vcc, exec, s[40:41]
	s_cbranch_vccz .LBB6_426
; %bb.413:                              ;   in Loop: Header=BB6_354 Depth=4
	v_mov_b32_e32 v3, 0
	v_mov_b32_e32 v1, 0
	s_and_saveexec_b64 s[40:41], s[28:29]
	s_cbranch_execz .LBB6_419
; %bb.414:                              ;   in Loop: Header=BB6_354 Depth=4
	v_cmp_ne_u16_e32 vcc, s82, v2
	v_bfrev_b32_e32 v1, 1
	s_and_saveexec_b64 s[28:29], vcc
	s_cbranch_execz .LBB6_418
; %bb.415:                              ;   in Loop: Header=BB6_354 Depth=4
	v_and_b32_e32 v4, 0x7f, v2
	v_cmp_ne_u32_e32 vcc, s83, v4
	v_mov_b32_e32 v1, 0x7f800001
	s_and_saveexec_b64 s[38:39], vcc
	s_cbranch_execz .LBB6_417
; %bb.416:                              ;   in Loop: Header=BB6_354 Depth=4
	v_and_b32_e32 v5, 7, v2
	v_ffbh_u32_e32 v1, v5
	v_lshrrev_b32_e32 v28, 3, v4
	v_cmp_gt_u32_e32 vcc, 8, v4
	v_min_u32_e32 v4, 32, v1
	v_subrev_u32_e32 v1, 28, v4
	v_lshlrev_b64 v[1:2], v1, v[2:3]
	v_sub_u32_e32 v2, 29, v4
	v_and_b32_e32 v1, 7, v1
	v_cndmask_b32_e32 v2, v28, v2, vcc
	v_cndmask_b32_e32 v1, v5, v1, vcc
	v_lshlrev_b32_e32 v4, 16, v48
	v_bfrev_b32_e32 v5, 60
	v_lshlrev_b32_e32 v1, 20, v1
	v_and_b32_e32 v4, 0x80000000, v4
	v_lshl_add_u32 v2, v2, 23, v5
	v_or3_b32 v1, v4, v2, v1
.LBB6_417:                              ;   in Loop: Header=BB6_354 Depth=4
	s_or_b64 exec, exec, s[38:39]
.LBB6_418:                              ;   in Loop: Header=BB6_354 Depth=4
	s_or_b64 exec, exec, s[28:29]
.LBB6_419:                              ;   in Loop: Header=BB6_354 Depth=4
	s_or_b64 exec, exec, s[40:41]
	v_cmp_ne_u16_e32 vcc, 0, v0
	s_and_saveexec_b64 s[28:29], vcc
	s_cbranch_execz .LBB6_425
; %bb.420:                              ;   in Loop: Header=BB6_354 Depth=4
	v_cmp_ne_u16_e32 vcc, s82, v0
	v_bfrev_b32_e32 v3, 1
	s_and_saveexec_b64 s[40:41], vcc
	s_cbranch_execz .LBB6_424
; %bb.421:                              ;   in Loop: Header=BB6_354 Depth=4
	v_and_b32_e32 v2, 0x7f, v0
	v_cmp_ne_u32_e32 vcc, s83, v2
	v_mov_b32_e32 v3, 0x7f800001
	s_and_saveexec_b64 s[38:39], vcc
	s_cbranch_execz .LBB6_423
; %bb.422:                              ;   in Loop: Header=BB6_354 Depth=4
	v_and_b32_e32 v4, 7, v0
	v_lshrrev_b32_e32 v5, 3, v2
	v_cmp_gt_u32_e32 vcc, 8, v2
	v_ffbh_u32_e32 v2, v4
	v_min_u32_e32 v28, 32, v2
	v_subrev_u32_e32 v2, 28, v28
	v_lshlrev_b64 v[2:3], v2, v[0:1]
	v_sub_u32_e32 v0, 29, v28
	v_and_b32_e32 v2, 7, v2
	v_cndmask_b32_e32 v0, v5, v0, vcc
	v_cndmask_b32_e32 v2, v4, v2, vcc
	v_lshlrev_b32_e32 v3, 16, v36
	v_bfrev_b32_e32 v4, 60
	v_lshlrev_b32_e32 v2, 20, v2
	v_and_b32_e32 v3, 0x80000000, v3
	v_lshl_add_u32 v0, v0, 23, v4
	v_or3_b32 v3, v3, v0, v2
.LBB6_423:                              ;   in Loop: Header=BB6_354 Depth=4
	s_or_b64 exec, exec, s[38:39]
.LBB6_424:                              ;   in Loop: Header=BB6_354 Depth=4
	s_or_b64 exec, exec, s[40:41]
.LBB6_425:                              ;   in Loop: Header=BB6_354 Depth=4
	s_or_b64 exec, exec, s[28:29]
	v_max_f32_e32 v0, v3, v3
	v_max_f32_e32 v1, v1, v1
	v_min_f32_e32 v1, v1, v0
.LBB6_426:                              ;   in Loop: Header=BB6_354 Depth=4
	buffer_store_dword v52, off, s[0:3], s33 offset:96 ; 4-byte Folded Spill
	v_and_b32_e32 v52, 0x7f800000, v1
	v_cmp_ne_u64_e32 vcc, s[76:77], v[52:53]
                                        ; implicit-def: $vgpr52
	s_and_saveexec_b64 s[28:29], vcc
	s_xor_b64 s[40:41], exec, s[28:29]
	s_cbranch_execz .LBB6_440
; %bb.427:                              ;   in Loop: Header=BB6_354 Depth=4
	v_and_b32_e32 v52, 0x7fffffff, v1
	v_cmp_gt_u64_e32 vcc, s[78:79], v[52:53]
	v_and_b32_sdwa v3, v1, s82 dst_sel:DWORD dst_unused:UNUSED_PAD src0_sel:BYTE_3 src1_sel:DWORD
                                        ; implicit-def: $vgpr52
	s_and_saveexec_b64 s[28:29], vcc
	s_xor_b64 s[38:39], exec, s[28:29]
	s_cbranch_execz .LBB6_437
; %bb.428:                              ;   in Loop: Header=BB6_354 Depth=4
	v_mov_b32_e32 v52, 0
	v_cmp_ne_u32_e32 vcc, 0, v1
	s_and_saveexec_b64 s[48:49], vcc
	s_cbranch_execz .LBB6_436
; %bb.429:                              ;   in Loop: Header=BB6_354 Depth=4
	v_bfe_u32 v4, v1, 23, 8
	v_and_b32_e32 v0, 0x7fffff, v1
	v_cmp_gt_u32_e64 s[28:29], s85, v4
	v_sub_u32_e32 v1, 0x79, v4
	v_cmp_eq_u32_e32 vcc, 0, v4
	v_cndmask_b32_e64 v1, 0, v1, s[28:29]
	v_mov_b32_e32 v5, 0x78
	v_or_b32_e32 v2, 0x800000, v0
	v_cndmask_b32_e32 v5, v1, v5, vcc
	v_cndmask_b32_e32 v52, v2, v0, vcc
	v_add_u32_e32 v0, 20, v5
	v_lshlrev_b64 v[0:1], v0, -1
	v_add_u32_e32 v2, 19, v5
	v_lshlrev_b64 v[28:29], v2, 1
	v_bfi_b32 v1, v1, 0, 0
	v_bfi_b32 v0, v0, 0, v52
	v_cmp_eq_u64_e64 s[28:29], v[0:1], v[28:29]
	v_lshrrev_b64 v[0:1], v5, v[52:53]
	v_mov_b32_e32 v2, v1
	v_mov_b32_e32 v1, v0
	s_and_saveexec_b64 s[50:51], s[28:29]
; %bb.430:                              ;   in Loop: Header=BB6_354 Depth=4
	v_bfe_u32 v1, v0, 20, 1
	v_add_co_u32_e64 v1, s[28:29], v0, v1
	v_add_co_u32_e64 v1, s[28:29], -1, v1
; %bb.431:                              ;   in Loop: Header=BB6_354 Depth=4
	s_or_b64 exec, exec, s[50:51]
	v_add_u32_e32 v2, 0xffffff81, v4
	v_mov_b32_e32 v4, 0xffffff82
	v_cndmask_b32_e32 v2, v2, v4, vcc
	v_lshrrev_b32_e32 v4, 23, v0
	v_add3_u32 v5, v5, v2, v4
	v_add_u32_e32 v4, 6, v5
	v_and_b32_e32 v1, 0xfffff, v1
	v_add_u32_e32 v52, v1, v0
	v_cmp_ne_u32_e32 vcc, 0, v4
                                        ; implicit-def: $vgpr0_vgpr1
                                        ; implicit-def: $vgpr2
	s_and_saveexec_b64 s[28:29], vcc
	s_xor_b64 s[28:29], exec, s[28:29]
; %bb.432:                              ;   in Loop: Header=BB6_354 Depth=4
	v_cmp_lt_u64_e32 vcc, s[88:89], v[52:53]
	v_add_u32_e32 v0, 7, v5
	v_cndmask_b32_e32 v2, v4, v0, vcc
	v_cndmask_b32_e64 v0, 0, 1, vcc
	v_lshrrev_b64 v[0:1], v0, v[52:53]
; %bb.433:                              ;   in Loop: Header=BB6_354 Depth=4
	s_andn2_saveexec_b64 s[28:29], s[28:29]
; %bb.434:                              ;   in Loop: Header=BB6_354 Depth=4
	v_mov_b32_e32 v0, v52
	v_bfe_u32 v2, v52, 23, 1
	v_mov_b32_e32 v1, v53
; %bb.435:                              ;   in Loop: Header=BB6_354 Depth=4
	s_or_b64 exec, exec, s[28:29]
	v_lshrrev_b64 v[0:1], 20, v[0:1]
	v_cmp_gt_i32_e32 vcc, 16, v2
	v_cndmask_b32_e32 v1, 0, v1, vcc
	v_cndmask_b32_e32 v0, 7, v0, vcc
	v_cmp_eq_u64_e64 s[28:29], 0, v[0:1]
	v_min_i32_e32 v1, 15, v2
	v_lshlrev_b32_e32 v1, 3, v1
	v_cmp_eq_u32_e32 vcc, 0, v2
	v_and_b32_e32 v1, 0xf8, v1
	v_and_or_b32 v0, v0, 7, v1
	s_and_b64 s[28:29], vcc, s[28:29]
	v_cndmask_b32_e64 v0, v0, 0, s[28:29]
	v_or_b32_e32 v52, v0, v3
.LBB6_436:                              ;   in Loop: Header=BB6_354 Depth=4
	s_or_b64 exec, exec, s[48:49]
                                        ; implicit-def: $vgpr3
.LBB6_437:                              ;   in Loop: Header=BB6_354 Depth=4
	s_andn2_saveexec_b64 s[28:29], s[38:39]
; %bb.438:                              ;   in Loop: Header=BB6_354 Depth=4
	v_or_b32_e32 v52, 0x7e, v3
; %bb.439:                              ;   in Loop: Header=BB6_354 Depth=4
	s_or_b64 exec, exec, s[28:29]
                                        ; implicit-def: $vgpr1
.LBB6_440:                              ;   in Loop: Header=BB6_354 Depth=4
	s_andn2_saveexec_b64 s[28:29], s[40:41]
; %bb.441:                              ;   in Loop: Header=BB6_354 Depth=4
	v_or_b32_sdwa v52, v1, s83 dst_sel:DWORD dst_unused:UNUSED_PAD src0_sel:BYTE_3 src1_sel:DWORD
; %bb.442:                              ;   in Loop: Header=BB6_354 Depth=4
	s_or_b64 exec, exec, s[28:29]
	v_lshrrev_b32_e32 v2, 16, v48
	v_lshrrev_b32_e32 v0, 16, v36
	v_cmp_ne_u16_sdwa s[28:29], v2, v53 src0_sel:BYTE_0 src1_sel:DWORD
	s_mov_b64 s[40:41], -1
	s_and_b64 vcc, exec, s[46:47]
                                        ; implicit-def: $vgpr1
	s_cbranch_vccz .LBB6_456
; %bb.443:                              ;   in Loop: Header=BB6_354 Depth=4
	v_mov_b32_e32 v3, 0
	v_mov_b32_e32 v1, 0
	s_and_saveexec_b64 s[40:41], s[28:29]
	s_cbranch_execz .LBB6_449
; %bb.444:                              ;   in Loop: Header=BB6_354 Depth=4
	v_cmp_ne_u16_sdwa vcc, v2, s82 src0_sel:BYTE_0 src1_sel:DWORD
	v_bfrev_b32_e32 v1, 1
	s_and_saveexec_b64 s[38:39], vcc
	s_cbranch_execz .LBB6_448
; %bb.445:                              ;   in Loop: Header=BB6_354 Depth=4
	v_bfe_u32 v4, v48, 16, 7
	v_cmp_ne_u32_e32 vcc, s83, v4
	v_mov_b32_e32 v1, 0x7f800001
	s_and_saveexec_b64 s[48:49], vcc
	s_cbranch_execz .LBB6_447
; %bb.446:                              ;   in Loop: Header=BB6_354 Depth=4
	v_and_b32_e32 v1, 7, v2
	v_lshrrev_b32_e32 v28, 3, v4
	v_cmp_gt_u32_e32 vcc, 8, v4
	v_ffbh_u32_e32 v4, v1
	v_min_u32_e32 v29, 32, v4
	v_subrev_u32_e32 v4, 28, v29
	v_lshlrev_b64 v[4:5], v4, v[2:3]
	v_sub_u32_e32 v5, 29, v29
	v_and_b32_e32 v4, 7, v4
	v_cndmask_b32_e32 v5, v28, v5, vcc
	v_cndmask_b32_e32 v1, v1, v4, vcc
	v_lshlrev_b32_e32 v4, 24, v2
	v_bfrev_b32_e32 v28, 60
	v_lshlrev_b32_e32 v1, 20, v1
	v_and_b32_e32 v4, 0x80000000, v4
	v_lshl_add_u32 v5, v5, 23, v28
	v_or3_b32 v1, v4, v5, v1
.LBB6_447:                              ;   in Loop: Header=BB6_354 Depth=4
	s_or_b64 exec, exec, s[48:49]
.LBB6_448:                              ;   in Loop: Header=BB6_354 Depth=4
	s_or_b64 exec, exec, s[38:39]
.LBB6_449:                              ;   in Loop: Header=BB6_354 Depth=4
	s_or_b64 exec, exec, s[40:41]
	v_cmp_ne_u16_sdwa vcc, v0, v53 src0_sel:BYTE_0 src1_sel:DWORD
	s_and_saveexec_b64 s[40:41], vcc
	s_cbranch_execz .LBB6_455
; %bb.450:                              ;   in Loop: Header=BB6_354 Depth=4
	v_cmp_ne_u16_sdwa vcc, v0, s82 src0_sel:BYTE_0 src1_sel:DWORD
	v_bfrev_b32_e32 v3, 1
	s_and_saveexec_b64 s[38:39], vcc
	s_cbranch_execz .LBB6_454
; %bb.451:                              ;   in Loop: Header=BB6_354 Depth=4
	v_bfe_u32 v4, v36, 16, 7
	v_cmp_ne_u32_e32 vcc, s83, v4
	v_mov_b32_e32 v3, 0x7f800001
	s_and_saveexec_b64 s[48:49], vcc
	s_cbranch_execz .LBB6_453
; %bb.452:                              ;   in Loop: Header=BB6_354 Depth=4
	v_and_b32_e32 v5, 7, v0
	v_ffbh_u32_e32 v3, v5
	v_min_u32_e32 v29, 32, v3
	v_subrev_u32_e32 v3, 28, v29
	v_lshrrev_b32_e32 v28, 3, v4
	v_cmp_gt_u32_e32 vcc, 8, v4
	v_lshlrev_b64 v[3:4], v3, v[0:1]
	v_sub_u32_e32 v4, 29, v29
	v_and_b32_e32 v3, 7, v3
	v_cndmask_b32_e32 v4, v28, v4, vcc
	v_cndmask_b32_e32 v3, v5, v3, vcc
	v_lshlrev_b32_e32 v5, 24, v0
	v_bfrev_b32_e32 v28, 60
	v_lshlrev_b32_e32 v3, 20, v3
	v_and_b32_e32 v5, 0x80000000, v5
	v_lshl_add_u32 v4, v4, 23, v28
	v_or3_b32 v3, v5, v4, v3
.LBB6_453:                              ;   in Loop: Header=BB6_354 Depth=4
	s_or_b64 exec, exec, s[48:49]
.LBB6_454:                              ;   in Loop: Header=BB6_354 Depth=4
	s_or_b64 exec, exec, s[38:39]
.LBB6_455:                              ;   in Loop: Header=BB6_354 Depth=4
	s_or_b64 exec, exec, s[40:41]
	v_max_f32_e32 v3, v3, v3
	v_max_f32_e32 v1, v1, v1
	;; [unrolled: 1-line block ×3, first 2 shown]
	s_mov_b64 s[40:41], 0
.LBB6_456:                              ;   in Loop: Header=BB6_354 Depth=4
	s_and_b64 vcc, exec, s[40:41]
	s_cbranch_vccz .LBB6_470
; %bb.457:                              ;   in Loop: Header=BB6_354 Depth=4
	v_mov_b32_e32 v3, 0
	v_mov_b32_e32 v1, 0
	s_and_saveexec_b64 s[40:41], s[28:29]
	s_cbranch_execz .LBB6_463
; %bb.458:                              ;   in Loop: Header=BB6_354 Depth=4
	v_cmp_ne_u16_sdwa vcc, v2, s82 src0_sel:BYTE_0 src1_sel:DWORD
	v_bfrev_b32_e32 v1, 1
	s_and_saveexec_b64 s[28:29], vcc
	s_cbranch_execz .LBB6_462
; %bb.459:                              ;   in Loop: Header=BB6_354 Depth=4
	v_bfe_u32 v4, v48, 16, 7
	v_cmp_ne_u32_e32 vcc, s83, v4
	v_mov_b32_e32 v1, 0x7f800001
	s_and_saveexec_b64 s[38:39], vcc
	s_cbranch_execz .LBB6_461
; %bb.460:                              ;   in Loop: Header=BB6_354 Depth=4
	v_and_b32_e32 v1, 7, v2
	v_lshrrev_b32_e32 v28, 3, v4
	v_cmp_gt_u32_e32 vcc, 8, v4
	v_ffbh_u32_e32 v4, v1
	v_min_u32_e32 v29, 32, v4
	v_subrev_u32_e32 v4, 28, v29
	v_lshlrev_b64 v[4:5], v4, v[2:3]
	v_sub_u32_e32 v5, 29, v29
	v_and_b32_e32 v4, 7, v4
	v_cndmask_b32_e32 v5, v28, v5, vcc
	v_cndmask_b32_e32 v1, v1, v4, vcc
	v_lshlrev_b32_e32 v2, 24, v2
	v_bfrev_b32_e32 v4, 60
	v_lshlrev_b32_e32 v1, 20, v1
	v_and_b32_e32 v2, 0x80000000, v2
	v_lshl_add_u32 v4, v5, 23, v4
	v_or3_b32 v1, v2, v4, v1
.LBB6_461:                              ;   in Loop: Header=BB6_354 Depth=4
	s_or_b64 exec, exec, s[38:39]
.LBB6_462:                              ;   in Loop: Header=BB6_354 Depth=4
	s_or_b64 exec, exec, s[28:29]
.LBB6_463:                              ;   in Loop: Header=BB6_354 Depth=4
	s_or_b64 exec, exec, s[40:41]
	v_cmp_ne_u16_sdwa s[40:41], v0, v53 src0_sel:BYTE_0 src1_sel:DWORD
	s_and_saveexec_b64 s[28:29], s[40:41]
	s_cbranch_execz .LBB6_469
; %bb.464:                              ;   in Loop: Header=BB6_354 Depth=4
	v_cmp_ne_u16_sdwa vcc, v0, s82 src0_sel:BYTE_0 src1_sel:DWORD
	v_bfrev_b32_e32 v3, 1
	s_and_saveexec_b64 s[40:41], vcc
	s_cbranch_execz .LBB6_468
; %bb.465:                              ;   in Loop: Header=BB6_354 Depth=4
	v_bfe_u32 v2, v36, 16, 7
	v_cmp_ne_u32_e32 vcc, s83, v2
	v_mov_b32_e32 v3, 0x7f800001
	s_and_saveexec_b64 s[38:39], vcc
	s_cbranch_execz .LBB6_467
; %bb.466:                              ;   in Loop: Header=BB6_354 Depth=4
	v_and_b32_e32 v4, 7, v0
	v_lshrrev_b32_e32 v5, 3, v2
	v_cmp_gt_u32_e32 vcc, 8, v2
	v_ffbh_u32_e32 v2, v4
	v_min_u32_e32 v28, 32, v2
	v_subrev_u32_e32 v2, 28, v28
	v_lshlrev_b64 v[2:3], v2, v[0:1]
	v_sub_u32_e32 v3, 29, v28
	v_and_b32_e32 v2, 7, v2
	v_cndmask_b32_e32 v3, v5, v3, vcc
	v_cndmask_b32_e32 v2, v4, v2, vcc
	v_lshlrev_b32_e32 v0, 24, v0
	v_bfrev_b32_e32 v4, 60
	v_lshlrev_b32_e32 v2, 20, v2
	v_and_b32_e32 v0, 0x80000000, v0
	v_lshl_add_u32 v3, v3, 23, v4
	v_or3_b32 v3, v0, v3, v2
.LBB6_467:                              ;   in Loop: Header=BB6_354 Depth=4
	s_or_b64 exec, exec, s[38:39]
.LBB6_468:                              ;   in Loop: Header=BB6_354 Depth=4
	s_or_b64 exec, exec, s[40:41]
.LBB6_469:                              ;   in Loop: Header=BB6_354 Depth=4
	s_or_b64 exec, exec, s[28:29]
	v_max_f32_e32 v0, v3, v3
	v_max_f32_e32 v1, v1, v1
	v_min_f32_e32 v1, v1, v0
.LBB6_470:                              ;   in Loop: Header=BB6_354 Depth=4
	buffer_store_dword v52, off, s[0:3], s33 offset:104 ; 4-byte Folded Spill
	v_and_b32_e32 v52, 0x7f800000, v1
	v_cmp_ne_u64_e32 vcc, s[76:77], v[52:53]
                                        ; implicit-def: $vgpr52
	s_and_saveexec_b64 s[28:29], vcc
	s_xor_b64 s[40:41], exec, s[28:29]
	s_cbranch_execz .LBB6_484
; %bb.471:                              ;   in Loop: Header=BB6_354 Depth=4
	v_and_b32_e32 v52, 0x7fffffff, v1
	v_cmp_gt_u64_e32 vcc, s[78:79], v[52:53]
	v_and_b32_sdwa v3, v1, s82 dst_sel:DWORD dst_unused:UNUSED_PAD src0_sel:BYTE_3 src1_sel:DWORD
                                        ; implicit-def: $vgpr52
	s_and_saveexec_b64 s[28:29], vcc
	s_xor_b64 s[38:39], exec, s[28:29]
	s_cbranch_execz .LBB6_481
; %bb.472:                              ;   in Loop: Header=BB6_354 Depth=4
	v_mov_b32_e32 v52, 0
	v_cmp_ne_u32_e32 vcc, 0, v1
	s_and_saveexec_b64 s[48:49], vcc
	s_cbranch_execz .LBB6_480
; %bb.473:                              ;   in Loop: Header=BB6_354 Depth=4
	v_bfe_u32 v4, v1, 23, 8
	v_and_b32_e32 v0, 0x7fffff, v1
	v_cmp_gt_u32_e64 s[28:29], s85, v4
	v_sub_u32_e32 v1, 0x79, v4
	v_cmp_eq_u32_e32 vcc, 0, v4
	v_cndmask_b32_e64 v1, 0, v1, s[28:29]
	v_mov_b32_e32 v5, 0x78
	v_or_b32_e32 v2, 0x800000, v0
	v_cndmask_b32_e32 v5, v1, v5, vcc
	v_cndmask_b32_e32 v52, v2, v0, vcc
	v_add_u32_e32 v0, 20, v5
	v_lshlrev_b64 v[0:1], v0, -1
	v_add_u32_e32 v2, 19, v5
	v_lshlrev_b64 v[28:29], v2, 1
	v_bfi_b32 v1, v1, 0, 0
	v_bfi_b32 v0, v0, 0, v52
	v_cmp_eq_u64_e64 s[28:29], v[0:1], v[28:29]
	v_lshrrev_b64 v[0:1], v5, v[52:53]
	v_mov_b32_e32 v2, v1
	v_mov_b32_e32 v1, v0
	s_and_saveexec_b64 s[50:51], s[28:29]
; %bb.474:                              ;   in Loop: Header=BB6_354 Depth=4
	v_bfe_u32 v1, v0, 20, 1
	v_add_co_u32_e64 v1, s[28:29], v0, v1
	v_add_co_u32_e64 v1, s[28:29], -1, v1
; %bb.475:                              ;   in Loop: Header=BB6_354 Depth=4
	s_or_b64 exec, exec, s[50:51]
	v_add_u32_e32 v2, 0xffffff81, v4
	v_mov_b32_e32 v4, 0xffffff82
	v_cndmask_b32_e32 v2, v2, v4, vcc
	v_lshrrev_b32_e32 v4, 23, v0
	v_add3_u32 v5, v5, v2, v4
	v_add_u32_e32 v4, 6, v5
	v_and_b32_e32 v1, 0xfffff, v1
	v_add_u32_e32 v52, v1, v0
	v_cmp_ne_u32_e32 vcc, 0, v4
                                        ; implicit-def: $vgpr0_vgpr1
                                        ; implicit-def: $vgpr2
	s_and_saveexec_b64 s[28:29], vcc
	s_xor_b64 s[28:29], exec, s[28:29]
; %bb.476:                              ;   in Loop: Header=BB6_354 Depth=4
	v_cmp_lt_u64_e32 vcc, s[88:89], v[52:53]
	v_add_u32_e32 v0, 7, v5
	v_cndmask_b32_e32 v2, v4, v0, vcc
	v_cndmask_b32_e64 v0, 0, 1, vcc
	v_lshrrev_b64 v[0:1], v0, v[52:53]
; %bb.477:                              ;   in Loop: Header=BB6_354 Depth=4
	s_andn2_saveexec_b64 s[28:29], s[28:29]
; %bb.478:                              ;   in Loop: Header=BB6_354 Depth=4
	v_mov_b32_e32 v0, v52
	v_bfe_u32 v2, v52, 23, 1
	v_mov_b32_e32 v1, v53
; %bb.479:                              ;   in Loop: Header=BB6_354 Depth=4
	s_or_b64 exec, exec, s[28:29]
	v_lshrrev_b64 v[0:1], 20, v[0:1]
	v_cmp_gt_i32_e32 vcc, 16, v2
	v_cndmask_b32_e32 v1, 0, v1, vcc
	v_cndmask_b32_e32 v0, 7, v0, vcc
	v_cmp_eq_u64_e64 s[28:29], 0, v[0:1]
	v_min_i32_e32 v1, 15, v2
	v_lshlrev_b32_e32 v1, 3, v1
	v_cmp_eq_u32_e32 vcc, 0, v2
	v_and_b32_e32 v1, 0xf8, v1
	v_and_or_b32 v0, v0, 7, v1
	s_and_b64 s[28:29], vcc, s[28:29]
	v_cndmask_b32_e64 v0, v0, 0, s[28:29]
	v_or_b32_e32 v52, v0, v3
.LBB6_480:                              ;   in Loop: Header=BB6_354 Depth=4
	s_or_b64 exec, exec, s[48:49]
                                        ; implicit-def: $vgpr3
.LBB6_481:                              ;   in Loop: Header=BB6_354 Depth=4
	s_andn2_saveexec_b64 s[28:29], s[38:39]
; %bb.482:                              ;   in Loop: Header=BB6_354 Depth=4
	v_or_b32_e32 v52, 0x7e, v3
; %bb.483:                              ;   in Loop: Header=BB6_354 Depth=4
	s_or_b64 exec, exec, s[28:29]
                                        ; implicit-def: $vgpr1
.LBB6_484:                              ;   in Loop: Header=BB6_354 Depth=4
	s_andn2_saveexec_b64 s[28:29], s[40:41]
; %bb.485:                              ;   in Loop: Header=BB6_354 Depth=4
	v_or_b32_sdwa v52, v1, s83 dst_sel:DWORD dst_unused:UNUSED_PAD src0_sel:BYTE_3 src1_sel:DWORD
; %bb.486:                              ;   in Loop: Header=BB6_354 Depth=4
	s_or_b64 exec, exec, s[28:29]
	v_lshrrev_b32_e32 v2, 24, v48
	v_lshrrev_b32_e32 v0, 24, v36
	v_cmp_lt_u32_e64 s[28:29], s63, v48
	s_mov_b64 s[40:41], -1
	s_and_b64 vcc, exec, s[46:47]
                                        ; implicit-def: $vgpr1
	s_cbranch_vccz .LBB6_500
; %bb.487:                              ;   in Loop: Header=BB6_354 Depth=4
	v_mov_b32_e32 v3, 0
	v_mov_b32_e32 v1, 0
	s_and_saveexec_b64 s[40:41], s[28:29]
	s_cbranch_execz .LBB6_493
; %bb.488:                              ;   in Loop: Header=BB6_354 Depth=4
	v_cmp_ne_u32_e32 vcc, s82, v2
	v_bfrev_b32_e32 v1, 1
	s_and_saveexec_b64 s[38:39], vcc
	s_cbranch_execz .LBB6_492
; %bb.489:                              ;   in Loop: Header=BB6_354 Depth=4
	v_bfe_u32 v4, v48, 24, 7
	v_cmp_ne_u32_e32 vcc, s83, v4
	v_mov_b32_e32 v1, 0x7f800001
	s_and_saveexec_b64 s[48:49], vcc
	s_cbranch_execz .LBB6_491
; %bb.490:                              ;   in Loop: Header=BB6_354 Depth=4
	v_and_b32_e32 v1, 7, v2
	v_lshrrev_b32_e32 v28, 3, v4
	v_cmp_gt_u32_e32 vcc, 8, v4
	v_ffbh_u32_e32 v4, v1
	v_min_u32_e32 v29, 32, v4
	v_subrev_u32_e32 v4, 28, v29
	v_lshlrev_b64 v[4:5], v4, v[2:3]
	v_sub_u32_e32 v5, 29, v29
	v_and_b32_e32 v4, 7, v4
	v_cndmask_b32_e32 v5, v28, v5, vcc
	v_cndmask_b32_e32 v1, v1, v4, vcc
	v_lshlrev_b32_e32 v4, 24, v2
	v_bfrev_b32_e32 v28, 60
	v_lshlrev_b32_e32 v1, 20, v1
	v_and_b32_e32 v4, 0x80000000, v4
	v_lshl_add_u32 v5, v5, 23, v28
	v_or3_b32 v1, v4, v5, v1
.LBB6_491:                              ;   in Loop: Header=BB6_354 Depth=4
	s_or_b64 exec, exec, s[48:49]
.LBB6_492:                              ;   in Loop: Header=BB6_354 Depth=4
	s_or_b64 exec, exec, s[38:39]
.LBB6_493:                              ;   in Loop: Header=BB6_354 Depth=4
	s_or_b64 exec, exec, s[40:41]
	v_cmp_lt_u32_e32 vcc, s63, v36
	s_and_saveexec_b64 s[40:41], vcc
	s_cbranch_execz .LBB6_499
; %bb.494:                              ;   in Loop: Header=BB6_354 Depth=4
	v_cmp_ne_u32_e32 vcc, s82, v0
	v_bfrev_b32_e32 v3, 1
	s_and_saveexec_b64 s[38:39], vcc
	s_cbranch_execz .LBB6_498
; %bb.495:                              ;   in Loop: Header=BB6_354 Depth=4
	v_bfe_u32 v4, v36, 24, 7
	v_cmp_ne_u32_e32 vcc, s83, v4
	v_mov_b32_e32 v3, 0x7f800001
	s_and_saveexec_b64 s[48:49], vcc
	s_cbranch_execz .LBB6_497
; %bb.496:                              ;   in Loop: Header=BB6_354 Depth=4
	v_and_b32_e32 v5, 7, v0
	v_ffbh_u32_e32 v3, v5
	v_min_u32_e32 v29, 32, v3
	v_subrev_u32_e32 v3, 28, v29
	v_lshrrev_b32_e32 v28, 3, v4
	v_cmp_gt_u32_e32 vcc, 8, v4
	v_lshlrev_b64 v[3:4], v3, v[0:1]
	v_sub_u32_e32 v4, 29, v29
	v_and_b32_e32 v3, 7, v3
	v_cndmask_b32_e32 v4, v28, v4, vcc
	v_cndmask_b32_e32 v3, v5, v3, vcc
	v_lshlrev_b32_e32 v5, 24, v0
	v_bfrev_b32_e32 v28, 60
	v_lshlrev_b32_e32 v3, 20, v3
	v_and_b32_e32 v5, 0x80000000, v5
	v_lshl_add_u32 v4, v4, 23, v28
	v_or3_b32 v3, v5, v4, v3
.LBB6_497:                              ;   in Loop: Header=BB6_354 Depth=4
	s_or_b64 exec, exec, s[48:49]
.LBB6_498:                              ;   in Loop: Header=BB6_354 Depth=4
	s_or_b64 exec, exec, s[38:39]
.LBB6_499:                              ;   in Loop: Header=BB6_354 Depth=4
	s_or_b64 exec, exec, s[40:41]
	v_max_f32_e32 v3, v3, v3
	v_max_f32_e32 v1, v1, v1
	v_max_f32_e32 v1, v1, v3
	s_mov_b64 s[40:41], 0
.LBB6_500:                              ;   in Loop: Header=BB6_354 Depth=4
	s_and_b64 vcc, exec, s[40:41]
	s_cbranch_vccz .LBB6_514
; %bb.501:                              ;   in Loop: Header=BB6_354 Depth=4
	v_mov_b32_e32 v3, 0
	v_mov_b32_e32 v1, 0
	s_and_saveexec_b64 s[40:41], s[28:29]
	s_cbranch_execz .LBB6_507
; %bb.502:                              ;   in Loop: Header=BB6_354 Depth=4
	v_cmp_ne_u32_e32 vcc, s82, v2
	v_bfrev_b32_e32 v1, 1
	s_and_saveexec_b64 s[28:29], vcc
	s_cbranch_execz .LBB6_506
; %bb.503:                              ;   in Loop: Header=BB6_354 Depth=4
	v_bfe_u32 v4, v48, 24, 7
	v_cmp_ne_u32_e32 vcc, s83, v4
	v_mov_b32_e32 v1, 0x7f800001
	s_and_saveexec_b64 s[38:39], vcc
	s_cbranch_execz .LBB6_505
; %bb.504:                              ;   in Loop: Header=BB6_354 Depth=4
	v_and_b32_e32 v1, 7, v2
	v_lshrrev_b32_e32 v28, 3, v4
	v_cmp_gt_u32_e32 vcc, 8, v4
	v_ffbh_u32_e32 v4, v1
	v_min_u32_e32 v29, 32, v4
	v_subrev_u32_e32 v4, 28, v29
	v_lshlrev_b64 v[4:5], v4, v[2:3]
	v_sub_u32_e32 v5, 29, v29
	v_and_b32_e32 v4, 7, v4
	v_cndmask_b32_e32 v5, v28, v5, vcc
	v_cndmask_b32_e32 v1, v1, v4, vcc
	v_lshlrev_b32_e32 v2, 24, v2
	v_bfrev_b32_e32 v4, 60
	v_lshlrev_b32_e32 v1, 20, v1
	v_and_b32_e32 v2, 0x80000000, v2
	v_lshl_add_u32 v4, v5, 23, v4
	v_or3_b32 v1, v2, v4, v1
.LBB6_505:                              ;   in Loop: Header=BB6_354 Depth=4
	s_or_b64 exec, exec, s[38:39]
.LBB6_506:                              ;   in Loop: Header=BB6_354 Depth=4
	s_or_b64 exec, exec, s[28:29]
.LBB6_507:                              ;   in Loop: Header=BB6_354 Depth=4
	s_or_b64 exec, exec, s[40:41]
	v_cmp_lt_u32_e32 vcc, s63, v36
	s_and_saveexec_b64 s[28:29], vcc
	s_cbranch_execz .LBB6_513
; %bb.508:                              ;   in Loop: Header=BB6_354 Depth=4
	v_cmp_ne_u32_e32 vcc, s82, v0
	v_bfrev_b32_e32 v3, 1
	s_and_saveexec_b64 s[40:41], vcc
	s_cbranch_execz .LBB6_512
; %bb.509:                              ;   in Loop: Header=BB6_354 Depth=4
	v_bfe_u32 v2, v36, 24, 7
	v_cmp_ne_u32_e32 vcc, s83, v2
	v_mov_b32_e32 v3, 0x7f800001
	s_and_saveexec_b64 s[38:39], vcc
	s_cbranch_execz .LBB6_511
; %bb.510:                              ;   in Loop: Header=BB6_354 Depth=4
	v_and_b32_e32 v4, 7, v0
	v_lshrrev_b32_e32 v5, 3, v2
	v_cmp_gt_u32_e32 vcc, 8, v2
	v_ffbh_u32_e32 v2, v4
	v_min_u32_e32 v28, 32, v2
	v_subrev_u32_e32 v2, 28, v28
	v_lshlrev_b64 v[2:3], v2, v[0:1]
	v_sub_u32_e32 v3, 29, v28
	v_and_b32_e32 v2, 7, v2
	v_cndmask_b32_e32 v3, v5, v3, vcc
	v_cndmask_b32_e32 v2, v4, v2, vcc
	v_lshlrev_b32_e32 v0, 24, v0
	v_bfrev_b32_e32 v4, 60
	v_lshlrev_b32_e32 v2, 20, v2
	v_and_b32_e32 v0, 0x80000000, v0
	v_lshl_add_u32 v3, v3, 23, v4
	v_or3_b32 v3, v0, v3, v2
.LBB6_511:                              ;   in Loop: Header=BB6_354 Depth=4
	s_or_b64 exec, exec, s[38:39]
.LBB6_512:                              ;   in Loop: Header=BB6_354 Depth=4
	s_or_b64 exec, exec, s[40:41]
.LBB6_513:                              ;   in Loop: Header=BB6_354 Depth=4
	s_or_b64 exec, exec, s[28:29]
	v_max_f32_e32 v0, v3, v3
	v_max_f32_e32 v1, v1, v1
	v_min_f32_e32 v1, v1, v0
.LBB6_514:                              ;   in Loop: Header=BB6_354 Depth=4
	buffer_store_dword v52, off, s[0:3], s33 offset:108 ; 4-byte Folded Spill
	v_and_b32_e32 v52, 0x7f800000, v1
	v_cmp_ne_u64_e32 vcc, s[76:77], v[52:53]
                                        ; implicit-def: $vgpr40
	s_and_saveexec_b64 s[28:29], vcc
	s_xor_b64 s[40:41], exec, s[28:29]
	s_cbranch_execz .LBB6_528
; %bb.515:                              ;   in Loop: Header=BB6_354 Depth=4
	v_and_b32_e32 v52, 0x7fffffff, v1
	v_cmp_gt_u64_e32 vcc, s[78:79], v[52:53]
	v_and_b32_sdwa v3, v1, s82 dst_sel:DWORD dst_unused:UNUSED_PAD src0_sel:BYTE_3 src1_sel:DWORD
                                        ; implicit-def: $vgpr40
	s_and_saveexec_b64 s[28:29], vcc
	s_xor_b64 s[38:39], exec, s[28:29]
	s_cbranch_execz .LBB6_525
; %bb.516:                              ;   in Loop: Header=BB6_354 Depth=4
	v_mov_b32_e32 v40, 0
	v_cmp_ne_u32_e32 vcc, 0, v1
	s_and_saveexec_b64 s[48:49], vcc
	s_cbranch_execz .LBB6_524
; %bb.517:                              ;   in Loop: Header=BB6_354 Depth=4
	v_bfe_u32 v4, v1, 23, 8
	v_and_b32_e32 v0, 0x7fffff, v1
	v_cmp_gt_u32_e64 s[28:29], s85, v4
	v_sub_u32_e32 v1, 0x79, v4
	v_cmp_eq_u32_e32 vcc, 0, v4
	v_cndmask_b32_e64 v1, 0, v1, s[28:29]
	v_mov_b32_e32 v5, 0x78
	v_or_b32_e32 v2, 0x800000, v0
	v_cndmask_b32_e32 v5, v1, v5, vcc
	v_cndmask_b32_e32 v52, v2, v0, vcc
	v_add_u32_e32 v0, 20, v5
	v_lshlrev_b64 v[0:1], v0, -1
	v_add_u32_e32 v2, 19, v5
	v_lshlrev_b64 v[28:29], v2, 1
	v_bfi_b32 v1, v1, 0, 0
	v_bfi_b32 v0, v0, 0, v52
	v_cmp_eq_u64_e64 s[28:29], v[0:1], v[28:29]
	v_lshrrev_b64 v[0:1], v5, v[52:53]
	v_mov_b32_e32 v2, v1
	v_mov_b32_e32 v1, v0
	s_and_saveexec_b64 s[50:51], s[28:29]
; %bb.518:                              ;   in Loop: Header=BB6_354 Depth=4
	v_bfe_u32 v1, v0, 20, 1
	v_add_co_u32_e64 v1, s[28:29], v0, v1
	v_add_co_u32_e64 v1, s[28:29], -1, v1
; %bb.519:                              ;   in Loop: Header=BB6_354 Depth=4
	s_or_b64 exec, exec, s[50:51]
	v_add_u32_e32 v2, 0xffffff81, v4
	v_mov_b32_e32 v4, 0xffffff82
	v_cndmask_b32_e32 v2, v2, v4, vcc
	v_lshrrev_b32_e32 v4, 23, v0
	v_add3_u32 v5, v5, v2, v4
	v_add_u32_e32 v4, 6, v5
	v_and_b32_e32 v1, 0xfffff, v1
	v_add_u32_e32 v52, v1, v0
	v_cmp_ne_u32_e32 vcc, 0, v4
                                        ; implicit-def: $vgpr0_vgpr1
                                        ; implicit-def: $vgpr2
	s_and_saveexec_b64 s[28:29], vcc
	s_xor_b64 s[28:29], exec, s[28:29]
; %bb.520:                              ;   in Loop: Header=BB6_354 Depth=4
	v_cmp_lt_u64_e32 vcc, s[88:89], v[52:53]
	v_add_u32_e32 v0, 7, v5
	v_cndmask_b32_e32 v2, v4, v0, vcc
	v_cndmask_b32_e64 v0, 0, 1, vcc
	v_lshrrev_b64 v[0:1], v0, v[52:53]
; %bb.521:                              ;   in Loop: Header=BB6_354 Depth=4
	s_andn2_saveexec_b64 s[28:29], s[28:29]
; %bb.522:                              ;   in Loop: Header=BB6_354 Depth=4
	v_mov_b32_e32 v0, v52
	v_bfe_u32 v2, v52, 23, 1
	v_mov_b32_e32 v1, v53
; %bb.523:                              ;   in Loop: Header=BB6_354 Depth=4
	s_or_b64 exec, exec, s[28:29]
	v_lshrrev_b64 v[0:1], 20, v[0:1]
	v_cmp_gt_i32_e32 vcc, 16, v2
	v_cndmask_b32_e32 v1, 0, v1, vcc
	v_cndmask_b32_e32 v0, 7, v0, vcc
	v_cmp_eq_u64_e64 s[28:29], 0, v[0:1]
	v_min_i32_e32 v1, 15, v2
	v_lshlrev_b32_e32 v1, 3, v1
	v_cmp_eq_u32_e32 vcc, 0, v2
	v_and_b32_e32 v1, 0xf8, v1
	v_and_or_b32 v0, v0, 7, v1
	s_and_b64 s[28:29], vcc, s[28:29]
	v_cndmask_b32_e64 v0, v0, 0, s[28:29]
	v_or_b32_e32 v40, v0, v3
.LBB6_524:                              ;   in Loop: Header=BB6_354 Depth=4
	s_or_b64 exec, exec, s[48:49]
                                        ; implicit-def: $vgpr3
.LBB6_525:                              ;   in Loop: Header=BB6_354 Depth=4
	s_andn2_saveexec_b64 s[28:29], s[38:39]
; %bb.526:                              ;   in Loop: Header=BB6_354 Depth=4
	v_or_b32_e32 v40, 0x7e, v3
; %bb.527:                              ;   in Loop: Header=BB6_354 Depth=4
	s_or_b64 exec, exec, s[28:29]
                                        ; implicit-def: $vgpr1
.LBB6_528:                              ;   in Loop: Header=BB6_354 Depth=4
	s_andn2_saveexec_b64 s[28:29], s[40:41]
; %bb.529:                              ;   in Loop: Header=BB6_354 Depth=4
	v_or_b32_sdwa v40, v1, s83 dst_sel:DWORD dst_unused:UNUSED_PAD src0_sel:BYTE_3 src1_sel:DWORD
; %bb.530:                              ;   in Loop: Header=BB6_354 Depth=4
	s_or_b64 exec, exec, s[28:29]
	v_mov_b32_e32 v52, v49
	v_mov_b32_e32 v2, v37
	;; [unrolled: 1-line block ×3, first 2 shown]
	v_cmp_ne_u16_sdwa s[28:29], v49, v53 src0_sel:BYTE_0 src1_sel:DWORD
	s_mov_b64 s[40:41], -1
	s_and_b64 vcc, exec, s[46:47]
                                        ; implicit-def: $vgpr0
	s_cbranch_vccz .LBB6_544
; %bb.531:                              ;   in Loop: Header=BB6_354 Depth=4
	v_mov_b32_e32 v1, 0
	v_mov_b32_e32 v0, 0
	s_and_saveexec_b64 s[40:41], s[28:29]
	s_cbranch_execz .LBB6_537
; %bb.532:                              ;   in Loop: Header=BB6_354 Depth=4
	v_cmp_ne_u16_sdwa vcc, v49, s82 src0_sel:BYTE_0 src1_sel:DWORD
	v_bfrev_b32_e32 v0, 1
	s_and_saveexec_b64 s[38:39], vcc
	s_cbranch_execz .LBB6_536
; %bb.533:                              ;   in Loop: Header=BB6_354 Depth=4
	v_and_b32_e32 v4, 0x7f, v49
	v_cmp_ne_u32_e32 vcc, s83, v4
	v_mov_b32_e32 v0, 0x7f800001
	s_and_saveexec_b64 s[48:49], vcc
	s_cbranch_execz .LBB6_535
; %bb.534:                              ;   in Loop: Header=BB6_354 Depth=4
	v_and_b32_e32 v0, 7, v49
	v_ffbh_u32_e32 v0, v0
	v_min_u32_e32 v0, 32, v0
	v_lshrrev_b32_e32 v5, 3, v4
	v_cmp_gt_u32_e32 vcc, 8, v4
	v_subrev_u32_e32 v4, 28, v0
	v_sub_u32_e32 v0, 29, v0
	v_cndmask_b32_e32 v4, 0, v4, vcc
	v_cndmask_b32_e32 v0, v5, v0, vcc
	v_lshlrev_b64 v[4:5], v4, v[52:53]
	v_lshlrev_b32_e32 v5, 24, v52
	v_lshlrev_b32_e32 v4, 20, v4
	v_bfrev_b32_e32 v28, 60
	v_and_b32_e32 v4, 0x700000, v4
	v_and_b32_e32 v5, 0x80000000, v5
	v_lshl_add_u32 v0, v0, 23, v28
	v_or3_b32 v0, v5, v0, v4
.LBB6_535:                              ;   in Loop: Header=BB6_354 Depth=4
	s_or_b64 exec, exec, s[48:49]
.LBB6_536:                              ;   in Loop: Header=BB6_354 Depth=4
	s_or_b64 exec, exec, s[38:39]
.LBB6_537:                              ;   in Loop: Header=BB6_354 Depth=4
	s_or_b64 exec, exec, s[40:41]
	v_cmp_ne_u16_sdwa vcc, v37, v53 src0_sel:BYTE_0 src1_sel:DWORD
	s_and_saveexec_b64 s[40:41], vcc
	s_cbranch_execz .LBB6_543
; %bb.538:                              ;   in Loop: Header=BB6_354 Depth=4
	v_cmp_ne_u16_sdwa vcc, v37, s82 src0_sel:BYTE_0 src1_sel:DWORD
	v_bfrev_b32_e32 v1, 1
	s_and_saveexec_b64 s[38:39], vcc
	s_cbranch_execz .LBB6_542
; %bb.539:                              ;   in Loop: Header=BB6_354 Depth=4
	v_and_b32_e32 v4, 0x7f, v37
	v_cmp_ne_u32_e32 vcc, s83, v4
	v_mov_b32_e32 v1, 0x7f800001
	s_and_saveexec_b64 s[48:49], vcc
	s_cbranch_execz .LBB6_541
; %bb.540:                              ;   in Loop: Header=BB6_354 Depth=4
	v_and_b32_e32 v1, 7, v37
	v_ffbh_u32_e32 v1, v1
	v_min_u32_e32 v1, 32, v1
	v_lshrrev_b32_e32 v5, 3, v4
	v_cmp_gt_u32_e32 vcc, 8, v4
	v_subrev_u32_e32 v4, 28, v1
	v_sub_u32_e32 v1, 29, v1
	v_cndmask_b32_e32 v4, 0, v4, vcc
	v_cndmask_b32_e32 v1, v5, v1, vcc
	v_lshlrev_b64 v[4:5], v4, v[2:3]
	v_lshlrev_b32_e32 v5, 24, v2
	v_lshlrev_b32_e32 v4, 20, v4
	v_bfrev_b32_e32 v28, 60
	v_and_b32_e32 v4, 0x700000, v4
	v_and_b32_e32 v5, 0x80000000, v5
	v_lshl_add_u32 v1, v1, 23, v28
	v_or3_b32 v1, v5, v1, v4
.LBB6_541:                              ;   in Loop: Header=BB6_354 Depth=4
	s_or_b64 exec, exec, s[48:49]
.LBB6_542:                              ;   in Loop: Header=BB6_354 Depth=4
	s_or_b64 exec, exec, s[38:39]
.LBB6_543:                              ;   in Loop: Header=BB6_354 Depth=4
	s_or_b64 exec, exec, s[40:41]
	v_max_f32_e32 v1, v1, v1
	v_max_f32_e32 v0, v0, v0
	;; [unrolled: 1-line block ×3, first 2 shown]
	s_mov_b64 s[40:41], 0
.LBB6_544:                              ;   in Loop: Header=BB6_354 Depth=4
	s_and_b64 vcc, exec, s[40:41]
	s_cbranch_vccz .LBB6_558
; %bb.545:                              ;   in Loop: Header=BB6_354 Depth=4
	v_mov_b32_e32 v1, 0
	v_mov_b32_e32 v0, 0
	s_and_saveexec_b64 s[40:41], s[28:29]
	s_cbranch_execz .LBB6_551
; %bb.546:                              ;   in Loop: Header=BB6_354 Depth=4
	v_cmp_ne_u16_sdwa vcc, v49, s82 src0_sel:BYTE_0 src1_sel:DWORD
	v_bfrev_b32_e32 v0, 1
	s_and_saveexec_b64 s[28:29], vcc
	s_cbranch_execz .LBB6_550
; %bb.547:                              ;   in Loop: Header=BB6_354 Depth=4
	v_and_b32_e32 v4, 0x7f, v49
	v_cmp_ne_u32_e32 vcc, s83, v4
	v_mov_b32_e32 v0, 0x7f800001
	s_and_saveexec_b64 s[38:39], vcc
	s_cbranch_execz .LBB6_549
; %bb.548:                              ;   in Loop: Header=BB6_354 Depth=4
	v_and_b32_e32 v0, 7, v49
	v_ffbh_u32_e32 v0, v0
	v_min_u32_e32 v0, 32, v0
	v_lshrrev_b32_e32 v5, 3, v4
	v_cmp_gt_u32_e32 vcc, 8, v4
	v_subrev_u32_e32 v4, 28, v0
	v_sub_u32_e32 v0, 29, v0
	v_cndmask_b32_e32 v4, 0, v4, vcc
	v_cndmask_b32_e32 v0, v5, v0, vcc
	v_lshlrev_b64 v[4:5], v4, v[52:53]
	v_lshlrev_b32_e32 v5, 24, v52
	v_lshlrev_b32_e32 v4, 20, v4
	v_bfrev_b32_e32 v28, 60
	v_and_b32_e32 v4, 0x700000, v4
	v_and_b32_e32 v5, 0x80000000, v5
	v_lshl_add_u32 v0, v0, 23, v28
	v_or3_b32 v0, v5, v0, v4
.LBB6_549:                              ;   in Loop: Header=BB6_354 Depth=4
	s_or_b64 exec, exec, s[38:39]
.LBB6_550:                              ;   in Loop: Header=BB6_354 Depth=4
	s_or_b64 exec, exec, s[28:29]
.LBB6_551:                              ;   in Loop: Header=BB6_354 Depth=4
	s_or_b64 exec, exec, s[40:41]
	v_cmp_ne_u16_sdwa s[40:41], v37, v53 src0_sel:BYTE_0 src1_sel:DWORD
	s_and_saveexec_b64 s[28:29], s[40:41]
	s_cbranch_execz .LBB6_557
; %bb.552:                              ;   in Loop: Header=BB6_354 Depth=4
	v_cmp_ne_u16_sdwa vcc, v37, s82 src0_sel:BYTE_0 src1_sel:DWORD
	v_bfrev_b32_e32 v1, 1
	s_and_saveexec_b64 s[40:41], vcc
	s_cbranch_execz .LBB6_556
; %bb.553:                              ;   in Loop: Header=BB6_354 Depth=4
	v_and_b32_e32 v4, 0x7f, v37
	v_cmp_ne_u32_e32 vcc, s83, v4
	v_mov_b32_e32 v1, 0x7f800001
	s_and_saveexec_b64 s[38:39], vcc
	s_cbranch_execz .LBB6_555
; %bb.554:                              ;   in Loop: Header=BB6_354 Depth=4
	v_and_b32_e32 v1, 7, v37
	v_ffbh_u32_e32 v1, v1
	v_min_u32_e32 v1, 32, v1
	v_lshrrev_b32_e32 v5, 3, v4
	v_cmp_gt_u32_e32 vcc, 8, v4
	v_subrev_u32_e32 v4, 28, v1
	v_cndmask_b32_e32 v4, 0, v4, vcc
	v_lshlrev_b64 v[3:4], v4, v[2:3]
	v_sub_u32_e32 v1, 29, v1
	v_cndmask_b32_e32 v1, v5, v1, vcc
	v_lshlrev_b32_e32 v3, 20, v3
	v_lshlrev_b32_e32 v4, 24, v2
	v_bfrev_b32_e32 v5, 60
	v_and_b32_e32 v3, 0x700000, v3
	v_and_b32_e32 v4, 0x80000000, v4
	v_lshl_add_u32 v1, v1, 23, v5
	v_or3_b32 v1, v4, v1, v3
.LBB6_555:                              ;   in Loop: Header=BB6_354 Depth=4
	s_or_b64 exec, exec, s[38:39]
.LBB6_556:                              ;   in Loop: Header=BB6_354 Depth=4
	s_or_b64 exec, exec, s[40:41]
.LBB6_557:                              ;   in Loop: Header=BB6_354 Depth=4
	s_or_b64 exec, exec, s[28:29]
	v_max_f32_e32 v1, v1, v1
	v_max_f32_e32 v0, v0, v0
	v_min_f32_e32 v0, v0, v1
.LBB6_558:                              ;   in Loop: Header=BB6_354 Depth=4
	v_and_b32_e32 v3, 0x7f800000, v0
	v_mov_b32_e32 v4, v53
	v_cmp_ne_u64_e32 vcc, s[76:77], v[3:4]
                                        ; implicit-def: $vgpr55
	s_and_saveexec_b64 s[28:29], vcc
	s_xor_b64 s[40:41], exec, s[28:29]
	s_cbranch_execz .LBB6_572
; %bb.559:                              ;   in Loop: Header=BB6_354 Depth=4
	v_and_b32_e32 v3, 0x7fffffff, v0
	v_mov_b32_e32 v4, v53
	v_cmp_gt_u64_e32 vcc, s[78:79], v[3:4]
	v_and_b32_sdwa v3, v0, s82 dst_sel:DWORD dst_unused:UNUSED_PAD src0_sel:BYTE_3 src1_sel:DWORD
                                        ; implicit-def: $vgpr55
	s_and_saveexec_b64 s[28:29], vcc
	s_xor_b64 s[38:39], exec, s[28:29]
	s_cbranch_execz .LBB6_569
; %bb.560:                              ;   in Loop: Header=BB6_354 Depth=4
	v_mov_b32_e32 v55, 0
	v_cmp_ne_u32_e32 vcc, 0, v0
	s_and_saveexec_b64 s[48:49], vcc
	s_cbranch_execz .LBB6_568
; %bb.561:                              ;   in Loop: Header=BB6_354 Depth=4
	v_bfe_u32 v4, v0, 23, 8
	v_and_b32_e32 v1, 0x7fffff, v0
	v_cmp_gt_u32_e64 s[28:29], s85, v4
	v_sub_u32_e32 v0, 0x79, v4
	v_cmp_eq_u32_e32 vcc, 0, v4
	v_cndmask_b32_e64 v0, 0, v0, s[28:29]
	v_mov_b32_e32 v5, 0x78
	v_or_b32_e32 v28, 0x800000, v1
	v_cndmask_b32_e32 v5, v0, v5, vcc
	v_cndmask_b32_e32 v0, v28, v1, vcc
	v_add_u32_e32 v28, 20, v5
	v_lshlrev_b64 v[28:29], v28, -1
	v_mov_b32_e32 v1, v53
	v_add_u32_e32 v54, 19, v5
	v_bfi_b32 v28, v28, 0, v0
	v_lshlrev_b64 v[54:55], v54, 1
	v_lshrrev_b64 v[0:1], v5, v[0:1]
	v_bfi_b32 v29, v29, 0, 0
	v_cmp_eq_u64_e64 s[28:29], v[28:29], v[54:55]
	v_mov_b32_e32 v29, v1
	v_mov_b32_e32 v28, v0
	s_and_saveexec_b64 s[50:51], s[28:29]
; %bb.562:                              ;   in Loop: Header=BB6_354 Depth=4
	v_bfe_u32 v1, v0, 20, 1
	v_add_co_u32_e64 v1, s[28:29], v0, v1
	v_add_co_u32_e64 v28, s[28:29], -1, v1
; %bb.563:                              ;   in Loop: Header=BB6_354 Depth=4
	s_or_b64 exec, exec, s[50:51]
	v_add_u32_e32 v1, 0xffffff81, v4
	v_mov_b32_e32 v4, 0xffffff82
	v_cndmask_b32_e32 v1, v1, v4, vcc
	v_lshrrev_b32_e32 v4, 23, v0
	v_add3_u32 v29, v5, v1, v4
	v_add_u32_e32 v5, 6, v29
	v_and_b32_e32 v1, 0xfffff, v28
	v_add_u32_e32 v0, v1, v0
	v_mov_b32_e32 v1, v53
	v_cmp_ne_u32_e32 vcc, 0, v5
                                        ; implicit-def: $vgpr4
	s_and_saveexec_b64 s[28:29], vcc
	s_xor_b64 s[28:29], exec, s[28:29]
; %bb.564:                              ;   in Loop: Header=BB6_354 Depth=4
	v_cmp_lt_u64_e32 vcc, s[88:89], v[0:1]
	v_add_u32_e32 v4, 7, v29
	v_cndmask_b32_e32 v4, v5, v4, vcc
	v_cndmask_b32_e64 v5, 0, 1, vcc
	v_lshrrev_b64 v[0:1], v5, v[0:1]
; %bb.565:                              ;   in Loop: Header=BB6_354 Depth=4
	s_andn2_saveexec_b64 s[28:29], s[28:29]
; %bb.566:                              ;   in Loop: Header=BB6_354 Depth=4
	v_bfe_u32 v4, v0, 23, 1
; %bb.567:                              ;   in Loop: Header=BB6_354 Depth=4
	s_or_b64 exec, exec, s[28:29]
	v_lshrrev_b64 v[0:1], 20, v[0:1]
	v_cmp_gt_i32_e32 vcc, 16, v4
	v_cndmask_b32_e32 v1, 0, v1, vcc
	v_cndmask_b32_e32 v0, 7, v0, vcc
	v_cmp_eq_u64_e64 s[28:29], 0, v[0:1]
	v_min_i32_e32 v1, 15, v4
	v_lshlrev_b32_e32 v1, 3, v1
	v_cmp_eq_u32_e32 vcc, 0, v4
	v_and_b32_e32 v1, 0xf8, v1
	v_and_or_b32 v0, v0, 7, v1
	s_and_b64 s[28:29], vcc, s[28:29]
	v_cndmask_b32_e64 v0, v0, 0, s[28:29]
	v_or_b32_e32 v55, v0, v3
.LBB6_568:                              ;   in Loop: Header=BB6_354 Depth=4
	s_or_b64 exec, exec, s[48:49]
                                        ; implicit-def: $vgpr3
.LBB6_569:                              ;   in Loop: Header=BB6_354 Depth=4
	s_andn2_saveexec_b64 s[28:29], s[38:39]
; %bb.570:                              ;   in Loop: Header=BB6_354 Depth=4
	v_or_b32_e32 v55, 0x7e, v3
; %bb.571:                              ;   in Loop: Header=BB6_354 Depth=4
	s_or_b64 exec, exec, s[28:29]
                                        ; implicit-def: $vgpr0
.LBB6_572:                              ;   in Loop: Header=BB6_354 Depth=4
	s_andn2_saveexec_b64 s[28:29], s[40:41]
; %bb.573:                              ;   in Loop: Header=BB6_354 Depth=4
	v_or_b32_sdwa v55, v0, s83 dst_sel:DWORD dst_unused:UNUSED_PAD src0_sel:BYTE_3 src1_sel:DWORD
; %bb.574:                              ;   in Loop: Header=BB6_354 Depth=4
	s_or_b64 exec, exec, s[28:29]
	v_lshrrev_b16_e32 v5, 8, v52
	v_lshrrev_b16_e32 v3, 8, v2
	v_cmp_ne_u16_e64 s[28:29], 0, v5
	s_mov_b64 s[40:41], -1
	s_and_b64 vcc, exec, s[46:47]
                                        ; implicit-def: $vgpr0
	s_cbranch_vccz .LBB6_588
; %bb.575:                              ;   in Loop: Header=BB6_354 Depth=4
	v_mov_b32_e32 v1, 0
	v_mov_b32_e32 v0, 0
	s_and_saveexec_b64 s[40:41], s[28:29]
	s_cbranch_execz .LBB6_581
; %bb.576:                              ;   in Loop: Header=BB6_354 Depth=4
	v_cmp_ne_u16_e32 vcc, s82, v5
	v_bfrev_b32_e32 v0, 1
	s_and_saveexec_b64 s[38:39], vcc
	s_cbranch_execz .LBB6_580
; %bb.577:                              ;   in Loop: Header=BB6_354 Depth=4
	v_and_b32_e32 v4, 0x7f, v5
	v_cmp_ne_u32_e32 vcc, s83, v4
	v_mov_b32_e32 v0, 0x7f800001
	s_and_saveexec_b64 s[48:49], vcc
	s_cbranch_execz .LBB6_579
; %bb.578:                              ;   in Loop: Header=BB6_354 Depth=4
	v_and_b32_e32 v0, 7, v5
	v_lshrrev_b32_e32 v54, 3, v4
	v_cmp_gt_u32_e32 vcc, 8, v4
	v_ffbh_u32_e32 v4, v0
	v_min_u32_e32 v4, 32, v4
	v_subrev_u32_e32 v28, 28, v4
	v_lshlrev_b64 v[28:29], v28, v[5:6]
	v_sub_u32_e32 v4, 29, v4
	v_and_b32_e32 v28, 7, v28
	v_cndmask_b32_e32 v4, v54, v4, vcc
	v_cndmask_b32_e32 v0, v0, v28, vcc
	v_lshlrev_b32_e32 v28, 16, v52
	v_bfrev_b32_e32 v29, 60
	v_lshlrev_b32_e32 v0, 20, v0
	v_and_b32_e32 v28, 0x80000000, v28
	v_lshl_add_u32 v4, v4, 23, v29
	v_or3_b32 v0, v28, v4, v0
.LBB6_579:                              ;   in Loop: Header=BB6_354 Depth=4
	s_or_b64 exec, exec, s[48:49]
.LBB6_580:                              ;   in Loop: Header=BB6_354 Depth=4
	s_or_b64 exec, exec, s[38:39]
.LBB6_581:                              ;   in Loop: Header=BB6_354 Depth=4
	s_or_b64 exec, exec, s[40:41]
	v_cmp_ne_u16_e32 vcc, 0, v3
	s_and_saveexec_b64 s[40:41], vcc
	s_cbranch_execz .LBB6_587
; %bb.582:                              ;   in Loop: Header=BB6_354 Depth=4
	v_cmp_ne_u16_e32 vcc, s82, v3
	v_bfrev_b32_e32 v1, 1
	s_and_saveexec_b64 s[38:39], vcc
	s_cbranch_execz .LBB6_586
; %bb.583:                              ;   in Loop: Header=BB6_354 Depth=4
	v_and_b32_e32 v4, 0x7f, v3
	v_cmp_ne_u32_e32 vcc, s83, v4
	v_mov_b32_e32 v1, 0x7f800001
	s_and_saveexec_b64 s[48:49], vcc
	s_cbranch_execz .LBB6_585
; %bb.584:                              ;   in Loop: Header=BB6_354 Depth=4
	v_and_b32_e32 v1, 7, v3
	v_lshrrev_b32_e32 v54, 3, v4
	v_cmp_gt_u32_e32 vcc, 8, v4
	v_ffbh_u32_e32 v4, v1
	v_min_u32_e32 v4, 32, v4
	v_subrev_u32_e32 v28, 28, v4
	v_lshlrev_b64 v[28:29], v28, v[3:4]
	v_sub_u32_e32 v4, 29, v4
	v_and_b32_e32 v28, 7, v28
	v_cndmask_b32_e32 v4, v54, v4, vcc
	v_cndmask_b32_e32 v1, v1, v28, vcc
	v_lshlrev_b32_e32 v28, 16, v2
	v_bfrev_b32_e32 v29, 60
	v_lshlrev_b32_e32 v1, 20, v1
	v_and_b32_e32 v28, 0x80000000, v28
	v_lshl_add_u32 v4, v4, 23, v29
	v_or3_b32 v1, v28, v4, v1
.LBB6_585:                              ;   in Loop: Header=BB6_354 Depth=4
	s_or_b64 exec, exec, s[48:49]
.LBB6_586:                              ;   in Loop: Header=BB6_354 Depth=4
	s_or_b64 exec, exec, s[38:39]
.LBB6_587:                              ;   in Loop: Header=BB6_354 Depth=4
	s_or_b64 exec, exec, s[40:41]
	v_max_f32_e32 v1, v1, v1
	v_max_f32_e32 v0, v0, v0
	;; [unrolled: 1-line block ×3, first 2 shown]
	s_mov_b64 s[40:41], 0
.LBB6_588:                              ;   in Loop: Header=BB6_354 Depth=4
	s_and_b64 vcc, exec, s[40:41]
	s_cbranch_vccz .LBB6_602
; %bb.589:                              ;   in Loop: Header=BB6_354 Depth=4
	v_mov_b32_e32 v1, 0
	v_mov_b32_e32 v0, 0
	s_and_saveexec_b64 s[40:41], s[28:29]
	s_cbranch_execz .LBB6_595
; %bb.590:                              ;   in Loop: Header=BB6_354 Depth=4
	v_cmp_ne_u16_e32 vcc, s82, v5
	v_bfrev_b32_e32 v0, 1
	s_and_saveexec_b64 s[28:29], vcc
	s_cbranch_execz .LBB6_594
; %bb.591:                              ;   in Loop: Header=BB6_354 Depth=4
	v_and_b32_e32 v4, 0x7f, v5
	v_cmp_ne_u32_e32 vcc, s83, v4
	v_mov_b32_e32 v0, 0x7f800001
	s_and_saveexec_b64 s[38:39], vcc
	s_cbranch_execz .LBB6_593
; %bb.592:                              ;   in Loop: Header=BB6_354 Depth=4
	v_and_b32_e32 v0, 7, v5
	v_lshrrev_b32_e32 v28, 3, v4
	v_cmp_gt_u32_e32 vcc, 8, v4
	v_ffbh_u32_e32 v4, v0
	v_min_u32_e32 v29, 32, v4
	v_subrev_u32_e32 v4, 28, v29
	v_lshlrev_b64 v[4:5], v4, v[5:6]
	v_sub_u32_e32 v5, 29, v29
	v_and_b32_e32 v4, 7, v4
	v_cndmask_b32_e32 v5, v28, v5, vcc
	v_cndmask_b32_e32 v0, v0, v4, vcc
	v_lshlrev_b32_e32 v4, 16, v52
	v_bfrev_b32_e32 v28, 60
	v_lshlrev_b32_e32 v0, 20, v0
	v_and_b32_e32 v4, 0x80000000, v4
	v_lshl_add_u32 v5, v5, 23, v28
	v_or3_b32 v0, v4, v5, v0
.LBB6_593:                              ;   in Loop: Header=BB6_354 Depth=4
	s_or_b64 exec, exec, s[38:39]
.LBB6_594:                              ;   in Loop: Header=BB6_354 Depth=4
	s_or_b64 exec, exec, s[28:29]
.LBB6_595:                              ;   in Loop: Header=BB6_354 Depth=4
	s_or_b64 exec, exec, s[40:41]
	v_cmp_ne_u16_e32 vcc, 0, v3
	s_and_saveexec_b64 s[28:29], vcc
	s_cbranch_execz .LBB6_601
; %bb.596:                              ;   in Loop: Header=BB6_354 Depth=4
	v_cmp_ne_u16_e32 vcc, s82, v3
	v_bfrev_b32_e32 v1, 1
	s_and_saveexec_b64 s[40:41], vcc
	s_cbranch_execz .LBB6_600
; %bb.597:                              ;   in Loop: Header=BB6_354 Depth=4
	v_and_b32_e32 v4, 0x7f, v3
	v_cmp_ne_u32_e32 vcc, s83, v4
	v_mov_b32_e32 v1, 0x7f800001
	s_and_saveexec_b64 s[38:39], vcc
	s_cbranch_execz .LBB6_599
; %bb.598:                              ;   in Loop: Header=BB6_354 Depth=4
	v_and_b32_e32 v1, 7, v3
	v_lshrrev_b32_e32 v5, 3, v4
	v_cmp_gt_u32_e32 vcc, 8, v4
	v_ffbh_u32_e32 v4, v1
	v_min_u32_e32 v28, 32, v4
	v_subrev_u32_e32 v4, 28, v28
	v_lshlrev_b64 v[3:4], v4, v[3:4]
	v_sub_u32_e32 v4, 29, v28
	v_and_b32_e32 v3, 7, v3
	v_cndmask_b32_e32 v4, v5, v4, vcc
	v_cndmask_b32_e32 v1, v1, v3, vcc
	v_lshlrev_b32_e32 v2, 16, v2
	v_bfrev_b32_e32 v3, 60
	v_lshlrev_b32_e32 v1, 20, v1
	v_and_b32_e32 v2, 0x80000000, v2
	v_lshl_add_u32 v3, v4, 23, v3
	v_or3_b32 v1, v2, v3, v1
.LBB6_599:                              ;   in Loop: Header=BB6_354 Depth=4
	s_or_b64 exec, exec, s[38:39]
.LBB6_600:                              ;   in Loop: Header=BB6_354 Depth=4
	s_or_b64 exec, exec, s[40:41]
.LBB6_601:                              ;   in Loop: Header=BB6_354 Depth=4
	s_or_b64 exec, exec, s[28:29]
	v_max_f32_e32 v1, v1, v1
	v_max_f32_e32 v0, v0, v0
	v_min_f32_e32 v0, v0, v1
.LBB6_602:                              ;   in Loop: Header=BB6_354 Depth=4
	v_and_b32_e32 v52, 0x7f800000, v0
	v_cmp_ne_u64_e32 vcc, s[76:77], v[52:53]
                                        ; implicit-def: $vgpr52
	s_and_saveexec_b64 s[28:29], vcc
	s_xor_b64 s[40:41], exec, s[28:29]
	s_cbranch_execz .LBB6_616
; %bb.603:                              ;   in Loop: Header=BB6_354 Depth=4
	v_and_b32_e32 v52, 0x7fffffff, v0
	v_cmp_gt_u64_e32 vcc, s[78:79], v[52:53]
	v_and_b32_sdwa v3, v0, s82 dst_sel:DWORD dst_unused:UNUSED_PAD src0_sel:BYTE_3 src1_sel:DWORD
                                        ; implicit-def: $vgpr52
	s_and_saveexec_b64 s[28:29], vcc
	s_xor_b64 s[38:39], exec, s[28:29]
	s_cbranch_execz .LBB6_613
; %bb.604:                              ;   in Loop: Header=BB6_354 Depth=4
	v_mov_b32_e32 v52, 0
	v_cmp_ne_u32_e32 vcc, 0, v0
	s_and_saveexec_b64 s[48:49], vcc
	s_cbranch_execz .LBB6_612
; %bb.605:                              ;   in Loop: Header=BB6_354 Depth=4
	v_bfe_u32 v4, v0, 23, 8
	v_and_b32_e32 v1, 0x7fffff, v0
	v_cmp_gt_u32_e64 s[28:29], s85, v4
	v_sub_u32_e32 v0, 0x79, v4
	v_cmp_eq_u32_e32 vcc, 0, v4
	v_cndmask_b32_e64 v0, 0, v0, s[28:29]
	v_mov_b32_e32 v5, 0x78
	v_cndmask_b32_e32 v5, v0, v5, vcc
	v_or_b32_e32 v2, 0x800000, v1
	v_add_u32_e32 v0, 20, v5
	v_cndmask_b32_e32 v52, v2, v1, vcc
	v_lshlrev_b64 v[0:1], v0, -1
	v_add_u32_e32 v2, 19, v5
	v_lshlrev_b64 v[28:29], v2, 1
	v_bfi_b32 v1, v1, 0, 0
	v_bfi_b32 v0, v0, 0, v52
	v_cmp_eq_u64_e64 s[28:29], v[0:1], v[28:29]
	v_lshrrev_b64 v[0:1], v5, v[52:53]
	v_mov_b32_e32 v2, v1
	v_mov_b32_e32 v1, v0
	s_and_saveexec_b64 s[50:51], s[28:29]
; %bb.606:                              ;   in Loop: Header=BB6_354 Depth=4
	v_bfe_u32 v1, v0, 20, 1
	v_add_co_u32_e64 v1, s[28:29], v0, v1
	v_add_co_u32_e64 v1, s[28:29], -1, v1
; %bb.607:                              ;   in Loop: Header=BB6_354 Depth=4
	s_or_b64 exec, exec, s[50:51]
	v_add_u32_e32 v2, 0xffffff81, v4
	v_mov_b32_e32 v4, 0xffffff82
	v_cndmask_b32_e32 v2, v2, v4, vcc
	v_lshrrev_b32_e32 v4, 23, v0
	v_add3_u32 v5, v5, v2, v4
	v_add_u32_e32 v4, 6, v5
	v_and_b32_e32 v1, 0xfffff, v1
	v_add_u32_e32 v52, v1, v0
	v_cmp_ne_u32_e32 vcc, 0, v4
                                        ; implicit-def: $vgpr0_vgpr1
                                        ; implicit-def: $vgpr2
	s_and_saveexec_b64 s[28:29], vcc
	s_xor_b64 s[28:29], exec, s[28:29]
; %bb.608:                              ;   in Loop: Header=BB6_354 Depth=4
	v_cmp_lt_u64_e32 vcc, s[88:89], v[52:53]
	v_add_u32_e32 v0, 7, v5
	v_cndmask_b32_e32 v2, v4, v0, vcc
	v_cndmask_b32_e64 v0, 0, 1, vcc
	v_lshrrev_b64 v[0:1], v0, v[52:53]
; %bb.609:                              ;   in Loop: Header=BB6_354 Depth=4
	s_andn2_saveexec_b64 s[28:29], s[28:29]
; %bb.610:                              ;   in Loop: Header=BB6_354 Depth=4
	v_mov_b32_e32 v0, v52
	v_bfe_u32 v2, v52, 23, 1
	v_mov_b32_e32 v1, v53
; %bb.611:                              ;   in Loop: Header=BB6_354 Depth=4
	s_or_b64 exec, exec, s[28:29]
	v_lshrrev_b64 v[0:1], 20, v[0:1]
	v_cmp_gt_i32_e32 vcc, 16, v2
	v_cndmask_b32_e32 v1, 0, v1, vcc
	v_cndmask_b32_e32 v0, 7, v0, vcc
	v_cmp_eq_u64_e64 s[28:29], 0, v[0:1]
	v_min_i32_e32 v1, 15, v2
	v_lshlrev_b32_e32 v1, 3, v1
	v_cmp_eq_u32_e32 vcc, 0, v2
	v_and_b32_e32 v1, 0xf8, v1
	v_and_or_b32 v0, v0, 7, v1
	s_and_b64 s[28:29], vcc, s[28:29]
	v_cndmask_b32_e64 v0, v0, 0, s[28:29]
	v_or_b32_e32 v52, v0, v3
.LBB6_612:                              ;   in Loop: Header=BB6_354 Depth=4
	s_or_b64 exec, exec, s[48:49]
                                        ; implicit-def: $vgpr3
.LBB6_613:                              ;   in Loop: Header=BB6_354 Depth=4
	s_andn2_saveexec_b64 s[28:29], s[38:39]
; %bb.614:                              ;   in Loop: Header=BB6_354 Depth=4
	v_or_b32_e32 v52, 0x7e, v3
; %bb.615:                              ;   in Loop: Header=BB6_354 Depth=4
	s_or_b64 exec, exec, s[28:29]
                                        ; implicit-def: $vgpr0
.LBB6_616:                              ;   in Loop: Header=BB6_354 Depth=4
	s_andn2_saveexec_b64 s[28:29], s[40:41]
; %bb.617:                              ;   in Loop: Header=BB6_354 Depth=4
	v_or_b32_sdwa v52, v0, s83 dst_sel:DWORD dst_unused:UNUSED_PAD src0_sel:BYTE_3 src1_sel:DWORD
; %bb.618:                              ;   in Loop: Header=BB6_354 Depth=4
	s_or_b64 exec, exec, s[28:29]
	v_lshrrev_b32_e32 v2, 16, v49
	v_lshrrev_b32_e32 v0, 16, v37
	v_cmp_ne_u16_sdwa s[28:29], v2, v53 src0_sel:BYTE_0 src1_sel:DWORD
	s_mov_b64 s[40:41], -1
	s_and_b64 vcc, exec, s[46:47]
                                        ; implicit-def: $vgpr1
	s_cbranch_vccz .LBB6_632
; %bb.619:                              ;   in Loop: Header=BB6_354 Depth=4
	v_mov_b32_e32 v3, 0
	v_mov_b32_e32 v1, 0
	s_and_saveexec_b64 s[40:41], s[28:29]
	s_cbranch_execz .LBB6_625
; %bb.620:                              ;   in Loop: Header=BB6_354 Depth=4
	v_cmp_ne_u16_sdwa vcc, v2, s82 src0_sel:BYTE_0 src1_sel:DWORD
	v_bfrev_b32_e32 v1, 1
	s_and_saveexec_b64 s[38:39], vcc
	s_cbranch_execz .LBB6_624
; %bb.621:                              ;   in Loop: Header=BB6_354 Depth=4
	v_bfe_u32 v4, v49, 16, 7
	v_cmp_ne_u32_e32 vcc, s83, v4
	v_mov_b32_e32 v1, 0x7f800001
	s_and_saveexec_b64 s[48:49], vcc
	s_cbranch_execz .LBB6_623
; %bb.622:                              ;   in Loop: Header=BB6_354 Depth=4
	v_and_b32_e32 v1, 7, v2
	v_lshrrev_b32_e32 v28, 3, v4
	v_cmp_gt_u32_e32 vcc, 8, v4
	v_ffbh_u32_e32 v4, v1
	v_min_u32_e32 v29, 32, v4
	v_subrev_u32_e32 v4, 28, v29
	v_lshlrev_b64 v[4:5], v4, v[2:3]
	v_sub_u32_e32 v5, 29, v29
	v_and_b32_e32 v4, 7, v4
	v_cndmask_b32_e32 v5, v28, v5, vcc
	v_cndmask_b32_e32 v1, v1, v4, vcc
	v_lshlrev_b32_e32 v4, 24, v2
	v_bfrev_b32_e32 v28, 60
	v_lshlrev_b32_e32 v1, 20, v1
	v_and_b32_e32 v4, 0x80000000, v4
	v_lshl_add_u32 v5, v5, 23, v28
	v_or3_b32 v1, v4, v5, v1
.LBB6_623:                              ;   in Loop: Header=BB6_354 Depth=4
	s_or_b64 exec, exec, s[48:49]
.LBB6_624:                              ;   in Loop: Header=BB6_354 Depth=4
	s_or_b64 exec, exec, s[38:39]
.LBB6_625:                              ;   in Loop: Header=BB6_354 Depth=4
	s_or_b64 exec, exec, s[40:41]
	v_cmp_ne_u16_sdwa vcc, v0, v53 src0_sel:BYTE_0 src1_sel:DWORD
	s_and_saveexec_b64 s[40:41], vcc
	s_cbranch_execz .LBB6_631
; %bb.626:                              ;   in Loop: Header=BB6_354 Depth=4
	v_cmp_ne_u16_sdwa vcc, v0, s82 src0_sel:BYTE_0 src1_sel:DWORD
	v_bfrev_b32_e32 v3, 1
	s_and_saveexec_b64 s[38:39], vcc
	s_cbranch_execz .LBB6_630
; %bb.627:                              ;   in Loop: Header=BB6_354 Depth=4
	v_bfe_u32 v4, v37, 16, 7
	v_cmp_ne_u32_e32 vcc, s83, v4
	v_mov_b32_e32 v3, 0x7f800001
	s_and_saveexec_b64 s[48:49], vcc
	s_cbranch_execz .LBB6_629
; %bb.628:                              ;   in Loop: Header=BB6_354 Depth=4
	v_and_b32_e32 v5, 7, v0
	v_ffbh_u32_e32 v3, v5
	v_min_u32_e32 v29, 32, v3
	v_subrev_u32_e32 v3, 28, v29
	v_lshrrev_b32_e32 v28, 3, v4
	v_cmp_gt_u32_e32 vcc, 8, v4
	v_lshlrev_b64 v[3:4], v3, v[0:1]
	v_sub_u32_e32 v4, 29, v29
	v_and_b32_e32 v3, 7, v3
	v_cndmask_b32_e32 v4, v28, v4, vcc
	v_cndmask_b32_e32 v3, v5, v3, vcc
	v_lshlrev_b32_e32 v5, 24, v0
	v_bfrev_b32_e32 v28, 60
	v_lshlrev_b32_e32 v3, 20, v3
	v_and_b32_e32 v5, 0x80000000, v5
	v_lshl_add_u32 v4, v4, 23, v28
	v_or3_b32 v3, v5, v4, v3
.LBB6_629:                              ;   in Loop: Header=BB6_354 Depth=4
	s_or_b64 exec, exec, s[48:49]
.LBB6_630:                              ;   in Loop: Header=BB6_354 Depth=4
	s_or_b64 exec, exec, s[38:39]
.LBB6_631:                              ;   in Loop: Header=BB6_354 Depth=4
	s_or_b64 exec, exec, s[40:41]
	v_max_f32_e32 v3, v3, v3
	v_max_f32_e32 v1, v1, v1
	;; [unrolled: 1-line block ×3, first 2 shown]
	s_mov_b64 s[40:41], 0
.LBB6_632:                              ;   in Loop: Header=BB6_354 Depth=4
	s_and_b64 vcc, exec, s[40:41]
	s_cbranch_vccz .LBB6_646
; %bb.633:                              ;   in Loop: Header=BB6_354 Depth=4
	v_mov_b32_e32 v3, 0
	v_mov_b32_e32 v1, 0
	s_and_saveexec_b64 s[40:41], s[28:29]
	s_cbranch_execz .LBB6_639
; %bb.634:                              ;   in Loop: Header=BB6_354 Depth=4
	v_cmp_ne_u16_sdwa vcc, v2, s82 src0_sel:BYTE_0 src1_sel:DWORD
	v_bfrev_b32_e32 v1, 1
	s_and_saveexec_b64 s[28:29], vcc
	s_cbranch_execz .LBB6_638
; %bb.635:                              ;   in Loop: Header=BB6_354 Depth=4
	v_bfe_u32 v4, v49, 16, 7
	v_cmp_ne_u32_e32 vcc, s83, v4
	v_mov_b32_e32 v1, 0x7f800001
	s_and_saveexec_b64 s[38:39], vcc
	s_cbranch_execz .LBB6_637
; %bb.636:                              ;   in Loop: Header=BB6_354 Depth=4
	v_and_b32_e32 v1, 7, v2
	v_lshrrev_b32_e32 v28, 3, v4
	v_cmp_gt_u32_e32 vcc, 8, v4
	v_ffbh_u32_e32 v4, v1
	v_min_u32_e32 v29, 32, v4
	v_subrev_u32_e32 v4, 28, v29
	v_lshlrev_b64 v[4:5], v4, v[2:3]
	v_sub_u32_e32 v5, 29, v29
	v_and_b32_e32 v4, 7, v4
	v_cndmask_b32_e32 v5, v28, v5, vcc
	v_cndmask_b32_e32 v1, v1, v4, vcc
	v_lshlrev_b32_e32 v2, 24, v2
	v_bfrev_b32_e32 v4, 60
	v_lshlrev_b32_e32 v1, 20, v1
	v_and_b32_e32 v2, 0x80000000, v2
	v_lshl_add_u32 v4, v5, 23, v4
	v_or3_b32 v1, v2, v4, v1
.LBB6_637:                              ;   in Loop: Header=BB6_354 Depth=4
	s_or_b64 exec, exec, s[38:39]
.LBB6_638:                              ;   in Loop: Header=BB6_354 Depth=4
	s_or_b64 exec, exec, s[28:29]
.LBB6_639:                              ;   in Loop: Header=BB6_354 Depth=4
	s_or_b64 exec, exec, s[40:41]
	v_cmp_ne_u16_sdwa s[40:41], v0, v53 src0_sel:BYTE_0 src1_sel:DWORD
	s_and_saveexec_b64 s[28:29], s[40:41]
	s_cbranch_execz .LBB6_645
; %bb.640:                              ;   in Loop: Header=BB6_354 Depth=4
	v_cmp_ne_u16_sdwa vcc, v0, s82 src0_sel:BYTE_0 src1_sel:DWORD
	v_bfrev_b32_e32 v3, 1
	s_and_saveexec_b64 s[40:41], vcc
	s_cbranch_execz .LBB6_644
; %bb.641:                              ;   in Loop: Header=BB6_354 Depth=4
	v_bfe_u32 v2, v37, 16, 7
	v_cmp_ne_u32_e32 vcc, s83, v2
	v_mov_b32_e32 v3, 0x7f800001
	s_and_saveexec_b64 s[38:39], vcc
	s_cbranch_execz .LBB6_643
; %bb.642:                              ;   in Loop: Header=BB6_354 Depth=4
	v_and_b32_e32 v4, 7, v0
	v_lshrrev_b32_e32 v5, 3, v2
	v_cmp_gt_u32_e32 vcc, 8, v2
	v_ffbh_u32_e32 v2, v4
	v_min_u32_e32 v28, 32, v2
	v_subrev_u32_e32 v2, 28, v28
	v_lshlrev_b64 v[2:3], v2, v[0:1]
	v_sub_u32_e32 v3, 29, v28
	v_and_b32_e32 v2, 7, v2
	v_cndmask_b32_e32 v3, v5, v3, vcc
	v_cndmask_b32_e32 v2, v4, v2, vcc
	v_lshlrev_b32_e32 v0, 24, v0
	v_bfrev_b32_e32 v4, 60
	v_lshlrev_b32_e32 v2, 20, v2
	v_and_b32_e32 v0, 0x80000000, v0
	v_lshl_add_u32 v3, v3, 23, v4
	v_or3_b32 v3, v0, v3, v2
.LBB6_643:                              ;   in Loop: Header=BB6_354 Depth=4
	s_or_b64 exec, exec, s[38:39]
.LBB6_644:                              ;   in Loop: Header=BB6_354 Depth=4
	s_or_b64 exec, exec, s[40:41]
.LBB6_645:                              ;   in Loop: Header=BB6_354 Depth=4
	s_or_b64 exec, exec, s[28:29]
	v_max_f32_e32 v0, v3, v3
	v_max_f32_e32 v1, v1, v1
	v_min_f32_e32 v1, v1, v0
.LBB6_646:                              ;   in Loop: Header=BB6_354 Depth=4
	buffer_store_dword v52, off, s[0:3], s33 offset:112 ; 4-byte Folded Spill
	v_and_b32_e32 v52, 0x7f800000, v1
	v_cmp_ne_u64_e32 vcc, s[76:77], v[52:53]
                                        ; implicit-def: $vgpr52
	s_and_saveexec_b64 s[28:29], vcc
	s_xor_b64 s[40:41], exec, s[28:29]
	s_cbranch_execz .LBB6_660
; %bb.647:                              ;   in Loop: Header=BB6_354 Depth=4
	v_and_b32_e32 v52, 0x7fffffff, v1
	v_cmp_gt_u64_e32 vcc, s[78:79], v[52:53]
	v_and_b32_sdwa v3, v1, s82 dst_sel:DWORD dst_unused:UNUSED_PAD src0_sel:BYTE_3 src1_sel:DWORD
                                        ; implicit-def: $vgpr52
	s_and_saveexec_b64 s[28:29], vcc
	s_xor_b64 s[38:39], exec, s[28:29]
	s_cbranch_execz .LBB6_657
; %bb.648:                              ;   in Loop: Header=BB6_354 Depth=4
	v_mov_b32_e32 v52, 0
	v_cmp_ne_u32_e32 vcc, 0, v1
	s_and_saveexec_b64 s[48:49], vcc
	s_cbranch_execz .LBB6_656
; %bb.649:                              ;   in Loop: Header=BB6_354 Depth=4
	v_bfe_u32 v4, v1, 23, 8
	v_and_b32_e32 v0, 0x7fffff, v1
	v_cmp_gt_u32_e64 s[28:29], s85, v4
	v_sub_u32_e32 v1, 0x79, v4
	v_cmp_eq_u32_e32 vcc, 0, v4
	v_cndmask_b32_e64 v1, 0, v1, s[28:29]
	v_mov_b32_e32 v5, 0x78
	v_or_b32_e32 v2, 0x800000, v0
	v_cndmask_b32_e32 v5, v1, v5, vcc
	v_cndmask_b32_e32 v52, v2, v0, vcc
	v_add_u32_e32 v0, 20, v5
	v_lshlrev_b64 v[0:1], v0, -1
	v_add_u32_e32 v2, 19, v5
	v_lshlrev_b64 v[28:29], v2, 1
	v_bfi_b32 v1, v1, 0, 0
	v_bfi_b32 v0, v0, 0, v52
	v_cmp_eq_u64_e64 s[28:29], v[0:1], v[28:29]
	v_lshrrev_b64 v[0:1], v5, v[52:53]
	v_mov_b32_e32 v2, v1
	v_mov_b32_e32 v1, v0
	s_and_saveexec_b64 s[50:51], s[28:29]
; %bb.650:                              ;   in Loop: Header=BB6_354 Depth=4
	v_bfe_u32 v1, v0, 20, 1
	v_add_co_u32_e64 v1, s[28:29], v0, v1
	v_add_co_u32_e64 v1, s[28:29], -1, v1
; %bb.651:                              ;   in Loop: Header=BB6_354 Depth=4
	s_or_b64 exec, exec, s[50:51]
	v_add_u32_e32 v2, 0xffffff81, v4
	v_mov_b32_e32 v4, 0xffffff82
	v_cndmask_b32_e32 v2, v2, v4, vcc
	v_lshrrev_b32_e32 v4, 23, v0
	v_add3_u32 v5, v5, v2, v4
	v_add_u32_e32 v4, 6, v5
	v_and_b32_e32 v1, 0xfffff, v1
	v_add_u32_e32 v52, v1, v0
	v_cmp_ne_u32_e32 vcc, 0, v4
                                        ; implicit-def: $vgpr0_vgpr1
                                        ; implicit-def: $vgpr2
	s_and_saveexec_b64 s[28:29], vcc
	s_xor_b64 s[28:29], exec, s[28:29]
; %bb.652:                              ;   in Loop: Header=BB6_354 Depth=4
	v_cmp_lt_u64_e32 vcc, s[88:89], v[52:53]
	v_add_u32_e32 v0, 7, v5
	v_cndmask_b32_e32 v2, v4, v0, vcc
	v_cndmask_b32_e64 v0, 0, 1, vcc
	v_lshrrev_b64 v[0:1], v0, v[52:53]
; %bb.653:                              ;   in Loop: Header=BB6_354 Depth=4
	s_andn2_saveexec_b64 s[28:29], s[28:29]
; %bb.654:                              ;   in Loop: Header=BB6_354 Depth=4
	v_mov_b32_e32 v0, v52
	v_bfe_u32 v2, v52, 23, 1
	v_mov_b32_e32 v1, v53
; %bb.655:                              ;   in Loop: Header=BB6_354 Depth=4
	s_or_b64 exec, exec, s[28:29]
	v_lshrrev_b64 v[0:1], 20, v[0:1]
	v_cmp_gt_i32_e32 vcc, 16, v2
	v_cndmask_b32_e32 v1, 0, v1, vcc
	v_cndmask_b32_e32 v0, 7, v0, vcc
	v_cmp_eq_u64_e64 s[28:29], 0, v[0:1]
	v_min_i32_e32 v1, 15, v2
	v_lshlrev_b32_e32 v1, 3, v1
	v_cmp_eq_u32_e32 vcc, 0, v2
	v_and_b32_e32 v1, 0xf8, v1
	v_and_or_b32 v0, v0, 7, v1
	s_and_b64 s[28:29], vcc, s[28:29]
	v_cndmask_b32_e64 v0, v0, 0, s[28:29]
	v_or_b32_e32 v52, v0, v3
.LBB6_656:                              ;   in Loop: Header=BB6_354 Depth=4
	s_or_b64 exec, exec, s[48:49]
                                        ; implicit-def: $vgpr3
.LBB6_657:                              ;   in Loop: Header=BB6_354 Depth=4
	s_andn2_saveexec_b64 s[28:29], s[38:39]
; %bb.658:                              ;   in Loop: Header=BB6_354 Depth=4
	v_or_b32_e32 v52, 0x7e, v3
; %bb.659:                              ;   in Loop: Header=BB6_354 Depth=4
	s_or_b64 exec, exec, s[28:29]
                                        ; implicit-def: $vgpr1
.LBB6_660:                              ;   in Loop: Header=BB6_354 Depth=4
	s_andn2_saveexec_b64 s[28:29], s[40:41]
; %bb.661:                              ;   in Loop: Header=BB6_354 Depth=4
	v_or_b32_sdwa v52, v1, s83 dst_sel:DWORD dst_unused:UNUSED_PAD src0_sel:BYTE_3 src1_sel:DWORD
; %bb.662:                              ;   in Loop: Header=BB6_354 Depth=4
	s_or_b64 exec, exec, s[28:29]
	v_cmp_lt_u64_e64 s[28:29], s[62:63], v[48:49]
	v_lshrrev_b32_e32 v2, 24, v49
	v_lshrrev_b32_e32 v0, 24, v37
	s_mov_b64 s[40:41], -1
	s_and_b64 vcc, exec, s[46:47]
                                        ; implicit-def: $vgpr1
	s_cbranch_vccz .LBB6_676
; %bb.663:                              ;   in Loop: Header=BB6_354 Depth=4
	v_mov_b32_e32 v3, 0
	v_mov_b32_e32 v1, 0
	s_and_saveexec_b64 s[40:41], s[28:29]
	s_cbranch_execz .LBB6_669
; %bb.664:                              ;   in Loop: Header=BB6_354 Depth=4
	v_cmp_ne_u32_e32 vcc, s82, v2
	v_bfrev_b32_e32 v1, 1
	s_and_saveexec_b64 s[38:39], vcc
	s_cbranch_execz .LBB6_668
; %bb.665:                              ;   in Loop: Header=BB6_354 Depth=4
	v_bfe_u32 v4, v49, 24, 7
	v_cmp_ne_u32_e32 vcc, s83, v4
	v_mov_b32_e32 v1, 0x7f800001
	s_and_saveexec_b64 s[48:49], vcc
	s_cbranch_execz .LBB6_667
; %bb.666:                              ;   in Loop: Header=BB6_354 Depth=4
	v_and_b32_e32 v1, 7, v2
	v_lshrrev_b32_e32 v28, 3, v4
	v_cmp_gt_u32_e32 vcc, 8, v4
	v_ffbh_u32_e32 v4, v1
	v_min_u32_e32 v29, 32, v4
	v_subrev_u32_e32 v4, 28, v29
	v_lshlrev_b64 v[4:5], v4, v[2:3]
	v_sub_u32_e32 v5, 29, v29
	v_and_b32_e32 v4, 7, v4
	v_cndmask_b32_e32 v5, v28, v5, vcc
	v_cndmask_b32_e32 v1, v1, v4, vcc
	v_lshlrev_b32_e32 v4, 24, v2
	v_bfrev_b32_e32 v28, 60
	v_lshlrev_b32_e32 v1, 20, v1
	v_and_b32_e32 v4, 0x80000000, v4
	v_lshl_add_u32 v5, v5, 23, v28
	v_or3_b32 v1, v4, v5, v1
.LBB6_667:                              ;   in Loop: Header=BB6_354 Depth=4
	s_or_b64 exec, exec, s[48:49]
.LBB6_668:                              ;   in Loop: Header=BB6_354 Depth=4
	s_or_b64 exec, exec, s[38:39]
.LBB6_669:                              ;   in Loop: Header=BB6_354 Depth=4
	s_or_b64 exec, exec, s[40:41]
	v_cmp_lt_u64_e32 vcc, s[62:63], v[36:37]
	s_and_saveexec_b64 s[40:41], vcc
	s_cbranch_execz .LBB6_675
; %bb.670:                              ;   in Loop: Header=BB6_354 Depth=4
	v_cmp_ne_u32_e32 vcc, s82, v0
	v_bfrev_b32_e32 v3, 1
	s_and_saveexec_b64 s[38:39], vcc
	s_cbranch_execz .LBB6_674
; %bb.671:                              ;   in Loop: Header=BB6_354 Depth=4
	v_bfe_u32 v4, v37, 24, 7
	v_cmp_ne_u32_e32 vcc, s83, v4
	v_mov_b32_e32 v3, 0x7f800001
	s_and_saveexec_b64 s[48:49], vcc
	s_cbranch_execz .LBB6_673
; %bb.672:                              ;   in Loop: Header=BB6_354 Depth=4
	v_and_b32_e32 v5, 7, v0
	v_ffbh_u32_e32 v3, v5
	v_min_u32_e32 v29, 32, v3
	v_subrev_u32_e32 v3, 28, v29
	v_lshrrev_b32_e32 v28, 3, v4
	v_cmp_gt_u32_e32 vcc, 8, v4
	v_lshlrev_b64 v[3:4], v3, v[0:1]
	v_sub_u32_e32 v4, 29, v29
	v_and_b32_e32 v3, 7, v3
	v_cndmask_b32_e32 v4, v28, v4, vcc
	v_cndmask_b32_e32 v3, v5, v3, vcc
	v_lshlrev_b32_e32 v5, 24, v0
	v_bfrev_b32_e32 v28, 60
	v_lshlrev_b32_e32 v3, 20, v3
	v_and_b32_e32 v5, 0x80000000, v5
	v_lshl_add_u32 v4, v4, 23, v28
	v_or3_b32 v3, v5, v4, v3
.LBB6_673:                              ;   in Loop: Header=BB6_354 Depth=4
	s_or_b64 exec, exec, s[48:49]
.LBB6_674:                              ;   in Loop: Header=BB6_354 Depth=4
	s_or_b64 exec, exec, s[38:39]
.LBB6_675:                              ;   in Loop: Header=BB6_354 Depth=4
	s_or_b64 exec, exec, s[40:41]
	v_max_f32_e32 v3, v3, v3
	v_max_f32_e32 v1, v1, v1
	;; [unrolled: 1-line block ×3, first 2 shown]
	s_mov_b64 s[40:41], 0
.LBB6_676:                              ;   in Loop: Header=BB6_354 Depth=4
	s_and_b64 vcc, exec, s[40:41]
	s_cbranch_vccz .LBB6_690
; %bb.677:                              ;   in Loop: Header=BB6_354 Depth=4
	v_mov_b32_e32 v3, 0
	v_mov_b32_e32 v1, 0
	s_and_saveexec_b64 s[40:41], s[28:29]
	s_cbranch_execz .LBB6_683
; %bb.678:                              ;   in Loop: Header=BB6_354 Depth=4
	v_cmp_ne_u32_e32 vcc, s82, v2
	v_bfrev_b32_e32 v1, 1
	s_and_saveexec_b64 s[28:29], vcc
	s_cbranch_execz .LBB6_682
; %bb.679:                              ;   in Loop: Header=BB6_354 Depth=4
	v_bfe_u32 v4, v49, 24, 7
	v_cmp_ne_u32_e32 vcc, s83, v4
	v_mov_b32_e32 v1, 0x7f800001
	s_and_saveexec_b64 s[38:39], vcc
	s_cbranch_execz .LBB6_681
; %bb.680:                              ;   in Loop: Header=BB6_354 Depth=4
	v_and_b32_e32 v1, 7, v2
	v_lshrrev_b32_e32 v28, 3, v4
	v_cmp_gt_u32_e32 vcc, 8, v4
	v_ffbh_u32_e32 v4, v1
	v_min_u32_e32 v29, 32, v4
	v_subrev_u32_e32 v4, 28, v29
	v_lshlrev_b64 v[4:5], v4, v[2:3]
	v_sub_u32_e32 v5, 29, v29
	v_and_b32_e32 v4, 7, v4
	v_cndmask_b32_e32 v5, v28, v5, vcc
	v_cndmask_b32_e32 v1, v1, v4, vcc
	v_lshlrev_b32_e32 v2, 24, v2
	v_bfrev_b32_e32 v4, 60
	v_lshlrev_b32_e32 v1, 20, v1
	v_and_b32_e32 v2, 0x80000000, v2
	v_lshl_add_u32 v4, v5, 23, v4
	v_or3_b32 v1, v2, v4, v1
.LBB6_681:                              ;   in Loop: Header=BB6_354 Depth=4
	s_or_b64 exec, exec, s[38:39]
.LBB6_682:                              ;   in Loop: Header=BB6_354 Depth=4
	s_or_b64 exec, exec, s[28:29]
.LBB6_683:                              ;   in Loop: Header=BB6_354 Depth=4
	s_or_b64 exec, exec, s[40:41]
	v_cmp_lt_u64_e32 vcc, s[62:63], v[36:37]
	s_and_saveexec_b64 s[28:29], vcc
	s_cbranch_execz .LBB6_689
; %bb.684:                              ;   in Loop: Header=BB6_354 Depth=4
	v_cmp_ne_u32_e32 vcc, s82, v0
	v_bfrev_b32_e32 v3, 1
	s_and_saveexec_b64 s[40:41], vcc
	s_cbranch_execz .LBB6_688
; %bb.685:                              ;   in Loop: Header=BB6_354 Depth=4
	v_bfe_u32 v2, v37, 24, 7
	v_cmp_ne_u32_e32 vcc, s83, v2
	v_mov_b32_e32 v3, 0x7f800001
	s_and_saveexec_b64 s[38:39], vcc
	s_cbranch_execz .LBB6_687
; %bb.686:                              ;   in Loop: Header=BB6_354 Depth=4
	v_and_b32_e32 v4, 7, v0
	v_lshrrev_b32_e32 v5, 3, v2
	v_cmp_gt_u32_e32 vcc, 8, v2
	v_ffbh_u32_e32 v2, v4
	v_min_u32_e32 v28, 32, v2
	v_subrev_u32_e32 v2, 28, v28
	v_lshlrev_b64 v[2:3], v2, v[0:1]
	v_sub_u32_e32 v3, 29, v28
	v_and_b32_e32 v2, 7, v2
	v_cndmask_b32_e32 v3, v5, v3, vcc
	v_cndmask_b32_e32 v2, v4, v2, vcc
	v_lshlrev_b32_e32 v0, 24, v0
	v_bfrev_b32_e32 v4, 60
	v_lshlrev_b32_e32 v2, 20, v2
	v_and_b32_e32 v0, 0x80000000, v0
	v_lshl_add_u32 v3, v3, 23, v4
	v_or3_b32 v3, v0, v3, v2
.LBB6_687:                              ;   in Loop: Header=BB6_354 Depth=4
	s_or_b64 exec, exec, s[38:39]
.LBB6_688:                              ;   in Loop: Header=BB6_354 Depth=4
	s_or_b64 exec, exec, s[40:41]
.LBB6_689:                              ;   in Loop: Header=BB6_354 Depth=4
	s_or_b64 exec, exec, s[28:29]
	v_max_f32_e32 v0, v3, v3
	v_max_f32_e32 v1, v1, v1
	v_min_f32_e32 v1, v1, v0
.LBB6_690:                              ;   in Loop: Header=BB6_354 Depth=4
	buffer_store_dword v52, off, s[0:3], s33 offset:116 ; 4-byte Folded Spill
	v_and_b32_e32 v52, 0x7f800000, v1
	v_cmp_ne_u64_e32 vcc, s[76:77], v[52:53]
                                        ; implicit-def: $vgpr5
	s_and_saveexec_b64 s[28:29], vcc
	s_xor_b64 s[40:41], exec, s[28:29]
	s_cbranch_execz .LBB6_704
; %bb.691:                              ;   in Loop: Header=BB6_354 Depth=4
	v_and_b32_e32 v52, 0x7fffffff, v1
	v_cmp_gt_u64_e32 vcc, s[78:79], v[52:53]
	v_and_b32_sdwa v3, v1, s82 dst_sel:DWORD dst_unused:UNUSED_PAD src0_sel:BYTE_3 src1_sel:DWORD
                                        ; implicit-def: $vgpr5
	s_and_saveexec_b64 s[28:29], vcc
	s_xor_b64 s[38:39], exec, s[28:29]
	s_cbranch_execz .LBB6_701
; %bb.692:                              ;   in Loop: Header=BB6_354 Depth=4
	v_mov_b32_e32 v5, 0
	v_cmp_ne_u32_e32 vcc, 0, v1
	s_and_saveexec_b64 s[48:49], vcc
	s_cbranch_execz .LBB6_700
; %bb.693:                              ;   in Loop: Header=BB6_354 Depth=4
	v_bfe_u32 v4, v1, 23, 8
	v_and_b32_e32 v0, 0x7fffff, v1
	v_cmp_gt_u32_e64 s[28:29], s85, v4
	v_sub_u32_e32 v1, 0x79, v4
	v_cmp_eq_u32_e32 vcc, 0, v4
	v_cndmask_b32_e64 v1, 0, v1, s[28:29]
	v_mov_b32_e32 v5, 0x78
	v_or_b32_e32 v2, 0x800000, v0
	v_cndmask_b32_e32 v5, v1, v5, vcc
	v_cndmask_b32_e32 v52, v2, v0, vcc
	v_add_u32_e32 v0, 20, v5
	v_lshlrev_b64 v[0:1], v0, -1
	v_add_u32_e32 v2, 19, v5
	v_lshlrev_b64 v[28:29], v2, 1
	v_bfi_b32 v1, v1, 0, 0
	v_bfi_b32 v0, v0, 0, v52
	v_cmp_eq_u64_e64 s[28:29], v[0:1], v[28:29]
	v_lshrrev_b64 v[0:1], v5, v[52:53]
	v_mov_b32_e32 v2, v1
	v_mov_b32_e32 v1, v0
	s_and_saveexec_b64 s[50:51], s[28:29]
; %bb.694:                              ;   in Loop: Header=BB6_354 Depth=4
	v_bfe_u32 v1, v0, 20, 1
	v_add_co_u32_e64 v1, s[28:29], v0, v1
	v_add_co_u32_e64 v1, s[28:29], -1, v1
; %bb.695:                              ;   in Loop: Header=BB6_354 Depth=4
	s_or_b64 exec, exec, s[50:51]
	v_add_u32_e32 v2, 0xffffff81, v4
	v_mov_b32_e32 v4, 0xffffff82
	v_cndmask_b32_e32 v2, v2, v4, vcc
	v_lshrrev_b32_e32 v4, 23, v0
	v_add3_u32 v5, v5, v2, v4
	v_add_u32_e32 v4, 6, v5
	v_and_b32_e32 v1, 0xfffff, v1
	v_add_u32_e32 v52, v1, v0
	v_cmp_ne_u32_e32 vcc, 0, v4
                                        ; implicit-def: $vgpr0_vgpr1
                                        ; implicit-def: $vgpr2
	s_and_saveexec_b64 s[28:29], vcc
	s_xor_b64 s[28:29], exec, s[28:29]
; %bb.696:                              ;   in Loop: Header=BB6_354 Depth=4
	v_cmp_lt_u64_e32 vcc, s[88:89], v[52:53]
	v_add_u32_e32 v0, 7, v5
	v_cndmask_b32_e32 v2, v4, v0, vcc
	v_cndmask_b32_e64 v0, 0, 1, vcc
	v_lshrrev_b64 v[0:1], v0, v[52:53]
; %bb.697:                              ;   in Loop: Header=BB6_354 Depth=4
	s_andn2_saveexec_b64 s[28:29], s[28:29]
; %bb.698:                              ;   in Loop: Header=BB6_354 Depth=4
	v_mov_b32_e32 v0, v52
	v_bfe_u32 v2, v52, 23, 1
	v_mov_b32_e32 v1, v53
; %bb.699:                              ;   in Loop: Header=BB6_354 Depth=4
	s_or_b64 exec, exec, s[28:29]
	v_lshrrev_b64 v[0:1], 20, v[0:1]
	v_cmp_gt_i32_e32 vcc, 16, v2
	v_cndmask_b32_e32 v1, 0, v1, vcc
	v_cndmask_b32_e32 v0, 7, v0, vcc
	v_cmp_eq_u64_e64 s[28:29], 0, v[0:1]
	v_min_i32_e32 v1, 15, v2
	v_lshlrev_b32_e32 v1, 3, v1
	v_cmp_eq_u32_e32 vcc, 0, v2
	v_and_b32_e32 v1, 0xf8, v1
	v_and_or_b32 v0, v0, 7, v1
	s_and_b64 s[28:29], vcc, s[28:29]
	v_cndmask_b32_e64 v0, v0, 0, s[28:29]
	v_or_b32_e32 v5, v0, v3
.LBB6_700:                              ;   in Loop: Header=BB6_354 Depth=4
	s_or_b64 exec, exec, s[48:49]
                                        ; implicit-def: $vgpr3
.LBB6_701:                              ;   in Loop: Header=BB6_354 Depth=4
	s_andn2_saveexec_b64 s[28:29], s[38:39]
; %bb.702:                              ;   in Loop: Header=BB6_354 Depth=4
	v_or_b32_e32 v5, 0x7e, v3
; %bb.703:                              ;   in Loop: Header=BB6_354 Depth=4
	s_or_b64 exec, exec, s[28:29]
                                        ; implicit-def: $vgpr1
.LBB6_704:                              ;   in Loop: Header=BB6_354 Depth=4
	s_andn2_saveexec_b64 s[28:29], s[40:41]
; %bb.705:                              ;   in Loop: Header=BB6_354 Depth=4
	v_or_b32_sdwa v5, v1, s83 dst_sel:DWORD dst_unused:UNUSED_PAD src0_sel:BYTE_3 src1_sel:DWORD
; %bb.706:                              ;   in Loop: Header=BB6_354 Depth=4
	s_or_b64 exec, exec, s[28:29]
	v_cmp_ne_u16_sdwa s[28:29], v50, v53 src0_sel:BYTE_0 src1_sel:DWORD
	s_mov_b64 s[40:41], -1
	s_and_b64 vcc, exec, s[46:47]
                                        ; implicit-def: $vgpr0
	s_cbranch_vccz .LBB6_720
; %bb.707:                              ;   in Loop: Header=BB6_354 Depth=4
	v_mov_b32_e32 v1, 0
	v_mov_b32_e32 v0, 0
	s_and_saveexec_b64 s[40:41], s[28:29]
	s_cbranch_execz .LBB6_713
; %bb.708:                              ;   in Loop: Header=BB6_354 Depth=4
	v_cmp_ne_u16_sdwa vcc, v50, s82 src0_sel:BYTE_0 src1_sel:DWORD
	v_bfrev_b32_e32 v0, 1
	s_and_saveexec_b64 s[38:39], vcc
	s_cbranch_execz .LBB6_712
; %bb.709:                              ;   in Loop: Header=BB6_354 Depth=4
	v_and_b32_e32 v2, 0x7f, v50
	v_cmp_ne_u32_e32 vcc, s83, v2
	v_mov_b32_e32 v0, 0x7f800001
	s_and_saveexec_b64 s[48:49], vcc
	s_cbranch_execz .LBB6_711
; %bb.710:                              ;   in Loop: Header=BB6_354 Depth=4
	v_and_b32_e32 v0, 7, v50
	v_ffbh_u32_e32 v0, v0
	v_min_u32_e32 v0, 32, v0
	v_lshrrev_b32_e32 v3, 3, v2
	v_cmp_gt_u32_e32 vcc, 8, v2
	v_subrev_u32_e32 v2, 28, v0
	v_sub_u32_e32 v0, 29, v0
	v_cndmask_b32_e32 v2, 0, v2, vcc
	v_cndmask_b32_e32 v0, v3, v0, vcc
	v_lshlrev_b64 v[2:3], v2, v[50:51]
	v_lshlrev_b32_e32 v3, 24, v50
	v_lshlrev_b32_e32 v2, 20, v2
	v_bfrev_b32_e32 v4, 60
	v_and_b32_e32 v2, 0x700000, v2
	v_and_b32_e32 v3, 0x80000000, v3
	v_lshl_add_u32 v0, v0, 23, v4
	v_or3_b32 v0, v3, v0, v2
.LBB6_711:                              ;   in Loop: Header=BB6_354 Depth=4
	s_or_b64 exec, exec, s[48:49]
.LBB6_712:                              ;   in Loop: Header=BB6_354 Depth=4
	s_or_b64 exec, exec, s[38:39]
.LBB6_713:                              ;   in Loop: Header=BB6_354 Depth=4
	s_or_b64 exec, exec, s[40:41]
	v_cmp_ne_u16_sdwa vcc, v38, v53 src0_sel:BYTE_0 src1_sel:DWORD
	s_and_saveexec_b64 s[40:41], vcc
	s_cbranch_execz .LBB6_719
; %bb.714:                              ;   in Loop: Header=BB6_354 Depth=4
	v_cmp_ne_u16_sdwa vcc, v38, s82 src0_sel:BYTE_0 src1_sel:DWORD
	v_bfrev_b32_e32 v1, 1
	s_and_saveexec_b64 s[38:39], vcc
	s_cbranch_execz .LBB6_718
; %bb.715:                              ;   in Loop: Header=BB6_354 Depth=4
	v_and_b32_e32 v2, 0x7f, v38
	v_cmp_ne_u32_e32 vcc, s83, v2
	v_mov_b32_e32 v1, 0x7f800001
	s_and_saveexec_b64 s[48:49], vcc
	s_cbranch_execz .LBB6_717
; %bb.716:                              ;   in Loop: Header=BB6_354 Depth=4
	v_and_b32_e32 v1, 7, v38
	v_ffbh_u32_e32 v1, v1
	v_min_u32_e32 v1, 32, v1
	v_lshrrev_b32_e32 v3, 3, v2
	v_cmp_gt_u32_e32 vcc, 8, v2
	v_subrev_u32_e32 v2, 28, v1
	v_sub_u32_e32 v1, 29, v1
	v_cndmask_b32_e32 v3, v3, v1, vcc
	v_cndmask_b32_e32 v1, 0, v2, vcc
	v_lshlrev_b64 v[1:2], v1, v[38:39]
	v_lshlrev_b32_e32 v2, 24, v38
	v_lshlrev_b32_e32 v1, 20, v1
	v_bfrev_b32_e32 v4, 60
	v_and_b32_e32 v1, 0x700000, v1
	v_and_b32_e32 v2, 0x80000000, v2
	v_lshl_add_u32 v3, v3, 23, v4
	v_or3_b32 v1, v2, v3, v1
.LBB6_717:                              ;   in Loop: Header=BB6_354 Depth=4
	s_or_b64 exec, exec, s[48:49]
.LBB6_718:                              ;   in Loop: Header=BB6_354 Depth=4
	s_or_b64 exec, exec, s[38:39]
.LBB6_719:                              ;   in Loop: Header=BB6_354 Depth=4
	s_or_b64 exec, exec, s[40:41]
	v_max_f32_e32 v1, v1, v1
	v_max_f32_e32 v0, v0, v0
	;; [unrolled: 1-line block ×3, first 2 shown]
	s_mov_b64 s[40:41], 0
.LBB6_720:                              ;   in Loop: Header=BB6_354 Depth=4
	s_and_b64 vcc, exec, s[40:41]
	s_cbranch_vccz .LBB6_734
; %bb.721:                              ;   in Loop: Header=BB6_354 Depth=4
	v_mov_b32_e32 v1, 0
	v_mov_b32_e32 v0, 0
	s_and_saveexec_b64 s[40:41], s[28:29]
	s_cbranch_execz .LBB6_727
; %bb.722:                              ;   in Loop: Header=BB6_354 Depth=4
	v_cmp_ne_u16_sdwa vcc, v50, s82 src0_sel:BYTE_0 src1_sel:DWORD
	v_bfrev_b32_e32 v0, 1
	s_and_saveexec_b64 s[28:29], vcc
	s_cbranch_execz .LBB6_726
; %bb.723:                              ;   in Loop: Header=BB6_354 Depth=4
	v_and_b32_e32 v2, 0x7f, v50
	v_cmp_ne_u32_e32 vcc, s83, v2
	v_mov_b32_e32 v0, 0x7f800001
	s_and_saveexec_b64 s[38:39], vcc
	s_cbranch_execz .LBB6_725
; %bb.724:                              ;   in Loop: Header=BB6_354 Depth=4
	v_and_b32_e32 v0, 7, v50
	v_ffbh_u32_e32 v0, v0
	v_min_u32_e32 v0, 32, v0
	v_lshrrev_b32_e32 v3, 3, v2
	v_cmp_gt_u32_e32 vcc, 8, v2
	v_subrev_u32_e32 v2, 28, v0
	v_sub_u32_e32 v0, 29, v0
	v_cndmask_b32_e32 v2, 0, v2, vcc
	v_cndmask_b32_e32 v0, v3, v0, vcc
	v_lshlrev_b64 v[2:3], v2, v[50:51]
	v_lshlrev_b32_e32 v3, 24, v50
	v_lshlrev_b32_e32 v2, 20, v2
	v_bfrev_b32_e32 v4, 60
	v_and_b32_e32 v2, 0x700000, v2
	v_and_b32_e32 v3, 0x80000000, v3
	v_lshl_add_u32 v0, v0, 23, v4
	v_or3_b32 v0, v3, v0, v2
.LBB6_725:                              ;   in Loop: Header=BB6_354 Depth=4
	s_or_b64 exec, exec, s[38:39]
.LBB6_726:                              ;   in Loop: Header=BB6_354 Depth=4
	s_or_b64 exec, exec, s[28:29]
.LBB6_727:                              ;   in Loop: Header=BB6_354 Depth=4
	s_or_b64 exec, exec, s[40:41]
	v_cmp_ne_u16_sdwa s[40:41], v38, v53 src0_sel:BYTE_0 src1_sel:DWORD
	s_and_saveexec_b64 s[28:29], s[40:41]
	s_cbranch_execz .LBB6_733
; %bb.728:                              ;   in Loop: Header=BB6_354 Depth=4
	v_cmp_ne_u16_sdwa vcc, v38, s82 src0_sel:BYTE_0 src1_sel:DWORD
	v_bfrev_b32_e32 v1, 1
	s_and_saveexec_b64 s[40:41], vcc
	s_cbranch_execz .LBB6_732
; %bb.729:                              ;   in Loop: Header=BB6_354 Depth=4
	v_and_b32_e32 v2, 0x7f, v38
	v_cmp_ne_u32_e32 vcc, s83, v2
	v_mov_b32_e32 v1, 0x7f800001
	s_and_saveexec_b64 s[38:39], vcc
	s_cbranch_execz .LBB6_731
; %bb.730:                              ;   in Loop: Header=BB6_354 Depth=4
	v_and_b32_e32 v1, 7, v38
	v_ffbh_u32_e32 v1, v1
	v_min_u32_e32 v1, 32, v1
	v_lshrrev_b32_e32 v3, 3, v2
	v_cmp_gt_u32_e32 vcc, 8, v2
	v_subrev_u32_e32 v2, 28, v1
	v_sub_u32_e32 v1, 29, v1
	v_cndmask_b32_e32 v3, v3, v1, vcc
	v_cndmask_b32_e32 v1, 0, v2, vcc
	v_lshlrev_b64 v[1:2], v1, v[38:39]
	v_lshlrev_b32_e32 v2, 24, v38
	v_lshlrev_b32_e32 v1, 20, v1
	v_bfrev_b32_e32 v4, 60
	v_and_b32_e32 v1, 0x700000, v1
	v_and_b32_e32 v2, 0x80000000, v2
	v_lshl_add_u32 v3, v3, 23, v4
	v_or3_b32 v1, v2, v3, v1
.LBB6_731:                              ;   in Loop: Header=BB6_354 Depth=4
	s_or_b64 exec, exec, s[38:39]
.LBB6_732:                              ;   in Loop: Header=BB6_354 Depth=4
	s_or_b64 exec, exec, s[40:41]
.LBB6_733:                              ;   in Loop: Header=BB6_354 Depth=4
	s_or_b64 exec, exec, s[28:29]
	v_max_f32_e32 v1, v1, v1
	v_max_f32_e32 v0, v0, v0
	v_min_f32_e32 v0, v0, v1
.LBB6_734:                              ;   in Loop: Header=BB6_354 Depth=4
	v_and_b32_e32 v52, 0x7f800000, v0
	v_cmp_ne_u64_e32 vcc, s[76:77], v[52:53]
	buffer_store_dword v5, off, s[0:3], s33 offset:120 ; 4-byte Folded Spill
                                        ; implicit-def: $vgpr36
	s_and_saveexec_b64 s[28:29], vcc
	s_xor_b64 s[40:41], exec, s[28:29]
	s_cbranch_execz .LBB6_748
; %bb.735:                              ;   in Loop: Header=BB6_354 Depth=4
	v_and_b32_e32 v52, 0x7fffffff, v0
	v_cmp_gt_u64_e32 vcc, s[78:79], v[52:53]
	v_and_b32_sdwa v3, v0, s82 dst_sel:DWORD dst_unused:UNUSED_PAD src0_sel:BYTE_3 src1_sel:DWORD
                                        ; implicit-def: $vgpr36
	s_and_saveexec_b64 s[28:29], vcc
	s_xor_b64 s[38:39], exec, s[28:29]
	s_cbranch_execz .LBB6_745
; %bb.736:                              ;   in Loop: Header=BB6_354 Depth=4
	v_mov_b32_e32 v36, 0
	v_cmp_ne_u32_e32 vcc, 0, v0
	s_and_saveexec_b64 s[48:49], vcc
	s_cbranch_execz .LBB6_744
; %bb.737:                              ;   in Loop: Header=BB6_354 Depth=4
	v_bfe_u32 v4, v0, 23, 8
	v_and_b32_e32 v1, 0x7fffff, v0
	v_cmp_gt_u32_e64 s[28:29], s85, v4
	v_sub_u32_e32 v0, 0x79, v4
	v_cmp_eq_u32_e32 vcc, 0, v4
	v_cndmask_b32_e64 v0, 0, v0, s[28:29]
	v_mov_b32_e32 v5, 0x78
	v_cndmask_b32_e32 v5, v0, v5, vcc
	v_or_b32_e32 v2, 0x800000, v1
	v_add_u32_e32 v0, 20, v5
	v_cndmask_b32_e32 v52, v2, v1, vcc
	v_lshlrev_b64 v[0:1], v0, -1
	v_add_u32_e32 v2, 19, v5
	v_lshlrev_b64 v[28:29], v2, 1
	v_bfi_b32 v1, v1, 0, 0
	v_bfi_b32 v0, v0, 0, v52
	v_cmp_eq_u64_e64 s[28:29], v[0:1], v[28:29]
	v_lshrrev_b64 v[0:1], v5, v[52:53]
	v_mov_b32_e32 v2, v1
	v_mov_b32_e32 v1, v0
	s_and_saveexec_b64 s[50:51], s[28:29]
; %bb.738:                              ;   in Loop: Header=BB6_354 Depth=4
	v_bfe_u32 v1, v0, 20, 1
	v_add_co_u32_e64 v1, s[28:29], v0, v1
	v_add_co_u32_e64 v1, s[28:29], -1, v1
; %bb.739:                              ;   in Loop: Header=BB6_354 Depth=4
	s_or_b64 exec, exec, s[50:51]
	v_add_u32_e32 v2, 0xffffff81, v4
	v_mov_b32_e32 v4, 0xffffff82
	v_cndmask_b32_e32 v2, v2, v4, vcc
	v_lshrrev_b32_e32 v4, 23, v0
	v_add3_u32 v5, v5, v2, v4
	v_add_u32_e32 v4, 6, v5
	v_and_b32_e32 v1, 0xfffff, v1
	v_add_u32_e32 v52, v1, v0
	v_cmp_ne_u32_e32 vcc, 0, v4
                                        ; implicit-def: $vgpr0_vgpr1
                                        ; implicit-def: $vgpr2
	s_and_saveexec_b64 s[28:29], vcc
	s_xor_b64 s[28:29], exec, s[28:29]
; %bb.740:                              ;   in Loop: Header=BB6_354 Depth=4
	v_cmp_lt_u64_e32 vcc, s[88:89], v[52:53]
	v_add_u32_e32 v0, 7, v5
	v_cndmask_b32_e32 v2, v4, v0, vcc
	v_cndmask_b32_e64 v0, 0, 1, vcc
	v_lshrrev_b64 v[0:1], v0, v[52:53]
; %bb.741:                              ;   in Loop: Header=BB6_354 Depth=4
	s_andn2_saveexec_b64 s[28:29], s[28:29]
; %bb.742:                              ;   in Loop: Header=BB6_354 Depth=4
	v_mov_b32_e32 v0, v52
	v_bfe_u32 v2, v52, 23, 1
	v_mov_b32_e32 v1, v53
; %bb.743:                              ;   in Loop: Header=BB6_354 Depth=4
	s_or_b64 exec, exec, s[28:29]
	v_lshrrev_b64 v[0:1], 20, v[0:1]
	v_cmp_gt_i32_e32 vcc, 16, v2
	v_cndmask_b32_e32 v1, 0, v1, vcc
	v_cndmask_b32_e32 v0, 7, v0, vcc
	v_cmp_eq_u64_e64 s[28:29], 0, v[0:1]
	v_min_i32_e32 v1, 15, v2
	v_lshlrev_b32_e32 v1, 3, v1
	v_cmp_eq_u32_e32 vcc, 0, v2
	v_and_b32_e32 v1, 0xf8, v1
	v_and_or_b32 v0, v0, 7, v1
	s_and_b64 s[28:29], vcc, s[28:29]
	v_cndmask_b32_e64 v0, v0, 0, s[28:29]
	v_or_b32_e32 v36, v0, v3
.LBB6_744:                              ;   in Loop: Header=BB6_354 Depth=4
	s_or_b64 exec, exec, s[48:49]
                                        ; implicit-def: $vgpr3
.LBB6_745:                              ;   in Loop: Header=BB6_354 Depth=4
	s_andn2_saveexec_b64 s[28:29], s[38:39]
; %bb.746:                              ;   in Loop: Header=BB6_354 Depth=4
	v_or_b32_e32 v36, 0x7e, v3
; %bb.747:                              ;   in Loop: Header=BB6_354 Depth=4
	s_or_b64 exec, exec, s[28:29]
                                        ; implicit-def: $vgpr0
.LBB6_748:                              ;   in Loop: Header=BB6_354 Depth=4
	s_andn2_saveexec_b64 s[28:29], s[40:41]
; %bb.749:                              ;   in Loop: Header=BB6_354 Depth=4
	v_or_b32_sdwa v36, v0, s83 dst_sel:DWORD dst_unused:UNUSED_PAD src0_sel:BYTE_3 src1_sel:DWORD
; %bb.750:                              ;   in Loop: Header=BB6_354 Depth=4
	s_or_b64 exec, exec, s[28:29]
	v_lshrrev_b16_e32 v2, 8, v50
	v_lshrrev_b16_e32 v0, 8, v38
	v_cmp_ne_u16_e64 s[28:29], 0, v2
	s_mov_b64 s[40:41], -1
	s_and_b64 vcc, exec, s[46:47]
                                        ; implicit-def: $vgpr1
	s_cbranch_vccz .LBB6_764
; %bb.751:                              ;   in Loop: Header=BB6_354 Depth=4
	v_mov_b32_e32 v3, 0
	v_mov_b32_e32 v1, 0
	s_and_saveexec_b64 s[40:41], s[28:29]
	s_cbranch_execz .LBB6_757
; %bb.752:                              ;   in Loop: Header=BB6_354 Depth=4
	v_cmp_ne_u16_e32 vcc, s82, v2
	v_bfrev_b32_e32 v1, 1
	s_and_saveexec_b64 s[38:39], vcc
	s_cbranch_execz .LBB6_756
; %bb.753:                              ;   in Loop: Header=BB6_354 Depth=4
	v_and_b32_e32 v4, 0x7f, v2
	v_cmp_ne_u32_e32 vcc, s83, v4
	v_mov_b32_e32 v1, 0x7f800001
	s_and_saveexec_b64 s[48:49], vcc
	s_cbranch_execz .LBB6_755
; %bb.754:                              ;   in Loop: Header=BB6_354 Depth=4
	v_and_b32_e32 v1, 7, v2
	v_lshrrev_b32_e32 v28, 3, v4
	v_cmp_gt_u32_e32 vcc, 8, v4
	v_ffbh_u32_e32 v4, v1
	v_min_u32_e32 v29, 32, v4
	v_subrev_u32_e32 v4, 28, v29
	v_lshlrev_b64 v[4:5], v4, v[2:3]
	v_sub_u32_e32 v5, 29, v29
	v_and_b32_e32 v4, 7, v4
	v_cndmask_b32_e32 v5, v28, v5, vcc
	v_cndmask_b32_e32 v1, v1, v4, vcc
	v_lshlrev_b32_e32 v4, 16, v50
	v_bfrev_b32_e32 v28, 60
	v_lshlrev_b32_e32 v1, 20, v1
	v_and_b32_e32 v4, 0x80000000, v4
	v_lshl_add_u32 v5, v5, 23, v28
	v_or3_b32 v1, v4, v5, v1
.LBB6_755:                              ;   in Loop: Header=BB6_354 Depth=4
	s_or_b64 exec, exec, s[48:49]
.LBB6_756:                              ;   in Loop: Header=BB6_354 Depth=4
	s_or_b64 exec, exec, s[38:39]
.LBB6_757:                              ;   in Loop: Header=BB6_354 Depth=4
	s_or_b64 exec, exec, s[40:41]
	v_cmp_ne_u16_e32 vcc, 0, v0
	s_and_saveexec_b64 s[40:41], vcc
	s_cbranch_execz .LBB6_763
; %bb.758:                              ;   in Loop: Header=BB6_354 Depth=4
	v_cmp_ne_u16_e32 vcc, s82, v0
	v_bfrev_b32_e32 v3, 1
	s_and_saveexec_b64 s[38:39], vcc
	s_cbranch_execz .LBB6_762
; %bb.759:                              ;   in Loop: Header=BB6_354 Depth=4
	v_and_b32_e32 v4, 0x7f, v0
	v_cmp_ne_u32_e32 vcc, s83, v4
	v_mov_b32_e32 v3, 0x7f800001
	s_and_saveexec_b64 s[48:49], vcc
	s_cbranch_execz .LBB6_761
; %bb.760:                              ;   in Loop: Header=BB6_354 Depth=4
	v_and_b32_e32 v5, 7, v0
	v_ffbh_u32_e32 v3, v5
	v_min_u32_e32 v29, 32, v3
	v_subrev_u32_e32 v3, 28, v29
	v_lshrrev_b32_e32 v28, 3, v4
	v_cmp_gt_u32_e32 vcc, 8, v4
	v_lshlrev_b64 v[3:4], v3, v[0:1]
	v_sub_u32_e32 v4, 29, v29
	v_and_b32_e32 v3, 7, v3
	v_cndmask_b32_e32 v4, v28, v4, vcc
	v_cndmask_b32_e32 v3, v5, v3, vcc
	v_lshlrev_b32_e32 v5, 16, v38
	v_bfrev_b32_e32 v28, 60
	v_lshlrev_b32_e32 v3, 20, v3
	v_and_b32_e32 v5, 0x80000000, v5
	v_lshl_add_u32 v4, v4, 23, v28
	v_or3_b32 v3, v5, v4, v3
.LBB6_761:                              ;   in Loop: Header=BB6_354 Depth=4
	s_or_b64 exec, exec, s[48:49]
.LBB6_762:                              ;   in Loop: Header=BB6_354 Depth=4
	s_or_b64 exec, exec, s[38:39]
.LBB6_763:                              ;   in Loop: Header=BB6_354 Depth=4
	s_or_b64 exec, exec, s[40:41]
	v_max_f32_e32 v3, v3, v3
	v_max_f32_e32 v1, v1, v1
	;; [unrolled: 1-line block ×3, first 2 shown]
	s_mov_b64 s[40:41], 0
.LBB6_764:                              ;   in Loop: Header=BB6_354 Depth=4
	s_and_b64 vcc, exec, s[40:41]
	s_cbranch_vccz .LBB6_778
; %bb.765:                              ;   in Loop: Header=BB6_354 Depth=4
	v_mov_b32_e32 v3, 0
	v_mov_b32_e32 v1, 0
	s_and_saveexec_b64 s[40:41], s[28:29]
	s_cbranch_execz .LBB6_771
; %bb.766:                              ;   in Loop: Header=BB6_354 Depth=4
	v_cmp_ne_u16_e32 vcc, s82, v2
	v_bfrev_b32_e32 v1, 1
	s_and_saveexec_b64 s[28:29], vcc
	s_cbranch_execz .LBB6_770
; %bb.767:                              ;   in Loop: Header=BB6_354 Depth=4
	v_and_b32_e32 v4, 0x7f, v2
	v_cmp_ne_u32_e32 vcc, s83, v4
	v_mov_b32_e32 v1, 0x7f800001
	s_and_saveexec_b64 s[38:39], vcc
	s_cbranch_execz .LBB6_769
; %bb.768:                              ;   in Loop: Header=BB6_354 Depth=4
	v_and_b32_e32 v5, 7, v2
	v_ffbh_u32_e32 v1, v5
	v_lshrrev_b32_e32 v28, 3, v4
	v_cmp_gt_u32_e32 vcc, 8, v4
	v_min_u32_e32 v4, 32, v1
	v_subrev_u32_e32 v1, 28, v4
	v_lshlrev_b64 v[1:2], v1, v[2:3]
	v_sub_u32_e32 v2, 29, v4
	v_and_b32_e32 v1, 7, v1
	v_cndmask_b32_e32 v2, v28, v2, vcc
	v_cndmask_b32_e32 v1, v5, v1, vcc
	v_lshlrev_b32_e32 v4, 16, v50
	v_bfrev_b32_e32 v5, 60
	v_lshlrev_b32_e32 v1, 20, v1
	v_and_b32_e32 v4, 0x80000000, v4
	v_lshl_add_u32 v2, v2, 23, v5
	v_or3_b32 v1, v4, v2, v1
.LBB6_769:                              ;   in Loop: Header=BB6_354 Depth=4
	s_or_b64 exec, exec, s[38:39]
.LBB6_770:                              ;   in Loop: Header=BB6_354 Depth=4
	s_or_b64 exec, exec, s[28:29]
.LBB6_771:                              ;   in Loop: Header=BB6_354 Depth=4
	s_or_b64 exec, exec, s[40:41]
	v_cmp_ne_u16_e32 vcc, 0, v0
	s_and_saveexec_b64 s[28:29], vcc
	s_cbranch_execz .LBB6_777
; %bb.772:                              ;   in Loop: Header=BB6_354 Depth=4
	v_cmp_ne_u16_e32 vcc, s82, v0
	v_bfrev_b32_e32 v3, 1
	s_and_saveexec_b64 s[40:41], vcc
	s_cbranch_execz .LBB6_776
; %bb.773:                              ;   in Loop: Header=BB6_354 Depth=4
	v_and_b32_e32 v2, 0x7f, v0
	v_cmp_ne_u32_e32 vcc, s83, v2
	v_mov_b32_e32 v3, 0x7f800001
	s_and_saveexec_b64 s[38:39], vcc
	s_cbranch_execz .LBB6_775
; %bb.774:                              ;   in Loop: Header=BB6_354 Depth=4
	v_and_b32_e32 v4, 7, v0
	v_lshrrev_b32_e32 v5, 3, v2
	v_cmp_gt_u32_e32 vcc, 8, v2
	v_ffbh_u32_e32 v2, v4
	v_min_u32_e32 v28, 32, v2
	v_subrev_u32_e32 v2, 28, v28
	v_lshlrev_b64 v[2:3], v2, v[0:1]
	v_sub_u32_e32 v0, 29, v28
	v_and_b32_e32 v2, 7, v2
	v_cndmask_b32_e32 v0, v5, v0, vcc
	v_cndmask_b32_e32 v2, v4, v2, vcc
	v_lshlrev_b32_e32 v3, 16, v38
	v_bfrev_b32_e32 v4, 60
	v_lshlrev_b32_e32 v2, 20, v2
	v_and_b32_e32 v3, 0x80000000, v3
	v_lshl_add_u32 v0, v0, 23, v4
	v_or3_b32 v3, v3, v0, v2
.LBB6_775:                              ;   in Loop: Header=BB6_354 Depth=4
	s_or_b64 exec, exec, s[38:39]
.LBB6_776:                              ;   in Loop: Header=BB6_354 Depth=4
	s_or_b64 exec, exec, s[40:41]
.LBB6_777:                              ;   in Loop: Header=BB6_354 Depth=4
	s_or_b64 exec, exec, s[28:29]
	v_max_f32_e32 v0, v3, v3
	v_max_f32_e32 v1, v1, v1
	v_min_f32_e32 v1, v1, v0
.LBB6_778:                              ;   in Loop: Header=BB6_354 Depth=4
	v_and_b32_e32 v52, 0x7f800000, v1
	v_cmp_ne_u64_e32 vcc, s[76:77], v[52:53]
	buffer_store_dword v36, off, s[0:3], s33 offset:124 ; 4-byte Folded Spill
                                        ; implicit-def: $vgpr36
	s_and_saveexec_b64 s[28:29], vcc
	s_xor_b64 s[40:41], exec, s[28:29]
	s_cbranch_execz .LBB6_792
; %bb.779:                              ;   in Loop: Header=BB6_354 Depth=4
	v_and_b32_e32 v52, 0x7fffffff, v1
	v_cmp_gt_u64_e32 vcc, s[78:79], v[52:53]
	v_and_b32_sdwa v3, v1, s82 dst_sel:DWORD dst_unused:UNUSED_PAD src0_sel:BYTE_3 src1_sel:DWORD
                                        ; implicit-def: $vgpr36
	s_and_saveexec_b64 s[28:29], vcc
	s_xor_b64 s[38:39], exec, s[28:29]
	s_cbranch_execz .LBB6_789
; %bb.780:                              ;   in Loop: Header=BB6_354 Depth=4
	v_mov_b32_e32 v36, 0
	v_cmp_ne_u32_e32 vcc, 0, v1
	s_and_saveexec_b64 s[48:49], vcc
	s_cbranch_execz .LBB6_788
; %bb.781:                              ;   in Loop: Header=BB6_354 Depth=4
	v_bfe_u32 v4, v1, 23, 8
	v_and_b32_e32 v0, 0x7fffff, v1
	v_cmp_gt_u32_e64 s[28:29], s85, v4
	v_sub_u32_e32 v1, 0x79, v4
	v_cmp_eq_u32_e32 vcc, 0, v4
	v_cndmask_b32_e64 v1, 0, v1, s[28:29]
	v_mov_b32_e32 v5, 0x78
	v_or_b32_e32 v2, 0x800000, v0
	v_cndmask_b32_e32 v5, v1, v5, vcc
	v_cndmask_b32_e32 v52, v2, v0, vcc
	v_add_u32_e32 v0, 20, v5
	v_lshlrev_b64 v[0:1], v0, -1
	v_add_u32_e32 v2, 19, v5
	v_lshlrev_b64 v[28:29], v2, 1
	v_bfi_b32 v1, v1, 0, 0
	v_bfi_b32 v0, v0, 0, v52
	v_cmp_eq_u64_e64 s[28:29], v[0:1], v[28:29]
	v_lshrrev_b64 v[0:1], v5, v[52:53]
	v_mov_b32_e32 v2, v1
	v_mov_b32_e32 v1, v0
	s_and_saveexec_b64 s[50:51], s[28:29]
; %bb.782:                              ;   in Loop: Header=BB6_354 Depth=4
	v_bfe_u32 v1, v0, 20, 1
	v_add_co_u32_e64 v1, s[28:29], v0, v1
	v_add_co_u32_e64 v1, s[28:29], -1, v1
; %bb.783:                              ;   in Loop: Header=BB6_354 Depth=4
	s_or_b64 exec, exec, s[50:51]
	v_add_u32_e32 v2, 0xffffff81, v4
	v_mov_b32_e32 v4, 0xffffff82
	v_cndmask_b32_e32 v2, v2, v4, vcc
	v_lshrrev_b32_e32 v4, 23, v0
	v_add3_u32 v5, v5, v2, v4
	v_add_u32_e32 v4, 6, v5
	v_and_b32_e32 v1, 0xfffff, v1
	v_add_u32_e32 v52, v1, v0
	v_cmp_ne_u32_e32 vcc, 0, v4
                                        ; implicit-def: $vgpr0_vgpr1
                                        ; implicit-def: $vgpr2
	s_and_saveexec_b64 s[28:29], vcc
	s_xor_b64 s[28:29], exec, s[28:29]
; %bb.784:                              ;   in Loop: Header=BB6_354 Depth=4
	v_cmp_lt_u64_e32 vcc, s[88:89], v[52:53]
	v_add_u32_e32 v0, 7, v5
	v_cndmask_b32_e32 v2, v4, v0, vcc
	v_cndmask_b32_e64 v0, 0, 1, vcc
	v_lshrrev_b64 v[0:1], v0, v[52:53]
; %bb.785:                              ;   in Loop: Header=BB6_354 Depth=4
	s_andn2_saveexec_b64 s[28:29], s[28:29]
; %bb.786:                              ;   in Loop: Header=BB6_354 Depth=4
	v_mov_b32_e32 v0, v52
	v_bfe_u32 v2, v52, 23, 1
	v_mov_b32_e32 v1, v53
; %bb.787:                              ;   in Loop: Header=BB6_354 Depth=4
	s_or_b64 exec, exec, s[28:29]
	v_lshrrev_b64 v[0:1], 20, v[0:1]
	v_cmp_gt_i32_e32 vcc, 16, v2
	v_cndmask_b32_e32 v1, 0, v1, vcc
	v_cndmask_b32_e32 v0, 7, v0, vcc
	v_cmp_eq_u64_e64 s[28:29], 0, v[0:1]
	v_min_i32_e32 v1, 15, v2
	v_lshlrev_b32_e32 v1, 3, v1
	v_cmp_eq_u32_e32 vcc, 0, v2
	v_and_b32_e32 v1, 0xf8, v1
	v_and_or_b32 v0, v0, 7, v1
	s_and_b64 s[28:29], vcc, s[28:29]
	v_cndmask_b32_e64 v0, v0, 0, s[28:29]
	v_or_b32_e32 v36, v0, v3
.LBB6_788:                              ;   in Loop: Header=BB6_354 Depth=4
	s_or_b64 exec, exec, s[48:49]
                                        ; implicit-def: $vgpr3
.LBB6_789:                              ;   in Loop: Header=BB6_354 Depth=4
	s_andn2_saveexec_b64 s[28:29], s[38:39]
; %bb.790:                              ;   in Loop: Header=BB6_354 Depth=4
	v_or_b32_e32 v36, 0x7e, v3
; %bb.791:                              ;   in Loop: Header=BB6_354 Depth=4
	s_or_b64 exec, exec, s[28:29]
                                        ; implicit-def: $vgpr1
.LBB6_792:                              ;   in Loop: Header=BB6_354 Depth=4
	s_andn2_saveexec_b64 s[28:29], s[40:41]
; %bb.793:                              ;   in Loop: Header=BB6_354 Depth=4
	v_or_b32_sdwa v36, v1, s83 dst_sel:DWORD dst_unused:UNUSED_PAD src0_sel:BYTE_3 src1_sel:DWORD
; %bb.794:                              ;   in Loop: Header=BB6_354 Depth=4
	s_or_b64 exec, exec, s[28:29]
	v_lshrrev_b32_e32 v2, 16, v50
	v_lshrrev_b32_e32 v0, 16, v38
	v_cmp_ne_u16_sdwa s[28:29], v2, v53 src0_sel:BYTE_0 src1_sel:DWORD
	s_mov_b64 s[40:41], -1
	s_and_b64 vcc, exec, s[46:47]
                                        ; implicit-def: $vgpr1
	s_cbranch_vccz .LBB6_808
; %bb.795:                              ;   in Loop: Header=BB6_354 Depth=4
	v_mov_b32_e32 v3, 0
	v_mov_b32_e32 v1, 0
	s_and_saveexec_b64 s[40:41], s[28:29]
	s_cbranch_execz .LBB6_801
; %bb.796:                              ;   in Loop: Header=BB6_354 Depth=4
	v_cmp_ne_u16_sdwa vcc, v2, s82 src0_sel:BYTE_0 src1_sel:DWORD
	v_bfrev_b32_e32 v1, 1
	s_and_saveexec_b64 s[38:39], vcc
	s_cbranch_execz .LBB6_800
; %bb.797:                              ;   in Loop: Header=BB6_354 Depth=4
	v_bfe_u32 v4, v50, 16, 7
	v_cmp_ne_u32_e32 vcc, s83, v4
	v_mov_b32_e32 v1, 0x7f800001
	s_and_saveexec_b64 s[48:49], vcc
	s_cbranch_execz .LBB6_799
; %bb.798:                              ;   in Loop: Header=BB6_354 Depth=4
	v_and_b32_e32 v1, 7, v2
	v_lshrrev_b32_e32 v28, 3, v4
	v_cmp_gt_u32_e32 vcc, 8, v4
	v_ffbh_u32_e32 v4, v1
	v_min_u32_e32 v29, 32, v4
	v_subrev_u32_e32 v4, 28, v29
	v_lshlrev_b64 v[4:5], v4, v[2:3]
	v_sub_u32_e32 v5, 29, v29
	v_and_b32_e32 v4, 7, v4
	v_cndmask_b32_e32 v5, v28, v5, vcc
	v_cndmask_b32_e32 v1, v1, v4, vcc
	v_lshlrev_b32_e32 v4, 24, v2
	v_bfrev_b32_e32 v28, 60
	v_lshlrev_b32_e32 v1, 20, v1
	v_and_b32_e32 v4, 0x80000000, v4
	v_lshl_add_u32 v5, v5, 23, v28
	v_or3_b32 v1, v4, v5, v1
.LBB6_799:                              ;   in Loop: Header=BB6_354 Depth=4
	s_or_b64 exec, exec, s[48:49]
.LBB6_800:                              ;   in Loop: Header=BB6_354 Depth=4
	s_or_b64 exec, exec, s[38:39]
.LBB6_801:                              ;   in Loop: Header=BB6_354 Depth=4
	s_or_b64 exec, exec, s[40:41]
	v_cmp_ne_u16_sdwa vcc, v0, v53 src0_sel:BYTE_0 src1_sel:DWORD
	s_and_saveexec_b64 s[40:41], vcc
	s_cbranch_execz .LBB6_807
; %bb.802:                              ;   in Loop: Header=BB6_354 Depth=4
	v_cmp_ne_u16_sdwa vcc, v0, s82 src0_sel:BYTE_0 src1_sel:DWORD
	v_bfrev_b32_e32 v3, 1
	s_and_saveexec_b64 s[38:39], vcc
	s_cbranch_execz .LBB6_806
; %bb.803:                              ;   in Loop: Header=BB6_354 Depth=4
	v_bfe_u32 v4, v38, 16, 7
	v_cmp_ne_u32_e32 vcc, s83, v4
	v_mov_b32_e32 v3, 0x7f800001
	s_and_saveexec_b64 s[48:49], vcc
	s_cbranch_execz .LBB6_805
; %bb.804:                              ;   in Loop: Header=BB6_354 Depth=4
	v_and_b32_e32 v5, 7, v0
	v_ffbh_u32_e32 v3, v5
	v_min_u32_e32 v29, 32, v3
	v_subrev_u32_e32 v3, 28, v29
	v_lshrrev_b32_e32 v28, 3, v4
	v_cmp_gt_u32_e32 vcc, 8, v4
	v_lshlrev_b64 v[3:4], v3, v[0:1]
	v_sub_u32_e32 v4, 29, v29
	v_and_b32_e32 v3, 7, v3
	v_cndmask_b32_e32 v4, v28, v4, vcc
	v_cndmask_b32_e32 v3, v5, v3, vcc
	v_lshlrev_b32_e32 v5, 24, v0
	v_bfrev_b32_e32 v28, 60
	v_lshlrev_b32_e32 v3, 20, v3
	v_and_b32_e32 v5, 0x80000000, v5
	v_lshl_add_u32 v4, v4, 23, v28
	v_or3_b32 v3, v5, v4, v3
.LBB6_805:                              ;   in Loop: Header=BB6_354 Depth=4
	s_or_b64 exec, exec, s[48:49]
.LBB6_806:                              ;   in Loop: Header=BB6_354 Depth=4
	s_or_b64 exec, exec, s[38:39]
.LBB6_807:                              ;   in Loop: Header=BB6_354 Depth=4
	s_or_b64 exec, exec, s[40:41]
	v_max_f32_e32 v3, v3, v3
	v_max_f32_e32 v1, v1, v1
	;; [unrolled: 1-line block ×3, first 2 shown]
	s_mov_b64 s[40:41], 0
.LBB6_808:                              ;   in Loop: Header=BB6_354 Depth=4
	s_and_b64 vcc, exec, s[40:41]
	s_cbranch_vccz .LBB6_822
; %bb.809:                              ;   in Loop: Header=BB6_354 Depth=4
	v_mov_b32_e32 v3, 0
	v_mov_b32_e32 v1, 0
	s_and_saveexec_b64 s[40:41], s[28:29]
	s_cbranch_execz .LBB6_815
; %bb.810:                              ;   in Loop: Header=BB6_354 Depth=4
	v_cmp_ne_u16_sdwa vcc, v2, s82 src0_sel:BYTE_0 src1_sel:DWORD
	v_bfrev_b32_e32 v1, 1
	s_and_saveexec_b64 s[28:29], vcc
	s_cbranch_execz .LBB6_814
; %bb.811:                              ;   in Loop: Header=BB6_354 Depth=4
	v_bfe_u32 v4, v50, 16, 7
	v_cmp_ne_u32_e32 vcc, s83, v4
	v_mov_b32_e32 v1, 0x7f800001
	s_and_saveexec_b64 s[38:39], vcc
	s_cbranch_execz .LBB6_813
; %bb.812:                              ;   in Loop: Header=BB6_354 Depth=4
	v_and_b32_e32 v1, 7, v2
	v_lshrrev_b32_e32 v28, 3, v4
	v_cmp_gt_u32_e32 vcc, 8, v4
	v_ffbh_u32_e32 v4, v1
	v_min_u32_e32 v29, 32, v4
	v_subrev_u32_e32 v4, 28, v29
	v_lshlrev_b64 v[4:5], v4, v[2:3]
	v_sub_u32_e32 v5, 29, v29
	v_and_b32_e32 v4, 7, v4
	v_cndmask_b32_e32 v5, v28, v5, vcc
	v_cndmask_b32_e32 v1, v1, v4, vcc
	v_lshlrev_b32_e32 v2, 24, v2
	v_bfrev_b32_e32 v4, 60
	v_lshlrev_b32_e32 v1, 20, v1
	v_and_b32_e32 v2, 0x80000000, v2
	v_lshl_add_u32 v4, v5, 23, v4
	v_or3_b32 v1, v2, v4, v1
.LBB6_813:                              ;   in Loop: Header=BB6_354 Depth=4
	s_or_b64 exec, exec, s[38:39]
.LBB6_814:                              ;   in Loop: Header=BB6_354 Depth=4
	s_or_b64 exec, exec, s[28:29]
.LBB6_815:                              ;   in Loop: Header=BB6_354 Depth=4
	s_or_b64 exec, exec, s[40:41]
	v_cmp_ne_u16_sdwa s[40:41], v0, v53 src0_sel:BYTE_0 src1_sel:DWORD
	s_and_saveexec_b64 s[28:29], s[40:41]
	s_cbranch_execz .LBB6_821
; %bb.816:                              ;   in Loop: Header=BB6_354 Depth=4
	v_cmp_ne_u16_sdwa vcc, v0, s82 src0_sel:BYTE_0 src1_sel:DWORD
	v_bfrev_b32_e32 v3, 1
	s_and_saveexec_b64 s[40:41], vcc
	s_cbranch_execz .LBB6_820
; %bb.817:                              ;   in Loop: Header=BB6_354 Depth=4
	v_bfe_u32 v2, v38, 16, 7
	v_cmp_ne_u32_e32 vcc, s83, v2
	v_mov_b32_e32 v3, 0x7f800001
	s_and_saveexec_b64 s[38:39], vcc
	s_cbranch_execz .LBB6_819
; %bb.818:                              ;   in Loop: Header=BB6_354 Depth=4
	v_and_b32_e32 v4, 7, v0
	v_lshrrev_b32_e32 v5, 3, v2
	v_cmp_gt_u32_e32 vcc, 8, v2
	v_ffbh_u32_e32 v2, v4
	v_min_u32_e32 v28, 32, v2
	v_subrev_u32_e32 v2, 28, v28
	v_lshlrev_b64 v[2:3], v2, v[0:1]
	v_sub_u32_e32 v3, 29, v28
	v_and_b32_e32 v2, 7, v2
	v_cndmask_b32_e32 v3, v5, v3, vcc
	v_cndmask_b32_e32 v2, v4, v2, vcc
	v_lshlrev_b32_e32 v0, 24, v0
	v_bfrev_b32_e32 v4, 60
	v_lshlrev_b32_e32 v2, 20, v2
	v_and_b32_e32 v0, 0x80000000, v0
	v_lshl_add_u32 v3, v3, 23, v4
	v_or3_b32 v3, v0, v3, v2
.LBB6_819:                              ;   in Loop: Header=BB6_354 Depth=4
	s_or_b64 exec, exec, s[38:39]
.LBB6_820:                              ;   in Loop: Header=BB6_354 Depth=4
	s_or_b64 exec, exec, s[40:41]
.LBB6_821:                              ;   in Loop: Header=BB6_354 Depth=4
	s_or_b64 exec, exec, s[28:29]
	v_max_f32_e32 v0, v3, v3
	v_max_f32_e32 v1, v1, v1
	v_min_f32_e32 v1, v1, v0
.LBB6_822:                              ;   in Loop: Header=BB6_354 Depth=4
	v_and_b32_e32 v52, 0x7f800000, v1
	v_cmp_ne_u64_e32 vcc, s[76:77], v[52:53]
	buffer_store_dword v36, off, s[0:3], s33 offset:128 ; 4-byte Folded Spill
                                        ; implicit-def: $vgpr36
	s_and_saveexec_b64 s[28:29], vcc
	s_xor_b64 s[40:41], exec, s[28:29]
	s_cbranch_execz .LBB6_836
; %bb.823:                              ;   in Loop: Header=BB6_354 Depth=4
	v_and_b32_e32 v52, 0x7fffffff, v1
	v_cmp_gt_u64_e32 vcc, s[78:79], v[52:53]
	v_and_b32_sdwa v3, v1, s82 dst_sel:DWORD dst_unused:UNUSED_PAD src0_sel:BYTE_3 src1_sel:DWORD
                                        ; implicit-def: $vgpr36
	s_and_saveexec_b64 s[28:29], vcc
	s_xor_b64 s[38:39], exec, s[28:29]
	s_cbranch_execz .LBB6_833
; %bb.824:                              ;   in Loop: Header=BB6_354 Depth=4
	v_mov_b32_e32 v36, 0
	v_cmp_ne_u32_e32 vcc, 0, v1
	s_and_saveexec_b64 s[48:49], vcc
	s_cbranch_execz .LBB6_832
; %bb.825:                              ;   in Loop: Header=BB6_354 Depth=4
	v_bfe_u32 v4, v1, 23, 8
	v_and_b32_e32 v0, 0x7fffff, v1
	v_cmp_gt_u32_e64 s[28:29], s85, v4
	v_sub_u32_e32 v1, 0x79, v4
	v_cmp_eq_u32_e32 vcc, 0, v4
	v_cndmask_b32_e64 v1, 0, v1, s[28:29]
	v_mov_b32_e32 v5, 0x78
	v_or_b32_e32 v2, 0x800000, v0
	v_cndmask_b32_e32 v5, v1, v5, vcc
	v_cndmask_b32_e32 v52, v2, v0, vcc
	v_add_u32_e32 v0, 20, v5
	v_lshlrev_b64 v[0:1], v0, -1
	v_add_u32_e32 v2, 19, v5
	v_lshlrev_b64 v[28:29], v2, 1
	v_bfi_b32 v1, v1, 0, 0
	v_bfi_b32 v0, v0, 0, v52
	v_cmp_eq_u64_e64 s[28:29], v[0:1], v[28:29]
	v_lshrrev_b64 v[0:1], v5, v[52:53]
	v_mov_b32_e32 v2, v1
	v_mov_b32_e32 v1, v0
	s_and_saveexec_b64 s[50:51], s[28:29]
; %bb.826:                              ;   in Loop: Header=BB6_354 Depth=4
	v_bfe_u32 v1, v0, 20, 1
	v_add_co_u32_e64 v1, s[28:29], v0, v1
	v_add_co_u32_e64 v1, s[28:29], -1, v1
; %bb.827:                              ;   in Loop: Header=BB6_354 Depth=4
	s_or_b64 exec, exec, s[50:51]
	v_add_u32_e32 v2, 0xffffff81, v4
	v_mov_b32_e32 v4, 0xffffff82
	v_cndmask_b32_e32 v2, v2, v4, vcc
	v_lshrrev_b32_e32 v4, 23, v0
	v_add3_u32 v5, v5, v2, v4
	v_add_u32_e32 v4, 6, v5
	v_and_b32_e32 v1, 0xfffff, v1
	v_add_u32_e32 v52, v1, v0
	v_cmp_ne_u32_e32 vcc, 0, v4
                                        ; implicit-def: $vgpr0_vgpr1
                                        ; implicit-def: $vgpr2
	s_and_saveexec_b64 s[28:29], vcc
	s_xor_b64 s[28:29], exec, s[28:29]
; %bb.828:                              ;   in Loop: Header=BB6_354 Depth=4
	v_cmp_lt_u64_e32 vcc, s[88:89], v[52:53]
	v_add_u32_e32 v0, 7, v5
	v_cndmask_b32_e32 v2, v4, v0, vcc
	v_cndmask_b32_e64 v0, 0, 1, vcc
	v_lshrrev_b64 v[0:1], v0, v[52:53]
; %bb.829:                              ;   in Loop: Header=BB6_354 Depth=4
	s_andn2_saveexec_b64 s[28:29], s[28:29]
; %bb.830:                              ;   in Loop: Header=BB6_354 Depth=4
	v_mov_b32_e32 v0, v52
	v_bfe_u32 v2, v52, 23, 1
	v_mov_b32_e32 v1, v53
; %bb.831:                              ;   in Loop: Header=BB6_354 Depth=4
	s_or_b64 exec, exec, s[28:29]
	v_lshrrev_b64 v[0:1], 20, v[0:1]
	v_cmp_gt_i32_e32 vcc, 16, v2
	v_cndmask_b32_e32 v1, 0, v1, vcc
	v_cndmask_b32_e32 v0, 7, v0, vcc
	v_cmp_eq_u64_e64 s[28:29], 0, v[0:1]
	v_min_i32_e32 v1, 15, v2
	v_lshlrev_b32_e32 v1, 3, v1
	v_cmp_eq_u32_e32 vcc, 0, v2
	v_and_b32_e32 v1, 0xf8, v1
	v_and_or_b32 v0, v0, 7, v1
	s_and_b64 s[28:29], vcc, s[28:29]
	v_cndmask_b32_e64 v0, v0, 0, s[28:29]
	v_or_b32_e32 v36, v0, v3
.LBB6_832:                              ;   in Loop: Header=BB6_354 Depth=4
	s_or_b64 exec, exec, s[48:49]
                                        ; implicit-def: $vgpr3
.LBB6_833:                              ;   in Loop: Header=BB6_354 Depth=4
	s_andn2_saveexec_b64 s[28:29], s[38:39]
; %bb.834:                              ;   in Loop: Header=BB6_354 Depth=4
	v_or_b32_e32 v36, 0x7e, v3
; %bb.835:                              ;   in Loop: Header=BB6_354 Depth=4
	s_or_b64 exec, exec, s[28:29]
                                        ; implicit-def: $vgpr1
.LBB6_836:                              ;   in Loop: Header=BB6_354 Depth=4
	s_andn2_saveexec_b64 s[28:29], s[40:41]
; %bb.837:                              ;   in Loop: Header=BB6_354 Depth=4
	v_or_b32_sdwa v36, v1, s83 dst_sel:DWORD dst_unused:UNUSED_PAD src0_sel:BYTE_3 src1_sel:DWORD
; %bb.838:                              ;   in Loop: Header=BB6_354 Depth=4
	s_or_b64 exec, exec, s[28:29]
	v_lshrrev_b32_e32 v2, 24, v50
	v_lshrrev_b32_e32 v0, 24, v38
	v_cmp_lt_u32_e64 s[28:29], s63, v50
	s_mov_b64 s[40:41], -1
	s_and_b64 vcc, exec, s[46:47]
                                        ; implicit-def: $vgpr1
	s_cbranch_vccz .LBB6_852
; %bb.839:                              ;   in Loop: Header=BB6_354 Depth=4
	v_mov_b32_e32 v3, 0
	v_mov_b32_e32 v1, 0
	s_and_saveexec_b64 s[40:41], s[28:29]
	s_cbranch_execz .LBB6_845
; %bb.840:                              ;   in Loop: Header=BB6_354 Depth=4
	v_cmp_ne_u32_e32 vcc, s82, v2
	v_bfrev_b32_e32 v1, 1
	s_and_saveexec_b64 s[38:39], vcc
	s_cbranch_execz .LBB6_844
; %bb.841:                              ;   in Loop: Header=BB6_354 Depth=4
	v_bfe_u32 v4, v50, 24, 7
	v_cmp_ne_u32_e32 vcc, s83, v4
	v_mov_b32_e32 v1, 0x7f800001
	s_and_saveexec_b64 s[48:49], vcc
	s_cbranch_execz .LBB6_843
; %bb.842:                              ;   in Loop: Header=BB6_354 Depth=4
	v_and_b32_e32 v1, 7, v2
	v_lshrrev_b32_e32 v28, 3, v4
	v_cmp_gt_u32_e32 vcc, 8, v4
	v_ffbh_u32_e32 v4, v1
	v_min_u32_e32 v29, 32, v4
	v_subrev_u32_e32 v4, 28, v29
	v_lshlrev_b64 v[4:5], v4, v[2:3]
	v_sub_u32_e32 v5, 29, v29
	v_and_b32_e32 v4, 7, v4
	v_cndmask_b32_e32 v5, v28, v5, vcc
	v_cndmask_b32_e32 v1, v1, v4, vcc
	v_lshlrev_b32_e32 v4, 24, v2
	v_bfrev_b32_e32 v28, 60
	v_lshlrev_b32_e32 v1, 20, v1
	v_and_b32_e32 v4, 0x80000000, v4
	v_lshl_add_u32 v5, v5, 23, v28
	v_or3_b32 v1, v4, v5, v1
.LBB6_843:                              ;   in Loop: Header=BB6_354 Depth=4
	s_or_b64 exec, exec, s[48:49]
.LBB6_844:                              ;   in Loop: Header=BB6_354 Depth=4
	s_or_b64 exec, exec, s[38:39]
.LBB6_845:                              ;   in Loop: Header=BB6_354 Depth=4
	s_or_b64 exec, exec, s[40:41]
	v_cmp_lt_u32_e32 vcc, s63, v38
	s_and_saveexec_b64 s[40:41], vcc
	s_cbranch_execz .LBB6_851
; %bb.846:                              ;   in Loop: Header=BB6_354 Depth=4
	v_cmp_ne_u32_e32 vcc, s82, v0
	v_bfrev_b32_e32 v3, 1
	s_and_saveexec_b64 s[38:39], vcc
	s_cbranch_execz .LBB6_850
; %bb.847:                              ;   in Loop: Header=BB6_354 Depth=4
	v_bfe_u32 v4, v38, 24, 7
	v_cmp_ne_u32_e32 vcc, s83, v4
	v_mov_b32_e32 v3, 0x7f800001
	s_and_saveexec_b64 s[48:49], vcc
	s_cbranch_execz .LBB6_849
; %bb.848:                              ;   in Loop: Header=BB6_354 Depth=4
	v_and_b32_e32 v5, 7, v0
	v_ffbh_u32_e32 v3, v5
	v_min_u32_e32 v29, 32, v3
	v_subrev_u32_e32 v3, 28, v29
	v_lshrrev_b32_e32 v28, 3, v4
	v_cmp_gt_u32_e32 vcc, 8, v4
	v_lshlrev_b64 v[3:4], v3, v[0:1]
	v_sub_u32_e32 v4, 29, v29
	v_and_b32_e32 v3, 7, v3
	v_cndmask_b32_e32 v4, v28, v4, vcc
	v_cndmask_b32_e32 v3, v5, v3, vcc
	v_lshlrev_b32_e32 v5, 24, v0
	v_bfrev_b32_e32 v28, 60
	v_lshlrev_b32_e32 v3, 20, v3
	v_and_b32_e32 v5, 0x80000000, v5
	v_lshl_add_u32 v4, v4, 23, v28
	v_or3_b32 v3, v5, v4, v3
.LBB6_849:                              ;   in Loop: Header=BB6_354 Depth=4
	s_or_b64 exec, exec, s[48:49]
.LBB6_850:                              ;   in Loop: Header=BB6_354 Depth=4
	s_or_b64 exec, exec, s[38:39]
.LBB6_851:                              ;   in Loop: Header=BB6_354 Depth=4
	s_or_b64 exec, exec, s[40:41]
	v_max_f32_e32 v3, v3, v3
	v_max_f32_e32 v1, v1, v1
	;; [unrolled: 1-line block ×3, first 2 shown]
	s_mov_b64 s[40:41], 0
.LBB6_852:                              ;   in Loop: Header=BB6_354 Depth=4
	s_and_b64 vcc, exec, s[40:41]
	s_cbranch_vccz .LBB6_866
; %bb.853:                              ;   in Loop: Header=BB6_354 Depth=4
	v_mov_b32_e32 v3, 0
	v_mov_b32_e32 v1, 0
	s_and_saveexec_b64 s[40:41], s[28:29]
	s_cbranch_execz .LBB6_859
; %bb.854:                              ;   in Loop: Header=BB6_354 Depth=4
	v_cmp_ne_u32_e32 vcc, s82, v2
	v_bfrev_b32_e32 v1, 1
	s_and_saveexec_b64 s[28:29], vcc
	s_cbranch_execz .LBB6_858
; %bb.855:                              ;   in Loop: Header=BB6_354 Depth=4
	v_bfe_u32 v4, v50, 24, 7
	v_cmp_ne_u32_e32 vcc, s83, v4
	v_mov_b32_e32 v1, 0x7f800001
	s_and_saveexec_b64 s[38:39], vcc
	s_cbranch_execz .LBB6_857
; %bb.856:                              ;   in Loop: Header=BB6_354 Depth=4
	v_and_b32_e32 v1, 7, v2
	v_lshrrev_b32_e32 v28, 3, v4
	v_cmp_gt_u32_e32 vcc, 8, v4
	v_ffbh_u32_e32 v4, v1
	v_min_u32_e32 v29, 32, v4
	v_subrev_u32_e32 v4, 28, v29
	v_lshlrev_b64 v[4:5], v4, v[2:3]
	v_sub_u32_e32 v5, 29, v29
	v_and_b32_e32 v4, 7, v4
	v_cndmask_b32_e32 v5, v28, v5, vcc
	v_cndmask_b32_e32 v1, v1, v4, vcc
	v_lshlrev_b32_e32 v2, 24, v2
	v_bfrev_b32_e32 v4, 60
	v_lshlrev_b32_e32 v1, 20, v1
	v_and_b32_e32 v2, 0x80000000, v2
	v_lshl_add_u32 v4, v5, 23, v4
	v_or3_b32 v1, v2, v4, v1
.LBB6_857:                              ;   in Loop: Header=BB6_354 Depth=4
	s_or_b64 exec, exec, s[38:39]
.LBB6_858:                              ;   in Loop: Header=BB6_354 Depth=4
	s_or_b64 exec, exec, s[28:29]
.LBB6_859:                              ;   in Loop: Header=BB6_354 Depth=4
	s_or_b64 exec, exec, s[40:41]
	v_cmp_lt_u32_e32 vcc, s63, v38
	s_and_saveexec_b64 s[28:29], vcc
	s_cbranch_execz .LBB6_865
; %bb.860:                              ;   in Loop: Header=BB6_354 Depth=4
	v_cmp_ne_u32_e32 vcc, s82, v0
	v_bfrev_b32_e32 v3, 1
	s_and_saveexec_b64 s[40:41], vcc
	s_cbranch_execz .LBB6_864
; %bb.861:                              ;   in Loop: Header=BB6_354 Depth=4
	v_bfe_u32 v2, v38, 24, 7
	v_cmp_ne_u32_e32 vcc, s83, v2
	v_mov_b32_e32 v3, 0x7f800001
	s_and_saveexec_b64 s[38:39], vcc
	s_cbranch_execz .LBB6_863
; %bb.862:                              ;   in Loop: Header=BB6_354 Depth=4
	v_and_b32_e32 v4, 7, v0
	v_lshrrev_b32_e32 v5, 3, v2
	v_cmp_gt_u32_e32 vcc, 8, v2
	v_ffbh_u32_e32 v2, v4
	v_min_u32_e32 v28, 32, v2
	v_subrev_u32_e32 v2, 28, v28
	v_lshlrev_b64 v[2:3], v2, v[0:1]
	v_sub_u32_e32 v3, 29, v28
	v_and_b32_e32 v2, 7, v2
	v_cndmask_b32_e32 v3, v5, v3, vcc
	v_cndmask_b32_e32 v2, v4, v2, vcc
	v_lshlrev_b32_e32 v0, 24, v0
	v_bfrev_b32_e32 v4, 60
	v_lshlrev_b32_e32 v2, 20, v2
	v_and_b32_e32 v0, 0x80000000, v0
	v_lshl_add_u32 v3, v3, 23, v4
	v_or3_b32 v3, v0, v3, v2
.LBB6_863:                              ;   in Loop: Header=BB6_354 Depth=4
	s_or_b64 exec, exec, s[38:39]
.LBB6_864:                              ;   in Loop: Header=BB6_354 Depth=4
	s_or_b64 exec, exec, s[40:41]
.LBB6_865:                              ;   in Loop: Header=BB6_354 Depth=4
	s_or_b64 exec, exec, s[28:29]
	v_max_f32_e32 v0, v3, v3
	v_max_f32_e32 v1, v1, v1
	v_min_f32_e32 v1, v1, v0
.LBB6_866:                              ;   in Loop: Header=BB6_354 Depth=4
	v_and_b32_e32 v52, 0x7f800000, v1
	v_cmp_ne_u64_e32 vcc, s[76:77], v[52:53]
	buffer_store_dword v36, off, s[0:3], s33 offset:132 ; 4-byte Folded Spill
                                        ; implicit-def: $vgpr54
	s_and_saveexec_b64 s[28:29], vcc
	s_xor_b64 s[40:41], exec, s[28:29]
	s_cbranch_execz .LBB6_880
; %bb.867:                              ;   in Loop: Header=BB6_354 Depth=4
	v_and_b32_e32 v52, 0x7fffffff, v1
	v_cmp_gt_u64_e32 vcc, s[78:79], v[52:53]
	v_and_b32_sdwa v3, v1, s82 dst_sel:DWORD dst_unused:UNUSED_PAD src0_sel:BYTE_3 src1_sel:DWORD
                                        ; implicit-def: $vgpr54
	s_and_saveexec_b64 s[28:29], vcc
	s_xor_b64 s[38:39], exec, s[28:29]
	s_cbranch_execz .LBB6_877
; %bb.868:                              ;   in Loop: Header=BB6_354 Depth=4
	v_mov_b32_e32 v54, 0
	v_cmp_ne_u32_e32 vcc, 0, v1
	s_and_saveexec_b64 s[48:49], vcc
	s_cbranch_execz .LBB6_876
; %bb.869:                              ;   in Loop: Header=BB6_354 Depth=4
	v_bfe_u32 v4, v1, 23, 8
	v_and_b32_e32 v0, 0x7fffff, v1
	v_cmp_gt_u32_e64 s[28:29], s85, v4
	v_sub_u32_e32 v1, 0x79, v4
	v_cmp_eq_u32_e32 vcc, 0, v4
	v_cndmask_b32_e64 v1, 0, v1, s[28:29]
	v_mov_b32_e32 v5, 0x78
	v_or_b32_e32 v2, 0x800000, v0
	v_cndmask_b32_e32 v5, v1, v5, vcc
	v_cndmask_b32_e32 v52, v2, v0, vcc
	v_add_u32_e32 v0, 20, v5
	v_lshlrev_b64 v[0:1], v0, -1
	v_add_u32_e32 v2, 19, v5
	v_lshlrev_b64 v[28:29], v2, 1
	v_bfi_b32 v1, v1, 0, 0
	v_bfi_b32 v0, v0, 0, v52
	v_cmp_eq_u64_e64 s[28:29], v[0:1], v[28:29]
	v_lshrrev_b64 v[0:1], v5, v[52:53]
	v_mov_b32_e32 v2, v1
	v_mov_b32_e32 v1, v0
	s_and_saveexec_b64 s[50:51], s[28:29]
; %bb.870:                              ;   in Loop: Header=BB6_354 Depth=4
	v_bfe_u32 v1, v0, 20, 1
	v_add_co_u32_e64 v1, s[28:29], v0, v1
	v_add_co_u32_e64 v1, s[28:29], -1, v1
; %bb.871:                              ;   in Loop: Header=BB6_354 Depth=4
	s_or_b64 exec, exec, s[50:51]
	v_add_u32_e32 v2, 0xffffff81, v4
	v_mov_b32_e32 v4, 0xffffff82
	v_cndmask_b32_e32 v2, v2, v4, vcc
	v_lshrrev_b32_e32 v4, 23, v0
	v_add3_u32 v5, v5, v2, v4
	v_add_u32_e32 v4, 6, v5
	v_and_b32_e32 v1, 0xfffff, v1
	v_add_u32_e32 v52, v1, v0
	v_cmp_ne_u32_e32 vcc, 0, v4
                                        ; implicit-def: $vgpr0_vgpr1
                                        ; implicit-def: $vgpr2
	s_and_saveexec_b64 s[28:29], vcc
	s_xor_b64 s[28:29], exec, s[28:29]
; %bb.872:                              ;   in Loop: Header=BB6_354 Depth=4
	v_cmp_lt_u64_e32 vcc, s[88:89], v[52:53]
	v_add_u32_e32 v0, 7, v5
	v_cndmask_b32_e32 v2, v4, v0, vcc
	v_cndmask_b32_e64 v0, 0, 1, vcc
	v_lshrrev_b64 v[0:1], v0, v[52:53]
; %bb.873:                              ;   in Loop: Header=BB6_354 Depth=4
	s_andn2_saveexec_b64 s[28:29], s[28:29]
; %bb.874:                              ;   in Loop: Header=BB6_354 Depth=4
	v_mov_b32_e32 v0, v52
	v_bfe_u32 v2, v52, 23, 1
	v_mov_b32_e32 v1, v53
; %bb.875:                              ;   in Loop: Header=BB6_354 Depth=4
	s_or_b64 exec, exec, s[28:29]
	v_lshrrev_b64 v[0:1], 20, v[0:1]
	v_cmp_gt_i32_e32 vcc, 16, v2
	v_cndmask_b32_e32 v1, 0, v1, vcc
	v_cndmask_b32_e32 v0, 7, v0, vcc
	v_cmp_eq_u64_e64 s[28:29], 0, v[0:1]
	v_min_i32_e32 v1, 15, v2
	v_lshlrev_b32_e32 v1, 3, v1
	v_cmp_eq_u32_e32 vcc, 0, v2
	v_and_b32_e32 v1, 0xf8, v1
	v_and_or_b32 v0, v0, 7, v1
	s_and_b64 s[28:29], vcc, s[28:29]
	v_cndmask_b32_e64 v0, v0, 0, s[28:29]
	v_or_b32_e32 v54, v0, v3
.LBB6_876:                              ;   in Loop: Header=BB6_354 Depth=4
	s_or_b64 exec, exec, s[48:49]
                                        ; implicit-def: $vgpr3
.LBB6_877:                              ;   in Loop: Header=BB6_354 Depth=4
	s_andn2_saveexec_b64 s[28:29], s[38:39]
; %bb.878:                              ;   in Loop: Header=BB6_354 Depth=4
	v_or_b32_e32 v54, 0x7e, v3
; %bb.879:                              ;   in Loop: Header=BB6_354 Depth=4
	s_or_b64 exec, exec, s[28:29]
                                        ; implicit-def: $vgpr1
.LBB6_880:                              ;   in Loop: Header=BB6_354 Depth=4
	s_andn2_saveexec_b64 s[28:29], s[40:41]
; %bb.881:                              ;   in Loop: Header=BB6_354 Depth=4
	v_or_b32_sdwa v54, v1, s83 dst_sel:DWORD dst_unused:UNUSED_PAD src0_sel:BYTE_3 src1_sel:DWORD
; %bb.882:                              ;   in Loop: Header=BB6_354 Depth=4
	s_or_b64 exec, exec, s[28:29]
	v_mov_b32_e32 v52, v51
	v_mov_b32_e32 v36, v39
	v_mov_b32_e32 v37, v53
	v_cmp_ne_u16_sdwa s[28:29], v51, v53 src0_sel:BYTE_0 src1_sel:DWORD
	s_mov_b64 s[40:41], -1
	s_and_b64 vcc, exec, s[46:47]
                                        ; implicit-def: $vgpr0
	s_cbranch_vccz .LBB6_896
; %bb.883:                              ;   in Loop: Header=BB6_354 Depth=4
	v_mov_b32_e32 v1, 0
	v_mov_b32_e32 v0, 0
	s_and_saveexec_b64 s[40:41], s[28:29]
	s_cbranch_execz .LBB6_889
; %bb.884:                              ;   in Loop: Header=BB6_354 Depth=4
	v_cmp_ne_u16_sdwa vcc, v51, s82 src0_sel:BYTE_0 src1_sel:DWORD
	v_bfrev_b32_e32 v0, 1
	s_and_saveexec_b64 s[38:39], vcc
	s_cbranch_execz .LBB6_888
; %bb.885:                              ;   in Loop: Header=BB6_354 Depth=4
	v_and_b32_e32 v2, 0x7f, v51
	v_cmp_ne_u32_e32 vcc, s83, v2
	v_mov_b32_e32 v0, 0x7f800001
	s_and_saveexec_b64 s[48:49], vcc
	s_cbranch_execz .LBB6_887
; %bb.886:                              ;   in Loop: Header=BB6_354 Depth=4
	v_and_b32_e32 v0, 7, v51
	v_ffbh_u32_e32 v0, v0
	v_min_u32_e32 v0, 32, v0
	v_lshrrev_b32_e32 v3, 3, v2
	v_cmp_gt_u32_e32 vcc, 8, v2
	v_subrev_u32_e32 v2, 28, v0
	v_sub_u32_e32 v0, 29, v0
	v_cndmask_b32_e32 v2, 0, v2, vcc
	v_cndmask_b32_e32 v0, v3, v0, vcc
	v_lshlrev_b64 v[2:3], v2, v[52:53]
	v_lshlrev_b32_e32 v3, 24, v52
	v_lshlrev_b32_e32 v2, 20, v2
	v_bfrev_b32_e32 v4, 60
	v_and_b32_e32 v2, 0x700000, v2
	v_and_b32_e32 v3, 0x80000000, v3
	v_lshl_add_u32 v0, v0, 23, v4
	v_or3_b32 v0, v3, v0, v2
.LBB6_887:                              ;   in Loop: Header=BB6_354 Depth=4
	s_or_b64 exec, exec, s[48:49]
.LBB6_888:                              ;   in Loop: Header=BB6_354 Depth=4
	s_or_b64 exec, exec, s[38:39]
.LBB6_889:                              ;   in Loop: Header=BB6_354 Depth=4
	s_or_b64 exec, exec, s[40:41]
	v_cmp_ne_u16_sdwa vcc, v39, v53 src0_sel:BYTE_0 src1_sel:DWORD
	s_and_saveexec_b64 s[40:41], vcc
	s_cbranch_execz .LBB6_895
; %bb.890:                              ;   in Loop: Header=BB6_354 Depth=4
	v_cmp_ne_u16_sdwa vcc, v39, s82 src0_sel:BYTE_0 src1_sel:DWORD
	v_bfrev_b32_e32 v1, 1
	s_and_saveexec_b64 s[38:39], vcc
	s_cbranch_execz .LBB6_894
; %bb.891:                              ;   in Loop: Header=BB6_354 Depth=4
	v_and_b32_e32 v2, 0x7f, v39
	v_cmp_ne_u32_e32 vcc, s83, v2
	v_mov_b32_e32 v1, 0x7f800001
	s_and_saveexec_b64 s[48:49], vcc
	s_cbranch_execz .LBB6_893
; %bb.892:                              ;   in Loop: Header=BB6_354 Depth=4
	v_and_b32_e32 v1, 7, v39
	v_ffbh_u32_e32 v1, v1
	v_min_u32_e32 v1, 32, v1
	v_lshrrev_b32_e32 v3, 3, v2
	v_cmp_gt_u32_e32 vcc, 8, v2
	v_subrev_u32_e32 v2, 28, v1
	v_sub_u32_e32 v1, 29, v1
	v_cndmask_b32_e32 v3, v3, v1, vcc
	v_cndmask_b32_e32 v1, 0, v2, vcc
	v_lshlrev_b64 v[1:2], v1, v[36:37]
	v_lshlrev_b32_e32 v2, 24, v36
	v_lshlrev_b32_e32 v1, 20, v1
	v_bfrev_b32_e32 v4, 60
	v_and_b32_e32 v1, 0x700000, v1
	v_and_b32_e32 v2, 0x80000000, v2
	v_lshl_add_u32 v3, v3, 23, v4
	v_or3_b32 v1, v2, v3, v1
.LBB6_893:                              ;   in Loop: Header=BB6_354 Depth=4
	s_or_b64 exec, exec, s[48:49]
.LBB6_894:                              ;   in Loop: Header=BB6_354 Depth=4
	s_or_b64 exec, exec, s[38:39]
.LBB6_895:                              ;   in Loop: Header=BB6_354 Depth=4
	s_or_b64 exec, exec, s[40:41]
	v_max_f32_e32 v1, v1, v1
	v_max_f32_e32 v0, v0, v0
	;; [unrolled: 1-line block ×3, first 2 shown]
	s_mov_b64 s[40:41], 0
.LBB6_896:                              ;   in Loop: Header=BB6_354 Depth=4
	s_and_b64 vcc, exec, s[40:41]
	s_cbranch_vccz .LBB6_910
; %bb.897:                              ;   in Loop: Header=BB6_354 Depth=4
	v_mov_b32_e32 v1, 0
	v_mov_b32_e32 v0, 0
	s_and_saveexec_b64 s[40:41], s[28:29]
	s_cbranch_execz .LBB6_903
; %bb.898:                              ;   in Loop: Header=BB6_354 Depth=4
	v_cmp_ne_u16_sdwa vcc, v51, s82 src0_sel:BYTE_0 src1_sel:DWORD
	v_bfrev_b32_e32 v0, 1
	s_and_saveexec_b64 s[28:29], vcc
	s_cbranch_execz .LBB6_902
; %bb.899:                              ;   in Loop: Header=BB6_354 Depth=4
	v_and_b32_e32 v2, 0x7f, v51
	v_cmp_ne_u32_e32 vcc, s83, v2
	v_mov_b32_e32 v0, 0x7f800001
	s_and_saveexec_b64 s[38:39], vcc
	s_cbranch_execz .LBB6_901
; %bb.900:                              ;   in Loop: Header=BB6_354 Depth=4
	v_and_b32_e32 v0, 7, v51
	v_ffbh_u32_e32 v0, v0
	v_min_u32_e32 v0, 32, v0
	v_lshrrev_b32_e32 v3, 3, v2
	v_cmp_gt_u32_e32 vcc, 8, v2
	v_subrev_u32_e32 v2, 28, v0
	v_sub_u32_e32 v0, 29, v0
	v_cndmask_b32_e32 v2, 0, v2, vcc
	v_cndmask_b32_e32 v0, v3, v0, vcc
	v_lshlrev_b64 v[2:3], v2, v[52:53]
	v_lshlrev_b32_e32 v3, 24, v52
	v_lshlrev_b32_e32 v2, 20, v2
	v_bfrev_b32_e32 v4, 60
	v_and_b32_e32 v2, 0x700000, v2
	v_and_b32_e32 v3, 0x80000000, v3
	v_lshl_add_u32 v0, v0, 23, v4
	v_or3_b32 v0, v3, v0, v2
.LBB6_901:                              ;   in Loop: Header=BB6_354 Depth=4
	s_or_b64 exec, exec, s[38:39]
.LBB6_902:                              ;   in Loop: Header=BB6_354 Depth=4
	s_or_b64 exec, exec, s[28:29]
.LBB6_903:                              ;   in Loop: Header=BB6_354 Depth=4
	s_or_b64 exec, exec, s[40:41]
	v_cmp_ne_u16_sdwa s[40:41], v39, v53 src0_sel:BYTE_0 src1_sel:DWORD
	s_and_saveexec_b64 s[28:29], s[40:41]
	s_cbranch_execz .LBB6_909
; %bb.904:                              ;   in Loop: Header=BB6_354 Depth=4
	v_cmp_ne_u16_sdwa vcc, v39, s82 src0_sel:BYTE_0 src1_sel:DWORD
	v_bfrev_b32_e32 v1, 1
	s_and_saveexec_b64 s[40:41], vcc
	s_cbranch_execz .LBB6_908
; %bb.905:                              ;   in Loop: Header=BB6_354 Depth=4
	v_and_b32_e32 v2, 0x7f, v39
	v_cmp_ne_u32_e32 vcc, s83, v2
	v_mov_b32_e32 v1, 0x7f800001
	s_and_saveexec_b64 s[38:39], vcc
	s_cbranch_execz .LBB6_907
; %bb.906:                              ;   in Loop: Header=BB6_354 Depth=4
	v_and_b32_e32 v1, 7, v39
	v_ffbh_u32_e32 v1, v1
	v_min_u32_e32 v1, 32, v1
	v_lshrrev_b32_e32 v3, 3, v2
	v_cmp_gt_u32_e32 vcc, 8, v2
	v_subrev_u32_e32 v2, 28, v1
	v_sub_u32_e32 v1, 29, v1
	v_cndmask_b32_e32 v3, v3, v1, vcc
	v_cndmask_b32_e32 v1, 0, v2, vcc
	v_lshlrev_b64 v[1:2], v1, v[36:37]
	v_lshlrev_b32_e32 v2, 24, v36
	v_lshlrev_b32_e32 v1, 20, v1
	v_bfrev_b32_e32 v4, 60
	v_and_b32_e32 v1, 0x700000, v1
	v_and_b32_e32 v2, 0x80000000, v2
	v_lshl_add_u32 v3, v3, 23, v4
	v_or3_b32 v1, v2, v3, v1
.LBB6_907:                              ;   in Loop: Header=BB6_354 Depth=4
	s_or_b64 exec, exec, s[38:39]
.LBB6_908:                              ;   in Loop: Header=BB6_354 Depth=4
	s_or_b64 exec, exec, s[40:41]
.LBB6_909:                              ;   in Loop: Header=BB6_354 Depth=4
	s_or_b64 exec, exec, s[28:29]
	v_max_f32_e32 v1, v1, v1
	v_max_f32_e32 v0, v0, v0
	v_min_f32_e32 v0, v0, v1
.LBB6_910:                              ;   in Loop: Header=BB6_354 Depth=4
	v_and_b32_e32 v1, 0x7f800000, v0
	v_mov_b32_e32 v2, v53
	v_cmp_ne_u64_e32 vcc, s[76:77], v[1:2]
                                        ; implicit-def: $vgpr48
	s_and_saveexec_b64 s[28:29], vcc
	s_xor_b64 s[40:41], exec, s[28:29]
	s_cbranch_execz .LBB6_924
; %bb.911:                              ;   in Loop: Header=BB6_354 Depth=4
	v_and_b32_e32 v1, 0x7fffffff, v0
	v_mov_b32_e32 v2, v53
	v_cmp_gt_u64_e32 vcc, s[78:79], v[1:2]
	v_and_b32_sdwa v3, v0, s82 dst_sel:DWORD dst_unused:UNUSED_PAD src0_sel:BYTE_3 src1_sel:DWORD
                                        ; implicit-def: $vgpr48
	s_and_saveexec_b64 s[28:29], vcc
	s_xor_b64 s[38:39], exec, s[28:29]
	s_cbranch_execz .LBB6_921
; %bb.912:                              ;   in Loop: Header=BB6_354 Depth=4
	v_mov_b32_e32 v48, 0
	v_cmp_ne_u32_e32 vcc, 0, v0
	s_and_saveexec_b64 s[48:49], vcc
	s_cbranch_execz .LBB6_920
; %bb.913:                              ;   in Loop: Header=BB6_354 Depth=4
	v_bfe_u32 v4, v0, 23, 8
	v_and_b32_e32 v1, 0x7fffff, v0
	v_cmp_gt_u32_e64 s[28:29], s85, v4
	v_sub_u32_e32 v0, 0x79, v4
	v_cmp_eq_u32_e32 vcc, 0, v4
	v_cndmask_b32_e64 v0, 0, v0, s[28:29]
	v_mov_b32_e32 v5, 0x78
	v_or_b32_e32 v2, 0x800000, v1
	v_cndmask_b32_e32 v5, v0, v5, vcc
	v_cndmask_b32_e32 v0, v2, v1, vcc
	v_add_u32_e32 v2, 20, v5
	v_lshlrev_b64 v[28:29], v2, -1
	v_mov_b32_e32 v1, v53
	v_add_u32_e32 v2, 19, v5
	v_bfi_b32 v28, v28, 0, v0
	v_lshlrev_b64 v[48:49], v2, 1
	v_lshrrev_b64 v[0:1], v5, v[0:1]
	v_bfi_b32 v29, v29, 0, 0
	v_cmp_eq_u64_e64 s[28:29], v[28:29], v[48:49]
	v_mov_b32_e32 v2, v1
	v_mov_b32_e32 v1, v0
	s_and_saveexec_b64 s[50:51], s[28:29]
; %bb.914:                              ;   in Loop: Header=BB6_354 Depth=4
	v_bfe_u32 v1, v0, 20, 1
	v_add_co_u32_e64 v1, s[28:29], v0, v1
	v_add_co_u32_e64 v1, s[28:29], -1, v1
; %bb.915:                              ;   in Loop: Header=BB6_354 Depth=4
	s_or_b64 exec, exec, s[50:51]
	v_add_u32_e32 v2, 0xffffff81, v4
	v_mov_b32_e32 v4, 0xffffff82
	v_cndmask_b32_e32 v2, v2, v4, vcc
	v_lshrrev_b32_e32 v4, 23, v0
	v_add3_u32 v5, v5, v2, v4
	v_add_u32_e32 v4, 6, v5
	v_and_b32_e32 v1, 0xfffff, v1
	v_add_u32_e32 v0, v1, v0
	v_mov_b32_e32 v1, v53
	v_cmp_ne_u32_e32 vcc, 0, v4
                                        ; implicit-def: $vgpr2
	s_and_saveexec_b64 s[28:29], vcc
	s_xor_b64 s[28:29], exec, s[28:29]
; %bb.916:                              ;   in Loop: Header=BB6_354 Depth=4
	v_cmp_lt_u64_e32 vcc, s[88:89], v[0:1]
	v_add_u32_e32 v2, 7, v5
	v_cndmask_b32_e32 v2, v4, v2, vcc
	v_cndmask_b32_e64 v4, 0, 1, vcc
	v_lshrrev_b64 v[0:1], v4, v[0:1]
; %bb.917:                              ;   in Loop: Header=BB6_354 Depth=4
	s_andn2_saveexec_b64 s[28:29], s[28:29]
; %bb.918:                              ;   in Loop: Header=BB6_354 Depth=4
	v_bfe_u32 v2, v0, 23, 1
; %bb.919:                              ;   in Loop: Header=BB6_354 Depth=4
	s_or_b64 exec, exec, s[28:29]
	v_lshrrev_b64 v[0:1], 20, v[0:1]
	v_cmp_gt_i32_e32 vcc, 16, v2
	v_cndmask_b32_e32 v1, 0, v1, vcc
	v_cndmask_b32_e32 v0, 7, v0, vcc
	v_cmp_eq_u64_e64 s[28:29], 0, v[0:1]
	v_min_i32_e32 v1, 15, v2
	v_lshlrev_b32_e32 v1, 3, v1
	v_cmp_eq_u32_e32 vcc, 0, v2
	v_and_b32_e32 v1, 0xf8, v1
	v_and_or_b32 v0, v0, 7, v1
	s_and_b64 s[28:29], vcc, s[28:29]
	v_cndmask_b32_e64 v0, v0, 0, s[28:29]
	v_or_b32_e32 v48, v0, v3
.LBB6_920:                              ;   in Loop: Header=BB6_354 Depth=4
	s_or_b64 exec, exec, s[48:49]
                                        ; implicit-def: $vgpr3
.LBB6_921:                              ;   in Loop: Header=BB6_354 Depth=4
	s_andn2_saveexec_b64 s[28:29], s[38:39]
; %bb.922:                              ;   in Loop: Header=BB6_354 Depth=4
	v_or_b32_e32 v48, 0x7e, v3
; %bb.923:                              ;   in Loop: Header=BB6_354 Depth=4
	s_or_b64 exec, exec, s[28:29]
                                        ; implicit-def: $vgpr0
.LBB6_924:                              ;   in Loop: Header=BB6_354 Depth=4
	s_andn2_saveexec_b64 s[28:29], s[40:41]
; %bb.925:                              ;   in Loop: Header=BB6_354 Depth=4
	v_or_b32_sdwa v48, v0, s83 dst_sel:DWORD dst_unused:UNUSED_PAD src0_sel:BYTE_3 src1_sel:DWORD
; %bb.926:                              ;   in Loop: Header=BB6_354 Depth=4
	s_or_b64 exec, exec, s[28:29]
	v_lshrrev_b16_e32 v3, 8, v52
	v_lshrrev_b16_e32 v2, 8, v36
	v_cmp_ne_u16_e64 s[28:29], 0, v3
	s_mov_b64 s[40:41], -1
	s_and_b64 vcc, exec, s[46:47]
                                        ; implicit-def: $vgpr0
	s_cbranch_vccz .LBB6_940
; %bb.927:                              ;   in Loop: Header=BB6_354 Depth=4
	v_mov_b32_e32 v1, 0
	v_mov_b32_e32 v0, 0
	s_and_saveexec_b64 s[40:41], s[28:29]
	s_cbranch_execz .LBB6_933
; %bb.928:                              ;   in Loop: Header=BB6_354 Depth=4
	v_cmp_ne_u16_e32 vcc, s82, v3
	v_bfrev_b32_e32 v0, 1
	s_and_saveexec_b64 s[38:39], vcc
	s_cbranch_execz .LBB6_932
; %bb.929:                              ;   in Loop: Header=BB6_354 Depth=4
	v_and_b32_e32 v4, 0x7f, v3
	v_cmp_ne_u32_e32 vcc, s83, v4
	v_mov_b32_e32 v0, 0x7f800001
	s_and_saveexec_b64 s[48:49], vcc
	s_cbranch_execz .LBB6_931
; %bb.930:                              ;   in Loop: Header=BB6_354 Depth=4
	v_and_b32_e32 v0, 7, v3
	v_lshrrev_b32_e32 v28, 3, v4
	v_cmp_gt_u32_e32 vcc, 8, v4
	v_ffbh_u32_e32 v4, v0
	v_min_u32_e32 v29, 32, v4
	v_subrev_u32_e32 v4, 28, v29
	v_lshlrev_b64 v[4:5], v4, v[3:4]
	v_sub_u32_e32 v5, 29, v29
	v_and_b32_e32 v4, 7, v4
	v_cndmask_b32_e32 v5, v28, v5, vcc
	v_cndmask_b32_e32 v0, v0, v4, vcc
	v_lshlrev_b32_e32 v4, 16, v52
	v_bfrev_b32_e32 v28, 60
	v_lshlrev_b32_e32 v0, 20, v0
	v_and_b32_e32 v4, 0x80000000, v4
	v_lshl_add_u32 v5, v5, 23, v28
	v_or3_b32 v0, v4, v5, v0
.LBB6_931:                              ;   in Loop: Header=BB6_354 Depth=4
	s_or_b64 exec, exec, s[48:49]
.LBB6_932:                              ;   in Loop: Header=BB6_354 Depth=4
	s_or_b64 exec, exec, s[38:39]
.LBB6_933:                              ;   in Loop: Header=BB6_354 Depth=4
	s_or_b64 exec, exec, s[40:41]
	v_cmp_ne_u16_e32 vcc, 0, v2
	s_and_saveexec_b64 s[40:41], vcc
	s_cbranch_execz .LBB6_939
; %bb.934:                              ;   in Loop: Header=BB6_354 Depth=4
	v_cmp_ne_u16_e32 vcc, s82, v2
	v_bfrev_b32_e32 v1, 1
	s_and_saveexec_b64 s[38:39], vcc
	s_cbranch_execz .LBB6_938
; %bb.935:                              ;   in Loop: Header=BB6_354 Depth=4
	v_and_b32_e32 v4, 0x7f, v2
	v_cmp_ne_u32_e32 vcc, s83, v4
	v_mov_b32_e32 v1, 0x7f800001
	s_and_saveexec_b64 s[48:49], vcc
	s_cbranch_execz .LBB6_937
; %bb.936:                              ;   in Loop: Header=BB6_354 Depth=4
	v_and_b32_e32 v1, 7, v2
	v_lshrrev_b32_e32 v28, 3, v4
	v_cmp_gt_u32_e32 vcc, 8, v4
	v_ffbh_u32_e32 v4, v1
	v_min_u32_e32 v29, 32, v4
	v_subrev_u32_e32 v4, 28, v29
	v_lshlrev_b64 v[4:5], v4, v[2:3]
	v_sub_u32_e32 v5, 29, v29
	v_and_b32_e32 v4, 7, v4
	v_cndmask_b32_e32 v5, v28, v5, vcc
	v_cndmask_b32_e32 v1, v1, v4, vcc
	v_lshlrev_b32_e32 v4, 16, v36
	v_bfrev_b32_e32 v28, 60
	v_lshlrev_b32_e32 v1, 20, v1
	v_and_b32_e32 v4, 0x80000000, v4
	v_lshl_add_u32 v5, v5, 23, v28
	v_or3_b32 v1, v4, v5, v1
.LBB6_937:                              ;   in Loop: Header=BB6_354 Depth=4
	s_or_b64 exec, exec, s[48:49]
.LBB6_938:                              ;   in Loop: Header=BB6_354 Depth=4
	s_or_b64 exec, exec, s[38:39]
.LBB6_939:                              ;   in Loop: Header=BB6_354 Depth=4
	s_or_b64 exec, exec, s[40:41]
	v_max_f32_e32 v1, v1, v1
	v_max_f32_e32 v0, v0, v0
	;; [unrolled: 1-line block ×3, first 2 shown]
	s_mov_b64 s[40:41], 0
.LBB6_940:                              ;   in Loop: Header=BB6_354 Depth=4
	s_and_b64 vcc, exec, s[40:41]
	s_cbranch_vccz .LBB6_954
; %bb.941:                              ;   in Loop: Header=BB6_354 Depth=4
	v_mov_b32_e32 v1, 0
	v_mov_b32_e32 v0, 0
	s_and_saveexec_b64 s[40:41], s[28:29]
	s_cbranch_execz .LBB6_947
; %bb.942:                              ;   in Loop: Header=BB6_354 Depth=4
	v_cmp_ne_u16_e32 vcc, s82, v3
	v_bfrev_b32_e32 v0, 1
	s_and_saveexec_b64 s[28:29], vcc
	s_cbranch_execz .LBB6_946
; %bb.943:                              ;   in Loop: Header=BB6_354 Depth=4
	v_and_b32_e32 v4, 0x7f, v3
	v_cmp_ne_u32_e32 vcc, s83, v4
	v_mov_b32_e32 v0, 0x7f800001
	s_and_saveexec_b64 s[38:39], vcc
	s_cbranch_execz .LBB6_945
; %bb.944:                              ;   in Loop: Header=BB6_354 Depth=4
	v_and_b32_e32 v0, 7, v3
	v_lshrrev_b32_e32 v5, 3, v4
	v_cmp_gt_u32_e32 vcc, 8, v4
	v_ffbh_u32_e32 v4, v0
	v_min_u32_e32 v28, 32, v4
	v_subrev_u32_e32 v4, 28, v28
	v_lshlrev_b64 v[3:4], v4, v[3:4]
	v_sub_u32_e32 v4, 29, v28
	v_and_b32_e32 v3, 7, v3
	v_cndmask_b32_e32 v4, v5, v4, vcc
	v_cndmask_b32_e32 v0, v0, v3, vcc
	v_lshlrev_b32_e32 v3, 16, v52
	v_bfrev_b32_e32 v5, 60
	v_lshlrev_b32_e32 v0, 20, v0
	v_and_b32_e32 v3, 0x80000000, v3
	v_lshl_add_u32 v4, v4, 23, v5
	v_or3_b32 v0, v3, v4, v0
.LBB6_945:                              ;   in Loop: Header=BB6_354 Depth=4
	s_or_b64 exec, exec, s[38:39]
.LBB6_946:                              ;   in Loop: Header=BB6_354 Depth=4
	s_or_b64 exec, exec, s[28:29]
.LBB6_947:                              ;   in Loop: Header=BB6_354 Depth=4
	s_or_b64 exec, exec, s[40:41]
	v_cmp_ne_u16_e32 vcc, 0, v2
	s_and_saveexec_b64 s[28:29], vcc
	s_cbranch_execz .LBB6_953
; %bb.948:                              ;   in Loop: Header=BB6_354 Depth=4
	v_cmp_ne_u16_e32 vcc, s82, v2
	v_bfrev_b32_e32 v1, 1
	s_and_saveexec_b64 s[40:41], vcc
	s_cbranch_execz .LBB6_952
; %bb.949:                              ;   in Loop: Header=BB6_354 Depth=4
	v_and_b32_e32 v3, 0x7f, v2
	v_cmp_ne_u32_e32 vcc, s83, v3
	v_mov_b32_e32 v1, 0x7f800001
	s_and_saveexec_b64 s[38:39], vcc
	s_cbranch_execz .LBB6_951
; %bb.950:                              ;   in Loop: Header=BB6_354 Depth=4
	v_and_b32_e32 v4, 7, v2
	v_ffbh_u32_e32 v1, v4
	v_lshrrev_b32_e32 v5, 3, v3
	v_cmp_gt_u32_e32 vcc, 8, v3
	v_min_u32_e32 v3, 32, v1
	v_subrev_u32_e32 v1, 28, v3
	v_lshlrev_b64 v[1:2], v1, v[2:3]
	v_sub_u32_e32 v2, 29, v3
	v_and_b32_e32 v1, 7, v1
	v_cndmask_b32_e32 v2, v5, v2, vcc
	v_cndmask_b32_e32 v1, v4, v1, vcc
	v_lshlrev_b32_e32 v3, 16, v36
	v_bfrev_b32_e32 v4, 60
	v_lshlrev_b32_e32 v1, 20, v1
	v_and_b32_e32 v3, 0x80000000, v3
	v_lshl_add_u32 v2, v2, 23, v4
	v_or3_b32 v1, v3, v2, v1
.LBB6_951:                              ;   in Loop: Header=BB6_354 Depth=4
	s_or_b64 exec, exec, s[38:39]
.LBB6_952:                              ;   in Loop: Header=BB6_354 Depth=4
	s_or_b64 exec, exec, s[40:41]
.LBB6_953:                              ;   in Loop: Header=BB6_354 Depth=4
	s_or_b64 exec, exec, s[28:29]
	v_max_f32_e32 v1, v1, v1
	v_max_f32_e32 v0, v0, v0
	v_min_f32_e32 v0, v0, v1
.LBB6_954:                              ;   in Loop: Header=BB6_354 Depth=4
	v_and_b32_e32 v52, 0x7f800000, v0
	v_cmp_ne_u64_e32 vcc, s[76:77], v[52:53]
                                        ; implicit-def: $vgpr49
	s_and_saveexec_b64 s[28:29], vcc
	s_xor_b64 s[40:41], exec, s[28:29]
	s_cbranch_execz .LBB6_968
; %bb.955:                              ;   in Loop: Header=BB6_354 Depth=4
	v_and_b32_e32 v52, 0x7fffffff, v0
	v_cmp_gt_u64_e32 vcc, s[78:79], v[52:53]
	v_and_b32_sdwa v3, v0, s82 dst_sel:DWORD dst_unused:UNUSED_PAD src0_sel:BYTE_3 src1_sel:DWORD
                                        ; implicit-def: $vgpr49
	s_and_saveexec_b64 s[28:29], vcc
	s_xor_b64 s[38:39], exec, s[28:29]
	s_cbranch_execz .LBB6_965
; %bb.956:                              ;   in Loop: Header=BB6_354 Depth=4
	v_mov_b32_e32 v49, 0
	v_cmp_ne_u32_e32 vcc, 0, v0
	s_and_saveexec_b64 s[48:49], vcc
	s_cbranch_execz .LBB6_964
; %bb.957:                              ;   in Loop: Header=BB6_354 Depth=4
	v_bfe_u32 v4, v0, 23, 8
	v_and_b32_e32 v1, 0x7fffff, v0
	v_cmp_gt_u32_e64 s[28:29], s85, v4
	v_sub_u32_e32 v0, 0x79, v4
	v_cmp_eq_u32_e32 vcc, 0, v4
	v_cndmask_b32_e64 v0, 0, v0, s[28:29]
	v_mov_b32_e32 v5, 0x78
	v_cndmask_b32_e32 v5, v0, v5, vcc
	v_or_b32_e32 v2, 0x800000, v1
	v_add_u32_e32 v0, 20, v5
	v_cndmask_b32_e32 v52, v2, v1, vcc
	v_lshlrev_b64 v[0:1], v0, -1
	v_add_u32_e32 v2, 19, v5
	v_lshlrev_b64 v[28:29], v2, 1
	v_bfi_b32 v1, v1, 0, 0
	v_bfi_b32 v0, v0, 0, v52
	v_cmp_eq_u64_e64 s[28:29], v[0:1], v[28:29]
	v_lshrrev_b64 v[0:1], v5, v[52:53]
	v_mov_b32_e32 v2, v1
	v_mov_b32_e32 v1, v0
	s_and_saveexec_b64 s[50:51], s[28:29]
; %bb.958:                              ;   in Loop: Header=BB6_354 Depth=4
	v_bfe_u32 v1, v0, 20, 1
	v_add_co_u32_e64 v1, s[28:29], v0, v1
	v_add_co_u32_e64 v1, s[28:29], -1, v1
; %bb.959:                              ;   in Loop: Header=BB6_354 Depth=4
	s_or_b64 exec, exec, s[50:51]
	v_add_u32_e32 v2, 0xffffff81, v4
	v_mov_b32_e32 v4, 0xffffff82
	v_cndmask_b32_e32 v2, v2, v4, vcc
	v_lshrrev_b32_e32 v4, 23, v0
	v_add3_u32 v5, v5, v2, v4
	v_add_u32_e32 v4, 6, v5
	v_and_b32_e32 v1, 0xfffff, v1
	v_add_u32_e32 v52, v1, v0
	v_cmp_ne_u32_e32 vcc, 0, v4
                                        ; implicit-def: $vgpr0_vgpr1
                                        ; implicit-def: $vgpr2
	s_and_saveexec_b64 s[28:29], vcc
	s_xor_b64 s[28:29], exec, s[28:29]
; %bb.960:                              ;   in Loop: Header=BB6_354 Depth=4
	v_cmp_lt_u64_e32 vcc, s[88:89], v[52:53]
	v_add_u32_e32 v0, 7, v5
	v_cndmask_b32_e32 v2, v4, v0, vcc
	v_cndmask_b32_e64 v0, 0, 1, vcc
	v_lshrrev_b64 v[0:1], v0, v[52:53]
; %bb.961:                              ;   in Loop: Header=BB6_354 Depth=4
	s_andn2_saveexec_b64 s[28:29], s[28:29]
; %bb.962:                              ;   in Loop: Header=BB6_354 Depth=4
	v_mov_b32_e32 v0, v52
	v_bfe_u32 v2, v52, 23, 1
	v_mov_b32_e32 v1, v53
; %bb.963:                              ;   in Loop: Header=BB6_354 Depth=4
	s_or_b64 exec, exec, s[28:29]
	v_lshrrev_b64 v[0:1], 20, v[0:1]
	v_cmp_gt_i32_e32 vcc, 16, v2
	v_cndmask_b32_e32 v1, 0, v1, vcc
	v_cndmask_b32_e32 v0, 7, v0, vcc
	v_cmp_eq_u64_e64 s[28:29], 0, v[0:1]
	v_min_i32_e32 v1, 15, v2
	v_lshlrev_b32_e32 v1, 3, v1
	v_cmp_eq_u32_e32 vcc, 0, v2
	v_and_b32_e32 v1, 0xf8, v1
	v_and_or_b32 v0, v0, 7, v1
	s_and_b64 s[28:29], vcc, s[28:29]
	v_cndmask_b32_e64 v0, v0, 0, s[28:29]
	v_or_b32_e32 v49, v0, v3
.LBB6_964:                              ;   in Loop: Header=BB6_354 Depth=4
	s_or_b64 exec, exec, s[48:49]
                                        ; implicit-def: $vgpr3
.LBB6_965:                              ;   in Loop: Header=BB6_354 Depth=4
	s_andn2_saveexec_b64 s[28:29], s[38:39]
; %bb.966:                              ;   in Loop: Header=BB6_354 Depth=4
	v_or_b32_e32 v49, 0x7e, v3
; %bb.967:                              ;   in Loop: Header=BB6_354 Depth=4
	s_or_b64 exec, exec, s[28:29]
                                        ; implicit-def: $vgpr0
.LBB6_968:                              ;   in Loop: Header=BB6_354 Depth=4
	s_andn2_saveexec_b64 s[28:29], s[40:41]
; %bb.969:                              ;   in Loop: Header=BB6_354 Depth=4
	v_or_b32_sdwa v49, v0, s83 dst_sel:DWORD dst_unused:UNUSED_PAD src0_sel:BYTE_3 src1_sel:DWORD
; %bb.970:                              ;   in Loop: Header=BB6_354 Depth=4
	s_or_b64 exec, exec, s[28:29]
	v_lshrrev_b32_e32 v2, 16, v51
	v_lshrrev_b32_e32 v0, 16, v39
	v_cmp_ne_u16_sdwa s[28:29], v2, v53 src0_sel:BYTE_0 src1_sel:DWORD
	s_mov_b64 s[40:41], -1
	s_and_b64 vcc, exec, s[46:47]
                                        ; implicit-def: $vgpr1
	s_cbranch_vccz .LBB6_984
; %bb.971:                              ;   in Loop: Header=BB6_354 Depth=4
	v_mov_b32_e32 v3, 0
	v_mov_b32_e32 v1, 0
	s_and_saveexec_b64 s[40:41], s[28:29]
	s_cbranch_execz .LBB6_977
; %bb.972:                              ;   in Loop: Header=BB6_354 Depth=4
	v_cmp_ne_u16_sdwa vcc, v2, s82 src0_sel:BYTE_0 src1_sel:DWORD
	v_bfrev_b32_e32 v1, 1
	s_and_saveexec_b64 s[38:39], vcc
	s_cbranch_execz .LBB6_976
; %bb.973:                              ;   in Loop: Header=BB6_354 Depth=4
	v_bfe_u32 v4, v51, 16, 7
	v_cmp_ne_u32_e32 vcc, s83, v4
	v_mov_b32_e32 v1, 0x7f800001
	s_and_saveexec_b64 s[48:49], vcc
	s_cbranch_execz .LBB6_975
; %bb.974:                              ;   in Loop: Header=BB6_354 Depth=4
	v_and_b32_e32 v1, 7, v2
	v_lshrrev_b32_e32 v28, 3, v4
	v_cmp_gt_u32_e32 vcc, 8, v4
	v_ffbh_u32_e32 v4, v1
	v_min_u32_e32 v29, 32, v4
	v_subrev_u32_e32 v4, 28, v29
	v_lshlrev_b64 v[4:5], v4, v[2:3]
	v_sub_u32_e32 v5, 29, v29
	v_and_b32_e32 v4, 7, v4
	v_cndmask_b32_e32 v5, v28, v5, vcc
	v_cndmask_b32_e32 v1, v1, v4, vcc
	v_lshlrev_b32_e32 v4, 24, v2
	v_bfrev_b32_e32 v28, 60
	v_lshlrev_b32_e32 v1, 20, v1
	v_and_b32_e32 v4, 0x80000000, v4
	v_lshl_add_u32 v5, v5, 23, v28
	v_or3_b32 v1, v4, v5, v1
.LBB6_975:                              ;   in Loop: Header=BB6_354 Depth=4
	s_or_b64 exec, exec, s[48:49]
.LBB6_976:                              ;   in Loop: Header=BB6_354 Depth=4
	s_or_b64 exec, exec, s[38:39]
.LBB6_977:                              ;   in Loop: Header=BB6_354 Depth=4
	s_or_b64 exec, exec, s[40:41]
	v_cmp_ne_u16_sdwa vcc, v0, v53 src0_sel:BYTE_0 src1_sel:DWORD
	s_and_saveexec_b64 s[40:41], vcc
	s_cbranch_execz .LBB6_983
; %bb.978:                              ;   in Loop: Header=BB6_354 Depth=4
	v_cmp_ne_u16_sdwa vcc, v0, s82 src0_sel:BYTE_0 src1_sel:DWORD
	v_bfrev_b32_e32 v3, 1
	s_and_saveexec_b64 s[38:39], vcc
	s_cbranch_execz .LBB6_982
; %bb.979:                              ;   in Loop: Header=BB6_354 Depth=4
	v_bfe_u32 v4, v39, 16, 7
	v_cmp_ne_u32_e32 vcc, s83, v4
	v_mov_b32_e32 v3, 0x7f800001
	s_and_saveexec_b64 s[48:49], vcc
	s_cbranch_execz .LBB6_981
; %bb.980:                              ;   in Loop: Header=BB6_354 Depth=4
	v_and_b32_e32 v5, 7, v0
	v_ffbh_u32_e32 v3, v5
	v_min_u32_e32 v29, 32, v3
	v_subrev_u32_e32 v3, 28, v29
	v_lshrrev_b32_e32 v28, 3, v4
	v_cmp_gt_u32_e32 vcc, 8, v4
	v_lshlrev_b64 v[3:4], v3, v[0:1]
	v_sub_u32_e32 v4, 29, v29
	v_and_b32_e32 v3, 7, v3
	v_cndmask_b32_e32 v4, v28, v4, vcc
	v_cndmask_b32_e32 v3, v5, v3, vcc
	v_lshlrev_b32_e32 v5, 24, v0
	v_bfrev_b32_e32 v28, 60
	v_lshlrev_b32_e32 v3, 20, v3
	v_and_b32_e32 v5, 0x80000000, v5
	v_lshl_add_u32 v4, v4, 23, v28
	v_or3_b32 v3, v5, v4, v3
.LBB6_981:                              ;   in Loop: Header=BB6_354 Depth=4
	s_or_b64 exec, exec, s[48:49]
.LBB6_982:                              ;   in Loop: Header=BB6_354 Depth=4
	s_or_b64 exec, exec, s[38:39]
.LBB6_983:                              ;   in Loop: Header=BB6_354 Depth=4
	s_or_b64 exec, exec, s[40:41]
	v_max_f32_e32 v3, v3, v3
	v_max_f32_e32 v1, v1, v1
	;; [unrolled: 1-line block ×3, first 2 shown]
	s_mov_b64 s[40:41], 0
.LBB6_984:                              ;   in Loop: Header=BB6_354 Depth=4
	s_and_b64 vcc, exec, s[40:41]
	s_cbranch_vccz .LBB6_998
; %bb.985:                              ;   in Loop: Header=BB6_354 Depth=4
	v_mov_b32_e32 v3, 0
	v_mov_b32_e32 v1, 0
	s_and_saveexec_b64 s[40:41], s[28:29]
	s_cbranch_execz .LBB6_991
; %bb.986:                              ;   in Loop: Header=BB6_354 Depth=4
	v_cmp_ne_u16_sdwa vcc, v2, s82 src0_sel:BYTE_0 src1_sel:DWORD
	v_bfrev_b32_e32 v1, 1
	s_and_saveexec_b64 s[28:29], vcc
	s_cbranch_execz .LBB6_990
; %bb.987:                              ;   in Loop: Header=BB6_354 Depth=4
	v_bfe_u32 v4, v51, 16, 7
	v_cmp_ne_u32_e32 vcc, s83, v4
	v_mov_b32_e32 v1, 0x7f800001
	s_and_saveexec_b64 s[38:39], vcc
	s_cbranch_execz .LBB6_989
; %bb.988:                              ;   in Loop: Header=BB6_354 Depth=4
	v_and_b32_e32 v1, 7, v2
	v_lshrrev_b32_e32 v28, 3, v4
	v_cmp_gt_u32_e32 vcc, 8, v4
	v_ffbh_u32_e32 v4, v1
	v_min_u32_e32 v29, 32, v4
	v_subrev_u32_e32 v4, 28, v29
	v_lshlrev_b64 v[4:5], v4, v[2:3]
	v_sub_u32_e32 v5, 29, v29
	v_and_b32_e32 v4, 7, v4
	v_cndmask_b32_e32 v5, v28, v5, vcc
	v_cndmask_b32_e32 v1, v1, v4, vcc
	v_lshlrev_b32_e32 v2, 24, v2
	v_bfrev_b32_e32 v4, 60
	v_lshlrev_b32_e32 v1, 20, v1
	v_and_b32_e32 v2, 0x80000000, v2
	v_lshl_add_u32 v4, v5, 23, v4
	v_or3_b32 v1, v2, v4, v1
.LBB6_989:                              ;   in Loop: Header=BB6_354 Depth=4
	s_or_b64 exec, exec, s[38:39]
.LBB6_990:                              ;   in Loop: Header=BB6_354 Depth=4
	s_or_b64 exec, exec, s[28:29]
.LBB6_991:                              ;   in Loop: Header=BB6_354 Depth=4
	s_or_b64 exec, exec, s[40:41]
	v_cmp_ne_u16_sdwa s[40:41], v0, v53 src0_sel:BYTE_0 src1_sel:DWORD
	s_and_saveexec_b64 s[28:29], s[40:41]
	s_cbranch_execz .LBB6_997
; %bb.992:                              ;   in Loop: Header=BB6_354 Depth=4
	v_cmp_ne_u16_sdwa vcc, v0, s82 src0_sel:BYTE_0 src1_sel:DWORD
	v_bfrev_b32_e32 v3, 1
	s_and_saveexec_b64 s[40:41], vcc
	s_cbranch_execz .LBB6_996
; %bb.993:                              ;   in Loop: Header=BB6_354 Depth=4
	v_bfe_u32 v2, v39, 16, 7
	v_cmp_ne_u32_e32 vcc, s83, v2
	v_mov_b32_e32 v3, 0x7f800001
	s_and_saveexec_b64 s[38:39], vcc
	s_cbranch_execz .LBB6_995
; %bb.994:                              ;   in Loop: Header=BB6_354 Depth=4
	v_and_b32_e32 v4, 7, v0
	v_lshrrev_b32_e32 v5, 3, v2
	v_cmp_gt_u32_e32 vcc, 8, v2
	v_ffbh_u32_e32 v2, v4
	v_min_u32_e32 v28, 32, v2
	v_subrev_u32_e32 v2, 28, v28
	v_lshlrev_b64 v[2:3], v2, v[0:1]
	v_sub_u32_e32 v3, 29, v28
	v_and_b32_e32 v2, 7, v2
	v_cndmask_b32_e32 v3, v5, v3, vcc
	v_cndmask_b32_e32 v2, v4, v2, vcc
	v_lshlrev_b32_e32 v0, 24, v0
	v_bfrev_b32_e32 v4, 60
	v_lshlrev_b32_e32 v2, 20, v2
	v_and_b32_e32 v0, 0x80000000, v0
	v_lshl_add_u32 v3, v3, 23, v4
	v_or3_b32 v3, v0, v3, v2
.LBB6_995:                              ;   in Loop: Header=BB6_354 Depth=4
	s_or_b64 exec, exec, s[38:39]
.LBB6_996:                              ;   in Loop: Header=BB6_354 Depth=4
	s_or_b64 exec, exec, s[40:41]
.LBB6_997:                              ;   in Loop: Header=BB6_354 Depth=4
	s_or_b64 exec, exec, s[28:29]
	v_max_f32_e32 v0, v3, v3
	v_max_f32_e32 v1, v1, v1
	v_min_f32_e32 v1, v1, v0
.LBB6_998:                              ;   in Loop: Header=BB6_354 Depth=4
	v_and_b32_e32 v52, 0x7f800000, v1
	v_cmp_ne_u64_e32 vcc, s[76:77], v[52:53]
                                        ; implicit-def: $vgpr36
	s_and_saveexec_b64 s[28:29], vcc
	s_xor_b64 s[40:41], exec, s[28:29]
	s_cbranch_execz .LBB6_1012
; %bb.999:                              ;   in Loop: Header=BB6_354 Depth=4
	v_and_b32_e32 v52, 0x7fffffff, v1
	v_cmp_gt_u64_e32 vcc, s[78:79], v[52:53]
	v_and_b32_sdwa v3, v1, s82 dst_sel:DWORD dst_unused:UNUSED_PAD src0_sel:BYTE_3 src1_sel:DWORD
                                        ; implicit-def: $vgpr36
	s_and_saveexec_b64 s[28:29], vcc
	s_xor_b64 s[38:39], exec, s[28:29]
	s_cbranch_execz .LBB6_1009
; %bb.1000:                             ;   in Loop: Header=BB6_354 Depth=4
	v_mov_b32_e32 v36, 0
	v_cmp_ne_u32_e32 vcc, 0, v1
	s_and_saveexec_b64 s[48:49], vcc
	s_cbranch_execz .LBB6_1008
; %bb.1001:                             ;   in Loop: Header=BB6_354 Depth=4
	v_bfe_u32 v4, v1, 23, 8
	v_and_b32_e32 v0, 0x7fffff, v1
	v_cmp_gt_u32_e64 s[28:29], s85, v4
	v_sub_u32_e32 v1, 0x79, v4
	v_cmp_eq_u32_e32 vcc, 0, v4
	v_cndmask_b32_e64 v1, 0, v1, s[28:29]
	v_mov_b32_e32 v5, 0x78
	v_or_b32_e32 v2, 0x800000, v0
	v_cndmask_b32_e32 v5, v1, v5, vcc
	v_cndmask_b32_e32 v52, v2, v0, vcc
	v_add_u32_e32 v0, 20, v5
	v_lshlrev_b64 v[0:1], v0, -1
	v_add_u32_e32 v2, 19, v5
	v_lshlrev_b64 v[28:29], v2, 1
	v_bfi_b32 v1, v1, 0, 0
	v_bfi_b32 v0, v0, 0, v52
	v_cmp_eq_u64_e64 s[28:29], v[0:1], v[28:29]
	v_lshrrev_b64 v[0:1], v5, v[52:53]
	v_mov_b32_e32 v2, v1
	v_mov_b32_e32 v1, v0
	s_and_saveexec_b64 s[50:51], s[28:29]
; %bb.1002:                             ;   in Loop: Header=BB6_354 Depth=4
	v_bfe_u32 v1, v0, 20, 1
	v_add_co_u32_e64 v1, s[28:29], v0, v1
	v_add_co_u32_e64 v1, s[28:29], -1, v1
; %bb.1003:                             ;   in Loop: Header=BB6_354 Depth=4
	s_or_b64 exec, exec, s[50:51]
	v_add_u32_e32 v2, 0xffffff81, v4
	v_mov_b32_e32 v4, 0xffffff82
	v_cndmask_b32_e32 v2, v2, v4, vcc
	v_lshrrev_b32_e32 v4, 23, v0
	v_add3_u32 v5, v5, v2, v4
	v_add_u32_e32 v4, 6, v5
	v_and_b32_e32 v1, 0xfffff, v1
	v_add_u32_e32 v52, v1, v0
	v_cmp_ne_u32_e32 vcc, 0, v4
                                        ; implicit-def: $vgpr0_vgpr1
                                        ; implicit-def: $vgpr2
	s_and_saveexec_b64 s[28:29], vcc
	s_xor_b64 s[28:29], exec, s[28:29]
; %bb.1004:                             ;   in Loop: Header=BB6_354 Depth=4
	v_cmp_lt_u64_e32 vcc, s[88:89], v[52:53]
	v_add_u32_e32 v0, 7, v5
	v_cndmask_b32_e32 v2, v4, v0, vcc
	v_cndmask_b32_e64 v0, 0, 1, vcc
	v_lshrrev_b64 v[0:1], v0, v[52:53]
; %bb.1005:                             ;   in Loop: Header=BB6_354 Depth=4
	s_andn2_saveexec_b64 s[28:29], s[28:29]
; %bb.1006:                             ;   in Loop: Header=BB6_354 Depth=4
	v_mov_b32_e32 v0, v52
	v_bfe_u32 v2, v52, 23, 1
	v_mov_b32_e32 v1, v53
; %bb.1007:                             ;   in Loop: Header=BB6_354 Depth=4
	s_or_b64 exec, exec, s[28:29]
	v_lshrrev_b64 v[0:1], 20, v[0:1]
	v_cmp_gt_i32_e32 vcc, 16, v2
	v_cndmask_b32_e32 v1, 0, v1, vcc
	v_cndmask_b32_e32 v0, 7, v0, vcc
	v_cmp_eq_u64_e64 s[28:29], 0, v[0:1]
	v_min_i32_e32 v1, 15, v2
	v_lshlrev_b32_e32 v1, 3, v1
	v_cmp_eq_u32_e32 vcc, 0, v2
	v_and_b32_e32 v1, 0xf8, v1
	v_and_or_b32 v0, v0, 7, v1
	s_and_b64 s[28:29], vcc, s[28:29]
	v_cndmask_b32_e64 v0, v0, 0, s[28:29]
	v_or_b32_e32 v36, v0, v3
.LBB6_1008:                             ;   in Loop: Header=BB6_354 Depth=4
	s_or_b64 exec, exec, s[48:49]
                                        ; implicit-def: $vgpr3
.LBB6_1009:                             ;   in Loop: Header=BB6_354 Depth=4
	s_andn2_saveexec_b64 s[28:29], s[38:39]
; %bb.1010:                             ;   in Loop: Header=BB6_354 Depth=4
	v_or_b32_e32 v36, 0x7e, v3
; %bb.1011:                             ;   in Loop: Header=BB6_354 Depth=4
	s_or_b64 exec, exec, s[28:29]
                                        ; implicit-def: $vgpr1
.LBB6_1012:                             ;   in Loop: Header=BB6_354 Depth=4
	s_andn2_saveexec_b64 s[28:29], s[40:41]
; %bb.1013:                             ;   in Loop: Header=BB6_354 Depth=4
	v_or_b32_sdwa v36, v1, s83 dst_sel:DWORD dst_unused:UNUSED_PAD src0_sel:BYTE_3 src1_sel:DWORD
; %bb.1014:                             ;   in Loop: Header=BB6_354 Depth=4
	s_or_b64 exec, exec, s[28:29]
	v_cmp_lt_u64_e64 s[28:29], s[62:63], v[50:51]
	v_lshrrev_b32_e32 v2, 24, v51
	v_lshrrev_b32_e32 v0, 24, v39
	s_mov_b64 s[40:41], -1
	s_and_b64 vcc, exec, s[46:47]
                                        ; implicit-def: $vgpr1
	s_cbranch_vccz .LBB6_1028
; %bb.1015:                             ;   in Loop: Header=BB6_354 Depth=4
	v_mov_b32_e32 v3, 0
	v_mov_b32_e32 v1, 0
	s_and_saveexec_b64 s[40:41], s[28:29]
	s_cbranch_execz .LBB6_1021
; %bb.1016:                             ;   in Loop: Header=BB6_354 Depth=4
	v_cmp_ne_u32_e32 vcc, s82, v2
	v_bfrev_b32_e32 v1, 1
	s_and_saveexec_b64 s[38:39], vcc
	s_cbranch_execz .LBB6_1020
; %bb.1017:                             ;   in Loop: Header=BB6_354 Depth=4
	v_bfe_u32 v4, v51, 24, 7
	v_cmp_ne_u32_e32 vcc, s83, v4
	v_mov_b32_e32 v1, 0x7f800001
	s_and_saveexec_b64 s[48:49], vcc
	s_cbranch_execz .LBB6_1019
; %bb.1018:                             ;   in Loop: Header=BB6_354 Depth=4
	v_and_b32_e32 v1, 7, v2
	v_lshrrev_b32_e32 v28, 3, v4
	v_cmp_gt_u32_e32 vcc, 8, v4
	v_ffbh_u32_e32 v4, v1
	v_min_u32_e32 v29, 32, v4
	v_subrev_u32_e32 v4, 28, v29
	v_lshlrev_b64 v[4:5], v4, v[2:3]
	v_sub_u32_e32 v5, 29, v29
	v_and_b32_e32 v4, 7, v4
	v_cndmask_b32_e32 v5, v28, v5, vcc
	v_cndmask_b32_e32 v1, v1, v4, vcc
	v_lshlrev_b32_e32 v4, 24, v2
	v_bfrev_b32_e32 v28, 60
	v_lshlrev_b32_e32 v1, 20, v1
	v_and_b32_e32 v4, 0x80000000, v4
	v_lshl_add_u32 v5, v5, 23, v28
	v_or3_b32 v1, v4, v5, v1
.LBB6_1019:                             ;   in Loop: Header=BB6_354 Depth=4
	s_or_b64 exec, exec, s[48:49]
.LBB6_1020:                             ;   in Loop: Header=BB6_354 Depth=4
	s_or_b64 exec, exec, s[38:39]
.LBB6_1021:                             ;   in Loop: Header=BB6_354 Depth=4
	s_or_b64 exec, exec, s[40:41]
	v_cmp_lt_u64_e32 vcc, s[62:63], v[38:39]
	s_and_saveexec_b64 s[40:41], vcc
	s_cbranch_execz .LBB6_1027
; %bb.1022:                             ;   in Loop: Header=BB6_354 Depth=4
	v_cmp_ne_u32_e32 vcc, s82, v0
	v_bfrev_b32_e32 v3, 1
	s_and_saveexec_b64 s[38:39], vcc
	s_cbranch_execz .LBB6_1026
; %bb.1023:                             ;   in Loop: Header=BB6_354 Depth=4
	v_bfe_u32 v4, v39, 24, 7
	v_cmp_ne_u32_e32 vcc, s83, v4
	v_mov_b32_e32 v3, 0x7f800001
	s_and_saveexec_b64 s[48:49], vcc
	s_cbranch_execz .LBB6_1025
; %bb.1024:                             ;   in Loop: Header=BB6_354 Depth=4
	v_and_b32_e32 v5, 7, v0
	v_ffbh_u32_e32 v3, v5
	v_min_u32_e32 v29, 32, v3
	v_subrev_u32_e32 v3, 28, v29
	v_lshrrev_b32_e32 v28, 3, v4
	v_cmp_gt_u32_e32 vcc, 8, v4
	v_lshlrev_b64 v[3:4], v3, v[0:1]
	v_sub_u32_e32 v4, 29, v29
	v_and_b32_e32 v3, 7, v3
	v_cndmask_b32_e32 v4, v28, v4, vcc
	v_cndmask_b32_e32 v3, v5, v3, vcc
	v_lshlrev_b32_e32 v5, 24, v0
	v_bfrev_b32_e32 v28, 60
	v_lshlrev_b32_e32 v3, 20, v3
	v_and_b32_e32 v5, 0x80000000, v5
	v_lshl_add_u32 v4, v4, 23, v28
	v_or3_b32 v3, v5, v4, v3
.LBB6_1025:                             ;   in Loop: Header=BB6_354 Depth=4
	s_or_b64 exec, exec, s[48:49]
.LBB6_1026:                             ;   in Loop: Header=BB6_354 Depth=4
	s_or_b64 exec, exec, s[38:39]
.LBB6_1027:                             ;   in Loop: Header=BB6_354 Depth=4
	s_or_b64 exec, exec, s[40:41]
	v_max_f32_e32 v3, v3, v3
	v_max_f32_e32 v1, v1, v1
	v_max_f32_e32 v1, v1, v3
	s_mov_b64 s[40:41], 0
.LBB6_1028:                             ;   in Loop: Header=BB6_354 Depth=4
	s_and_b64 vcc, exec, s[40:41]
	s_cbranch_vccz .LBB6_1042
; %bb.1029:                             ;   in Loop: Header=BB6_354 Depth=4
	v_mov_b32_e32 v3, 0
	v_mov_b32_e32 v1, 0
	s_and_saveexec_b64 s[40:41], s[28:29]
	s_cbranch_execz .LBB6_1035
; %bb.1030:                             ;   in Loop: Header=BB6_354 Depth=4
	v_cmp_ne_u32_e32 vcc, s82, v2
	v_bfrev_b32_e32 v1, 1
	s_and_saveexec_b64 s[28:29], vcc
	s_cbranch_execz .LBB6_1034
; %bb.1031:                             ;   in Loop: Header=BB6_354 Depth=4
	v_bfe_u32 v4, v51, 24, 7
	v_cmp_ne_u32_e32 vcc, s83, v4
	v_mov_b32_e32 v1, 0x7f800001
	s_and_saveexec_b64 s[38:39], vcc
	s_cbranch_execz .LBB6_1033
; %bb.1032:                             ;   in Loop: Header=BB6_354 Depth=4
	v_and_b32_e32 v1, 7, v2
	v_lshrrev_b32_e32 v28, 3, v4
	v_cmp_gt_u32_e32 vcc, 8, v4
	v_ffbh_u32_e32 v4, v1
	v_min_u32_e32 v29, 32, v4
	v_subrev_u32_e32 v4, 28, v29
	v_lshlrev_b64 v[4:5], v4, v[2:3]
	v_sub_u32_e32 v5, 29, v29
	v_and_b32_e32 v4, 7, v4
	v_cndmask_b32_e32 v5, v28, v5, vcc
	v_cndmask_b32_e32 v1, v1, v4, vcc
	v_lshlrev_b32_e32 v2, 24, v2
	v_bfrev_b32_e32 v4, 60
	v_lshlrev_b32_e32 v1, 20, v1
	v_and_b32_e32 v2, 0x80000000, v2
	v_lshl_add_u32 v4, v5, 23, v4
	v_or3_b32 v1, v2, v4, v1
.LBB6_1033:                             ;   in Loop: Header=BB6_354 Depth=4
	s_or_b64 exec, exec, s[38:39]
.LBB6_1034:                             ;   in Loop: Header=BB6_354 Depth=4
	s_or_b64 exec, exec, s[28:29]
.LBB6_1035:                             ;   in Loop: Header=BB6_354 Depth=4
	s_or_b64 exec, exec, s[40:41]
	v_cmp_lt_u64_e32 vcc, s[62:63], v[38:39]
	s_and_saveexec_b64 s[28:29], vcc
	s_cbranch_execz .LBB6_1041
; %bb.1036:                             ;   in Loop: Header=BB6_354 Depth=4
	v_cmp_ne_u32_e32 vcc, s82, v0
	v_bfrev_b32_e32 v3, 1
	s_and_saveexec_b64 s[40:41], vcc
	s_cbranch_execz .LBB6_1040
; %bb.1037:                             ;   in Loop: Header=BB6_354 Depth=4
	v_bfe_u32 v2, v39, 24, 7
	v_cmp_ne_u32_e32 vcc, s83, v2
	v_mov_b32_e32 v3, 0x7f800001
	s_and_saveexec_b64 s[38:39], vcc
	s_cbranch_execz .LBB6_1039
; %bb.1038:                             ;   in Loop: Header=BB6_354 Depth=4
	v_and_b32_e32 v4, 7, v0
	v_lshrrev_b32_e32 v5, 3, v2
	v_cmp_gt_u32_e32 vcc, 8, v2
	v_ffbh_u32_e32 v2, v4
	v_min_u32_e32 v28, 32, v2
	v_subrev_u32_e32 v2, 28, v28
	v_lshlrev_b64 v[2:3], v2, v[0:1]
	v_sub_u32_e32 v3, 29, v28
	v_and_b32_e32 v2, 7, v2
	v_cndmask_b32_e32 v3, v5, v3, vcc
	v_cndmask_b32_e32 v2, v4, v2, vcc
	v_lshlrev_b32_e32 v0, 24, v0
	v_bfrev_b32_e32 v4, 60
	v_lshlrev_b32_e32 v2, 20, v2
	v_and_b32_e32 v0, 0x80000000, v0
	v_lshl_add_u32 v3, v3, 23, v4
	v_or3_b32 v3, v0, v3, v2
.LBB6_1039:                             ;   in Loop: Header=BB6_354 Depth=4
	s_or_b64 exec, exec, s[38:39]
.LBB6_1040:                             ;   in Loop: Header=BB6_354 Depth=4
	s_or_b64 exec, exec, s[40:41]
.LBB6_1041:                             ;   in Loop: Header=BB6_354 Depth=4
	s_or_b64 exec, exec, s[28:29]
	v_max_f32_e32 v0, v3, v3
	v_max_f32_e32 v1, v1, v1
	v_min_f32_e32 v1, v1, v0
.LBB6_1042:                             ;   in Loop: Header=BB6_354 Depth=4
	v_and_b32_e32 v52, 0x7f800000, v1
	v_cmp_ne_u64_e32 vcc, s[76:77], v[52:53]
	buffer_store_dword v36, off, s[0:3], s33 offset:148 ; 4-byte Folded Spill
                                        ; implicit-def: $vgpr5
	s_and_saveexec_b64 s[28:29], vcc
	s_xor_b64 s[40:41], exec, s[28:29]
	s_cbranch_execz .LBB6_1056
; %bb.1043:                             ;   in Loop: Header=BB6_354 Depth=4
	v_and_b32_e32 v52, 0x7fffffff, v1
	v_cmp_gt_u64_e32 vcc, s[78:79], v[52:53]
	v_and_b32_sdwa v3, v1, s82 dst_sel:DWORD dst_unused:UNUSED_PAD src0_sel:BYTE_3 src1_sel:DWORD
                                        ; implicit-def: $vgpr5
	s_and_saveexec_b64 s[28:29], vcc
	s_xor_b64 s[38:39], exec, s[28:29]
	s_cbranch_execz .LBB6_1053
; %bb.1044:                             ;   in Loop: Header=BB6_354 Depth=4
	v_mov_b32_e32 v5, 0
	v_cmp_ne_u32_e32 vcc, 0, v1
	s_and_saveexec_b64 s[48:49], vcc
	s_cbranch_execz .LBB6_1052
; %bb.1045:                             ;   in Loop: Header=BB6_354 Depth=4
	v_bfe_u32 v4, v1, 23, 8
	v_and_b32_e32 v0, 0x7fffff, v1
	v_cmp_gt_u32_e64 s[28:29], s85, v4
	v_sub_u32_e32 v1, 0x79, v4
	v_cmp_eq_u32_e32 vcc, 0, v4
	v_cndmask_b32_e64 v1, 0, v1, s[28:29]
	v_mov_b32_e32 v5, 0x78
	v_or_b32_e32 v2, 0x800000, v0
	v_cndmask_b32_e32 v5, v1, v5, vcc
	v_cndmask_b32_e32 v52, v2, v0, vcc
	v_add_u32_e32 v0, 20, v5
	v_lshlrev_b64 v[0:1], v0, -1
	v_add_u32_e32 v2, 19, v5
	v_lshlrev_b64 v[28:29], v2, 1
	v_bfi_b32 v1, v1, 0, 0
	v_bfi_b32 v0, v0, 0, v52
	v_cmp_eq_u64_e64 s[28:29], v[0:1], v[28:29]
	v_lshrrev_b64 v[0:1], v5, v[52:53]
	v_mov_b32_e32 v2, v1
	v_mov_b32_e32 v1, v0
	s_and_saveexec_b64 s[50:51], s[28:29]
; %bb.1046:                             ;   in Loop: Header=BB6_354 Depth=4
	v_bfe_u32 v1, v0, 20, 1
	v_add_co_u32_e64 v1, s[28:29], v0, v1
	v_add_co_u32_e64 v1, s[28:29], -1, v1
; %bb.1047:                             ;   in Loop: Header=BB6_354 Depth=4
	s_or_b64 exec, exec, s[50:51]
	v_add_u32_e32 v2, 0xffffff81, v4
	v_mov_b32_e32 v4, 0xffffff82
	v_cndmask_b32_e32 v2, v2, v4, vcc
	v_lshrrev_b32_e32 v4, 23, v0
	v_add3_u32 v5, v5, v2, v4
	v_add_u32_e32 v4, 6, v5
	v_and_b32_e32 v1, 0xfffff, v1
	v_add_u32_e32 v52, v1, v0
	v_cmp_ne_u32_e32 vcc, 0, v4
                                        ; implicit-def: $vgpr0_vgpr1
                                        ; implicit-def: $vgpr2
	s_and_saveexec_b64 s[28:29], vcc
	s_xor_b64 s[28:29], exec, s[28:29]
; %bb.1048:                             ;   in Loop: Header=BB6_354 Depth=4
	v_cmp_lt_u64_e32 vcc, s[88:89], v[52:53]
	v_add_u32_e32 v0, 7, v5
	v_cndmask_b32_e32 v2, v4, v0, vcc
	v_cndmask_b32_e64 v0, 0, 1, vcc
	v_lshrrev_b64 v[0:1], v0, v[52:53]
; %bb.1049:                             ;   in Loop: Header=BB6_354 Depth=4
	s_andn2_saveexec_b64 s[28:29], s[28:29]
; %bb.1050:                             ;   in Loop: Header=BB6_354 Depth=4
	v_mov_b32_e32 v0, v52
	v_bfe_u32 v2, v52, 23, 1
	v_mov_b32_e32 v1, v53
; %bb.1051:                             ;   in Loop: Header=BB6_354 Depth=4
	s_or_b64 exec, exec, s[28:29]
	v_lshrrev_b64 v[0:1], 20, v[0:1]
	v_cmp_gt_i32_e32 vcc, 16, v2
	v_cndmask_b32_e32 v1, 0, v1, vcc
	v_cndmask_b32_e32 v0, 7, v0, vcc
	v_cmp_eq_u64_e64 s[28:29], 0, v[0:1]
	v_min_i32_e32 v1, 15, v2
	v_lshlrev_b32_e32 v1, 3, v1
	v_cmp_eq_u32_e32 vcc, 0, v2
	v_and_b32_e32 v1, 0xf8, v1
	v_and_or_b32 v0, v0, 7, v1
	s_and_b64 s[28:29], vcc, s[28:29]
	v_cndmask_b32_e64 v0, v0, 0, s[28:29]
	v_or_b32_e32 v5, v0, v3
.LBB6_1052:                             ;   in Loop: Header=BB6_354 Depth=4
	s_or_b64 exec, exec, s[48:49]
                                        ; implicit-def: $vgpr3
.LBB6_1053:                             ;   in Loop: Header=BB6_354 Depth=4
	s_andn2_saveexec_b64 s[28:29], s[38:39]
; %bb.1054:                             ;   in Loop: Header=BB6_354 Depth=4
	v_or_b32_e32 v5, 0x7e, v3
; %bb.1055:                             ;   in Loop: Header=BB6_354 Depth=4
	s_or_b64 exec, exec, s[28:29]
                                        ; implicit-def: $vgpr1
.LBB6_1056:                             ;   in Loop: Header=BB6_354 Depth=4
	s_andn2_saveexec_b64 s[28:29], s[40:41]
; %bb.1057:                             ;   in Loop: Header=BB6_354 Depth=4
	v_or_b32_sdwa v5, v1, s83 dst_sel:DWORD dst_unused:UNUSED_PAD src0_sel:BYTE_3 src1_sel:DWORD
; %bb.1058:                             ;   in Loop: Header=BB6_354 Depth=4
	s_or_b64 exec, exec, s[28:29]
	v_cndmask_b32_e64 v0, 0, 1, s[46:47]
	v_cmp_ne_u16_sdwa s[40:41], v32, v53 src0_sel:BYTE_0 src1_sel:DWORD
	v_cmp_ne_u32_e64 s[28:29], 1, v0
	s_andn2_b64 vcc, exec, s[46:47]
	s_mov_b64 s[38:39], -1
                                        ; implicit-def: $vgpr0
	s_cbranch_vccnz .LBB6_1072
; %bb.1059:                             ;   in Loop: Header=BB6_354 Depth=4
	v_mov_b32_e32 v1, 0
	v_mov_b32_e32 v0, 0
	s_and_saveexec_b64 s[38:39], s[40:41]
	s_cbranch_execz .LBB6_1065
; %bb.1060:                             ;   in Loop: Header=BB6_354 Depth=4
	v_cmp_ne_u16_sdwa vcc, v32, s82 src0_sel:BYTE_0 src1_sel:DWORD
	v_bfrev_b32_e32 v0, 1
	s_and_saveexec_b64 s[48:49], vcc
	s_cbranch_execz .LBB6_1064
; %bb.1061:                             ;   in Loop: Header=BB6_354 Depth=4
	v_and_b32_e32 v2, 0x7f, v32
	v_cmp_ne_u32_e32 vcc, s83, v2
	v_mov_b32_e32 v0, 0x7f800001
	s_and_saveexec_b64 s[50:51], vcc
	s_cbranch_execz .LBB6_1063
; %bb.1062:                             ;   in Loop: Header=BB6_354 Depth=4
	v_and_b32_e32 v0, 7, v32
	v_ffbh_u32_e32 v0, v0
	v_min_u32_e32 v0, 32, v0
	v_lshrrev_b32_e32 v3, 3, v2
	v_cmp_gt_u32_e32 vcc, 8, v2
	v_subrev_u32_e32 v2, 28, v0
	v_sub_u32_e32 v0, 29, v0
	v_cndmask_b32_e32 v2, 0, v2, vcc
	v_cndmask_b32_e32 v0, v3, v0, vcc
	v_lshlrev_b64 v[2:3], v2, v[32:33]
	v_lshlrev_b32_e32 v3, 24, v32
	v_lshlrev_b32_e32 v2, 20, v2
	v_bfrev_b32_e32 v4, 60
	v_and_b32_e32 v2, 0x700000, v2
	v_and_b32_e32 v3, 0x80000000, v3
	v_lshl_add_u32 v0, v0, 23, v4
	v_or3_b32 v0, v3, v0, v2
.LBB6_1063:                             ;   in Loop: Header=BB6_354 Depth=4
	s_or_b64 exec, exec, s[50:51]
.LBB6_1064:                             ;   in Loop: Header=BB6_354 Depth=4
	s_or_b64 exec, exec, s[48:49]
.LBB6_1065:                             ;   in Loop: Header=BB6_354 Depth=4
	s_or_b64 exec, exec, s[38:39]
	s_waitcnt vmcnt(12)
	v_cmp_ne_u16_sdwa vcc, v24, v53 src0_sel:BYTE_0 src1_sel:DWORD
	s_and_saveexec_b64 s[38:39], vcc
	s_cbranch_execz .LBB6_1071
; %bb.1066:                             ;   in Loop: Header=BB6_354 Depth=4
	v_cmp_ne_u16_sdwa vcc, v24, s82 src0_sel:BYTE_0 src1_sel:DWORD
	v_bfrev_b32_e32 v1, 1
	s_and_saveexec_b64 s[48:49], vcc
	s_cbranch_execz .LBB6_1070
; %bb.1067:                             ;   in Loop: Header=BB6_354 Depth=4
	v_and_b32_e32 v2, 0x7f, v24
	v_cmp_ne_u32_e32 vcc, s83, v2
	v_mov_b32_e32 v1, 0x7f800001
	s_and_saveexec_b64 s[50:51], vcc
	s_cbranch_execz .LBB6_1069
; %bb.1068:                             ;   in Loop: Header=BB6_354 Depth=4
	v_and_b32_e32 v1, 7, v24
	v_ffbh_u32_e32 v1, v1
	v_min_u32_e32 v1, 32, v1
	v_lshrrev_b32_e32 v3, 3, v2
	v_cmp_gt_u32_e32 vcc, 8, v2
	v_subrev_u32_e32 v2, 28, v1
	v_sub_u32_e32 v1, 29, v1
	v_cndmask_b32_e32 v3, v3, v1, vcc
	v_cndmask_b32_e32 v1, 0, v2, vcc
	v_lshlrev_b64 v[1:2], v1, v[24:25]
	v_lshlrev_b32_e32 v2, 24, v24
	v_lshlrev_b32_e32 v1, 20, v1
	v_bfrev_b32_e32 v4, 60
	v_and_b32_e32 v1, 0x700000, v1
	v_and_b32_e32 v2, 0x80000000, v2
	v_lshl_add_u32 v3, v3, 23, v4
	v_or3_b32 v1, v2, v3, v1
.LBB6_1069:                             ;   in Loop: Header=BB6_354 Depth=4
	s_or_b64 exec, exec, s[50:51]
.LBB6_1070:                             ;   in Loop: Header=BB6_354 Depth=4
	s_or_b64 exec, exec, s[48:49]
.LBB6_1071:                             ;   in Loop: Header=BB6_354 Depth=4
	s_or_b64 exec, exec, s[38:39]
	v_max_f32_e32 v1, v1, v1
	v_max_f32_e32 v0, v0, v0
	v_max_f32_e32 v0, v0, v1
	s_mov_b64 s[38:39], 0
.LBB6_1072:                             ;   in Loop: Header=BB6_354 Depth=4
	s_and_b64 vcc, exec, s[38:39]
	s_cbranch_vccz .LBB6_1086
; %bb.1073:                             ;   in Loop: Header=BB6_354 Depth=4
	v_mov_b32_e32 v1, 0
	v_mov_b32_e32 v0, 0
	s_and_saveexec_b64 s[38:39], s[40:41]
	s_cbranch_execz .LBB6_1079
; %bb.1074:                             ;   in Loop: Header=BB6_354 Depth=4
	v_cmp_ne_u16_sdwa vcc, v32, s82 src0_sel:BYTE_0 src1_sel:DWORD
	v_bfrev_b32_e32 v0, 1
	s_and_saveexec_b64 s[40:41], vcc
	s_cbranch_execz .LBB6_1078
; %bb.1075:                             ;   in Loop: Header=BB6_354 Depth=4
	v_and_b32_e32 v2, 0x7f, v32
	v_cmp_ne_u32_e32 vcc, s83, v2
	v_mov_b32_e32 v0, 0x7f800001
	s_and_saveexec_b64 s[48:49], vcc
	s_cbranch_execz .LBB6_1077
; %bb.1076:                             ;   in Loop: Header=BB6_354 Depth=4
	v_and_b32_e32 v0, 7, v32
	v_ffbh_u32_e32 v0, v0
	v_min_u32_e32 v0, 32, v0
	v_lshrrev_b32_e32 v3, 3, v2
	v_cmp_gt_u32_e32 vcc, 8, v2
	v_subrev_u32_e32 v2, 28, v0
	v_sub_u32_e32 v0, 29, v0
	v_cndmask_b32_e32 v2, 0, v2, vcc
	v_cndmask_b32_e32 v0, v3, v0, vcc
	v_lshlrev_b64 v[2:3], v2, v[32:33]
	v_lshlrev_b32_e32 v3, 24, v32
	v_lshlrev_b32_e32 v2, 20, v2
	v_bfrev_b32_e32 v4, 60
	v_and_b32_e32 v2, 0x700000, v2
	v_and_b32_e32 v3, 0x80000000, v3
	v_lshl_add_u32 v0, v0, 23, v4
	v_or3_b32 v0, v3, v0, v2
.LBB6_1077:                             ;   in Loop: Header=BB6_354 Depth=4
	s_or_b64 exec, exec, s[48:49]
.LBB6_1078:                             ;   in Loop: Header=BB6_354 Depth=4
	s_or_b64 exec, exec, s[40:41]
.LBB6_1079:                             ;   in Loop: Header=BB6_354 Depth=4
	s_or_b64 exec, exec, s[38:39]
	s_waitcnt vmcnt(12)
	v_cmp_ne_u16_sdwa vcc, v24, v53 src0_sel:BYTE_0 src1_sel:DWORD
	s_and_saveexec_b64 s[40:41], vcc
	s_cbranch_execz .LBB6_1085
; %bb.1080:                             ;   in Loop: Header=BB6_354 Depth=4
	v_cmp_ne_u16_sdwa vcc, v24, s82 src0_sel:BYTE_0 src1_sel:DWORD
	v_bfrev_b32_e32 v1, 1
	s_and_saveexec_b64 s[38:39], vcc
	s_cbranch_execz .LBB6_1084
; %bb.1081:                             ;   in Loop: Header=BB6_354 Depth=4
	v_and_b32_e32 v2, 0x7f, v24
	v_cmp_ne_u32_e32 vcc, s83, v2
	v_mov_b32_e32 v1, 0x7f800001
	s_and_saveexec_b64 s[48:49], vcc
	s_cbranch_execz .LBB6_1083
; %bb.1082:                             ;   in Loop: Header=BB6_354 Depth=4
	v_and_b32_e32 v1, 7, v24
	v_ffbh_u32_e32 v1, v1
	v_min_u32_e32 v1, 32, v1
	v_lshrrev_b32_e32 v3, 3, v2
	v_cmp_gt_u32_e32 vcc, 8, v2
	v_subrev_u32_e32 v2, 28, v1
	v_sub_u32_e32 v1, 29, v1
	v_cndmask_b32_e32 v3, v3, v1, vcc
	v_cndmask_b32_e32 v1, 0, v2, vcc
	v_lshlrev_b64 v[1:2], v1, v[24:25]
	v_lshlrev_b32_e32 v2, 24, v24
	v_lshlrev_b32_e32 v1, 20, v1
	v_bfrev_b32_e32 v4, 60
	v_and_b32_e32 v1, 0x700000, v1
	v_and_b32_e32 v2, 0x80000000, v2
	v_lshl_add_u32 v3, v3, 23, v4
	v_or3_b32 v1, v2, v3, v1
.LBB6_1083:                             ;   in Loop: Header=BB6_354 Depth=4
	s_or_b64 exec, exec, s[48:49]
.LBB6_1084:                             ;   in Loop: Header=BB6_354 Depth=4
	s_or_b64 exec, exec, s[38:39]
.LBB6_1085:                             ;   in Loop: Header=BB6_354 Depth=4
	s_or_b64 exec, exec, s[40:41]
	v_max_f32_e32 v1, v1, v1
	v_max_f32_e32 v0, v0, v0
	v_min_f32_e32 v0, v0, v1
.LBB6_1086:                             ;   in Loop: Header=BB6_354 Depth=4
	v_and_b32_e32 v52, 0x7f800000, v0
	v_cmp_ne_u64_e32 vcc, s[76:77], v[52:53]
	buffer_store_dword v5, off, s[0:3], s33 offset:152 ; 4-byte Folded Spill
                                        ; implicit-def: $vgpr36
	s_and_saveexec_b64 s[40:41], vcc
	s_xor_b64 s[38:39], exec, s[40:41]
	s_cbranch_execz .LBB6_1100
; %bb.1087:                             ;   in Loop: Header=BB6_354 Depth=4
	v_and_b32_e32 v52, 0x7fffffff, v0
	v_cmp_gt_u64_e32 vcc, s[78:79], v[52:53]
	v_and_b32_sdwa v3, v0, s82 dst_sel:DWORD dst_unused:UNUSED_PAD src0_sel:BYTE_3 src1_sel:DWORD
                                        ; implicit-def: $vgpr36
	s_and_saveexec_b64 s[40:41], vcc
	s_xor_b64 s[48:49], exec, s[40:41]
	s_cbranch_execz .LBB6_1097
; %bb.1088:                             ;   in Loop: Header=BB6_354 Depth=4
	v_mov_b32_e32 v36, 0
	v_cmp_ne_u32_e32 vcc, 0, v0
	s_and_saveexec_b64 s[50:51], vcc
	s_cbranch_execz .LBB6_1096
; %bb.1089:                             ;   in Loop: Header=BB6_354 Depth=4
	v_bfe_u32 v4, v0, 23, 8
	v_and_b32_e32 v1, 0x7fffff, v0
	v_cmp_gt_u32_e64 s[40:41], s85, v4
	v_sub_u32_e32 v0, 0x79, v4
	v_cmp_eq_u32_e32 vcc, 0, v4
	v_cndmask_b32_e64 v0, 0, v0, s[40:41]
	v_mov_b32_e32 v5, 0x78
	v_cndmask_b32_e32 v5, v0, v5, vcc
	v_or_b32_e32 v2, 0x800000, v1
	v_add_u32_e32 v0, 20, v5
	v_cndmask_b32_e32 v52, v2, v1, vcc
	v_lshlrev_b64 v[0:1], v0, -1
	v_add_u32_e32 v2, 19, v5
	v_lshlrev_b64 v[28:29], v2, 1
	v_bfi_b32 v1, v1, 0, 0
	v_bfi_b32 v0, v0, 0, v52
	v_cmp_eq_u64_e64 s[40:41], v[0:1], v[28:29]
	v_lshrrev_b64 v[0:1], v5, v[52:53]
	v_mov_b32_e32 v2, v1
	v_mov_b32_e32 v1, v0
	s_and_saveexec_b64 s[52:53], s[40:41]
; %bb.1090:                             ;   in Loop: Header=BB6_354 Depth=4
	v_bfe_u32 v1, v0, 20, 1
	v_add_co_u32_e64 v1, s[40:41], v0, v1
	v_add_co_u32_e64 v1, s[40:41], -1, v1
; %bb.1091:                             ;   in Loop: Header=BB6_354 Depth=4
	s_or_b64 exec, exec, s[52:53]
	v_add_u32_e32 v2, 0xffffff81, v4
	v_mov_b32_e32 v4, 0xffffff82
	v_cndmask_b32_e32 v2, v2, v4, vcc
	v_lshrrev_b32_e32 v4, 23, v0
	v_add3_u32 v5, v5, v2, v4
	v_add_u32_e32 v4, 6, v5
	v_and_b32_e32 v1, 0xfffff, v1
	v_add_u32_e32 v52, v1, v0
	v_cmp_ne_u32_e32 vcc, 0, v4
                                        ; implicit-def: $vgpr0_vgpr1
                                        ; implicit-def: $vgpr2
	s_and_saveexec_b64 s[40:41], vcc
	s_xor_b64 s[40:41], exec, s[40:41]
; %bb.1092:                             ;   in Loop: Header=BB6_354 Depth=4
	v_cmp_lt_u64_e32 vcc, s[88:89], v[52:53]
	v_add_u32_e32 v0, 7, v5
	v_cndmask_b32_e32 v2, v4, v0, vcc
	v_cndmask_b32_e64 v0, 0, 1, vcc
	v_lshrrev_b64 v[0:1], v0, v[52:53]
; %bb.1093:                             ;   in Loop: Header=BB6_354 Depth=4
	s_andn2_saveexec_b64 s[40:41], s[40:41]
; %bb.1094:                             ;   in Loop: Header=BB6_354 Depth=4
	v_mov_b32_e32 v0, v52
	v_bfe_u32 v2, v52, 23, 1
	v_mov_b32_e32 v1, v53
; %bb.1095:                             ;   in Loop: Header=BB6_354 Depth=4
	s_or_b64 exec, exec, s[40:41]
	v_lshrrev_b64 v[0:1], 20, v[0:1]
	v_cmp_gt_i32_e32 vcc, 16, v2
	v_cndmask_b32_e32 v1, 0, v1, vcc
	v_cndmask_b32_e32 v0, 7, v0, vcc
	v_cmp_eq_u64_e64 s[40:41], 0, v[0:1]
	v_min_i32_e32 v1, 15, v2
	v_lshlrev_b32_e32 v1, 3, v1
	v_cmp_eq_u32_e32 vcc, 0, v2
	v_and_b32_e32 v1, 0xf8, v1
	v_and_or_b32 v0, v0, 7, v1
	s_and_b64 s[40:41], vcc, s[40:41]
	v_cndmask_b32_e64 v0, v0, 0, s[40:41]
	v_or_b32_e32 v36, v0, v3
.LBB6_1096:                             ;   in Loop: Header=BB6_354 Depth=4
	s_or_b64 exec, exec, s[50:51]
                                        ; implicit-def: $vgpr3
.LBB6_1097:                             ;   in Loop: Header=BB6_354 Depth=4
	s_andn2_saveexec_b64 s[40:41], s[48:49]
; %bb.1098:                             ;   in Loop: Header=BB6_354 Depth=4
	v_or_b32_e32 v36, 0x7e, v3
; %bb.1099:                             ;   in Loop: Header=BB6_354 Depth=4
	s_or_b64 exec, exec, s[40:41]
                                        ; implicit-def: $vgpr0
.LBB6_1100:                             ;   in Loop: Header=BB6_354 Depth=4
	s_andn2_saveexec_b64 s[40:41], s[38:39]
; %bb.1101:                             ;   in Loop: Header=BB6_354 Depth=4
	v_or_b32_sdwa v36, v0, s83 dst_sel:DWORD dst_unused:UNUSED_PAD src0_sel:BYTE_3 src1_sel:DWORD
; %bb.1102:                             ;   in Loop: Header=BB6_354 Depth=4
	s_or_b64 exec, exec, s[40:41]
	v_lshrrev_b16_e32 v2, 8, v32
	s_waitcnt vmcnt(13)
	v_lshrrev_b16_e32 v0, 8, v24
	v_cmp_ne_u16_e64 s[40:41], 0, v2
	s_and_b64 vcc, exec, s[28:29]
	s_mov_b64 s[38:39], -1
                                        ; implicit-def: $vgpr1
	s_cbranch_vccnz .LBB6_1116
; %bb.1103:                             ;   in Loop: Header=BB6_354 Depth=4
	v_mov_b32_e32 v3, 0
	v_mov_b32_e32 v1, 0
	s_and_saveexec_b64 s[38:39], s[40:41]
	s_cbranch_execz .LBB6_1109
; %bb.1104:                             ;   in Loop: Header=BB6_354 Depth=4
	v_cmp_ne_u16_e32 vcc, s82, v2
	v_bfrev_b32_e32 v1, 1
	s_and_saveexec_b64 s[48:49], vcc
	s_cbranch_execz .LBB6_1108
; %bb.1105:                             ;   in Loop: Header=BB6_354 Depth=4
	v_and_b32_e32 v4, 0x7f, v2
	v_cmp_ne_u32_e32 vcc, s83, v4
	v_mov_b32_e32 v1, 0x7f800001
	s_and_saveexec_b64 s[50:51], vcc
	s_cbranch_execz .LBB6_1107
; %bb.1106:                             ;   in Loop: Header=BB6_354 Depth=4
	v_and_b32_e32 v1, 7, v2
	v_lshrrev_b32_e32 v28, 3, v4
	v_cmp_gt_u32_e32 vcc, 8, v4
	v_ffbh_u32_e32 v4, v1
	v_min_u32_e32 v29, 32, v4
	v_subrev_u32_e32 v4, 28, v29
	v_lshlrev_b64 v[4:5], v4, v[2:3]
	v_sub_u32_e32 v5, 29, v29
	v_and_b32_e32 v4, 7, v4
	v_cndmask_b32_e32 v5, v28, v5, vcc
	v_cndmask_b32_e32 v1, v1, v4, vcc
	v_lshlrev_b32_e32 v4, 16, v32
	v_bfrev_b32_e32 v28, 60
	v_lshlrev_b32_e32 v1, 20, v1
	v_and_b32_e32 v4, 0x80000000, v4
	v_lshl_add_u32 v5, v5, 23, v28
	v_or3_b32 v1, v4, v5, v1
.LBB6_1107:                             ;   in Loop: Header=BB6_354 Depth=4
	s_or_b64 exec, exec, s[50:51]
.LBB6_1108:                             ;   in Loop: Header=BB6_354 Depth=4
	s_or_b64 exec, exec, s[48:49]
.LBB6_1109:                             ;   in Loop: Header=BB6_354 Depth=4
	s_or_b64 exec, exec, s[38:39]
	v_cmp_ne_u16_e32 vcc, 0, v0
	s_and_saveexec_b64 s[38:39], vcc
	s_cbranch_execz .LBB6_1115
; %bb.1110:                             ;   in Loop: Header=BB6_354 Depth=4
	v_cmp_ne_u16_e32 vcc, s82, v0
	v_bfrev_b32_e32 v3, 1
	s_and_saveexec_b64 s[48:49], vcc
	s_cbranch_execz .LBB6_1114
; %bb.1111:                             ;   in Loop: Header=BB6_354 Depth=4
	v_and_b32_e32 v4, 0x7f, v0
	v_cmp_ne_u32_e32 vcc, s83, v4
	v_mov_b32_e32 v3, 0x7f800001
	s_and_saveexec_b64 s[50:51], vcc
	s_cbranch_execz .LBB6_1113
; %bb.1112:                             ;   in Loop: Header=BB6_354 Depth=4
	v_and_b32_e32 v5, 7, v0
	v_ffbh_u32_e32 v3, v5
	v_min_u32_e32 v29, 32, v3
	v_subrev_u32_e32 v3, 28, v29
	v_lshrrev_b32_e32 v28, 3, v4
	v_cmp_gt_u32_e32 vcc, 8, v4
	v_lshlrev_b64 v[3:4], v3, v[0:1]
	v_sub_u32_e32 v4, 29, v29
	v_and_b32_e32 v3, 7, v3
	v_cndmask_b32_e32 v4, v28, v4, vcc
	v_cndmask_b32_e32 v3, v5, v3, vcc
	v_lshlrev_b32_e32 v5, 16, v24
	v_bfrev_b32_e32 v28, 60
	v_lshlrev_b32_e32 v3, 20, v3
	v_and_b32_e32 v5, 0x80000000, v5
	v_lshl_add_u32 v4, v4, 23, v28
	v_or3_b32 v3, v5, v4, v3
.LBB6_1113:                             ;   in Loop: Header=BB6_354 Depth=4
	s_or_b64 exec, exec, s[50:51]
.LBB6_1114:                             ;   in Loop: Header=BB6_354 Depth=4
	s_or_b64 exec, exec, s[48:49]
.LBB6_1115:                             ;   in Loop: Header=BB6_354 Depth=4
	s_or_b64 exec, exec, s[38:39]
	v_max_f32_e32 v3, v3, v3
	v_max_f32_e32 v1, v1, v1
	;; [unrolled: 1-line block ×3, first 2 shown]
	s_mov_b64 s[38:39], 0
.LBB6_1116:                             ;   in Loop: Header=BB6_354 Depth=4
	s_and_b64 vcc, exec, s[38:39]
	s_cbranch_vccz .LBB6_1130
; %bb.1117:                             ;   in Loop: Header=BB6_354 Depth=4
	v_mov_b32_e32 v3, 0
	v_mov_b32_e32 v1, 0
	s_and_saveexec_b64 s[38:39], s[40:41]
	s_cbranch_execz .LBB6_1123
; %bb.1118:                             ;   in Loop: Header=BB6_354 Depth=4
	v_cmp_ne_u16_e32 vcc, s82, v2
	v_bfrev_b32_e32 v1, 1
	s_and_saveexec_b64 s[40:41], vcc
	s_cbranch_execz .LBB6_1122
; %bb.1119:                             ;   in Loop: Header=BB6_354 Depth=4
	v_and_b32_e32 v4, 0x7f, v2
	v_cmp_ne_u32_e32 vcc, s83, v4
	v_mov_b32_e32 v1, 0x7f800001
	s_and_saveexec_b64 s[48:49], vcc
	s_cbranch_execz .LBB6_1121
; %bb.1120:                             ;   in Loop: Header=BB6_354 Depth=4
	v_and_b32_e32 v5, 7, v2
	v_ffbh_u32_e32 v1, v5
	v_lshrrev_b32_e32 v28, 3, v4
	v_cmp_gt_u32_e32 vcc, 8, v4
	v_min_u32_e32 v4, 32, v1
	v_subrev_u32_e32 v1, 28, v4
	v_lshlrev_b64 v[1:2], v1, v[2:3]
	v_sub_u32_e32 v2, 29, v4
	v_and_b32_e32 v1, 7, v1
	v_cndmask_b32_e32 v2, v28, v2, vcc
	v_cndmask_b32_e32 v1, v5, v1, vcc
	v_lshlrev_b32_e32 v4, 16, v32
	v_bfrev_b32_e32 v5, 60
	v_lshlrev_b32_e32 v1, 20, v1
	v_and_b32_e32 v4, 0x80000000, v4
	v_lshl_add_u32 v2, v2, 23, v5
	v_or3_b32 v1, v4, v2, v1
.LBB6_1121:                             ;   in Loop: Header=BB6_354 Depth=4
	s_or_b64 exec, exec, s[48:49]
.LBB6_1122:                             ;   in Loop: Header=BB6_354 Depth=4
	s_or_b64 exec, exec, s[40:41]
.LBB6_1123:                             ;   in Loop: Header=BB6_354 Depth=4
	s_or_b64 exec, exec, s[38:39]
	v_cmp_ne_u16_e32 vcc, 0, v0
	s_and_saveexec_b64 s[40:41], vcc
	s_cbranch_execz .LBB6_1129
; %bb.1124:                             ;   in Loop: Header=BB6_354 Depth=4
	v_cmp_ne_u16_e32 vcc, s82, v0
	v_bfrev_b32_e32 v3, 1
	s_and_saveexec_b64 s[38:39], vcc
	s_cbranch_execz .LBB6_1128
; %bb.1125:                             ;   in Loop: Header=BB6_354 Depth=4
	v_and_b32_e32 v2, 0x7f, v0
	v_cmp_ne_u32_e32 vcc, s83, v2
	v_mov_b32_e32 v3, 0x7f800001
	s_and_saveexec_b64 s[48:49], vcc
	s_cbranch_execz .LBB6_1127
; %bb.1126:                             ;   in Loop: Header=BB6_354 Depth=4
	v_and_b32_e32 v4, 7, v0
	v_lshrrev_b32_e32 v5, 3, v2
	v_cmp_gt_u32_e32 vcc, 8, v2
	v_ffbh_u32_e32 v2, v4
	v_min_u32_e32 v28, 32, v2
	v_subrev_u32_e32 v2, 28, v28
	v_lshlrev_b64 v[2:3], v2, v[0:1]
	v_sub_u32_e32 v0, 29, v28
	v_and_b32_e32 v2, 7, v2
	v_cndmask_b32_e32 v0, v5, v0, vcc
	v_cndmask_b32_e32 v2, v4, v2, vcc
	v_lshlrev_b32_e32 v3, 16, v24
	v_bfrev_b32_e32 v4, 60
	v_lshlrev_b32_e32 v2, 20, v2
	v_and_b32_e32 v3, 0x80000000, v3
	v_lshl_add_u32 v0, v0, 23, v4
	v_or3_b32 v3, v3, v0, v2
.LBB6_1127:                             ;   in Loop: Header=BB6_354 Depth=4
	s_or_b64 exec, exec, s[48:49]
.LBB6_1128:                             ;   in Loop: Header=BB6_354 Depth=4
	s_or_b64 exec, exec, s[38:39]
.LBB6_1129:                             ;   in Loop: Header=BB6_354 Depth=4
	s_or_b64 exec, exec, s[40:41]
	v_max_f32_e32 v0, v3, v3
	v_max_f32_e32 v1, v1, v1
	v_min_f32_e32 v1, v1, v0
.LBB6_1130:                             ;   in Loop: Header=BB6_354 Depth=4
	v_and_b32_e32 v52, 0x7f800000, v1
	v_cmp_ne_u64_e32 vcc, s[76:77], v[52:53]
	buffer_store_dword v36, off, s[0:3], s33 offset:156 ; 4-byte Folded Spill
                                        ; implicit-def: $vgpr36
	s_and_saveexec_b64 s[40:41], vcc
	s_xor_b64 s[38:39], exec, s[40:41]
	s_cbranch_execz .LBB6_1144
; %bb.1131:                             ;   in Loop: Header=BB6_354 Depth=4
	v_and_b32_e32 v52, 0x7fffffff, v1
	v_cmp_gt_u64_e32 vcc, s[78:79], v[52:53]
	v_and_b32_sdwa v3, v1, s82 dst_sel:DWORD dst_unused:UNUSED_PAD src0_sel:BYTE_3 src1_sel:DWORD
                                        ; implicit-def: $vgpr36
	s_and_saveexec_b64 s[40:41], vcc
	s_xor_b64 s[48:49], exec, s[40:41]
	s_cbranch_execz .LBB6_1141
; %bb.1132:                             ;   in Loop: Header=BB6_354 Depth=4
	v_mov_b32_e32 v36, 0
	v_cmp_ne_u32_e32 vcc, 0, v1
	s_and_saveexec_b64 s[50:51], vcc
	s_cbranch_execz .LBB6_1140
; %bb.1133:                             ;   in Loop: Header=BB6_354 Depth=4
	v_bfe_u32 v4, v1, 23, 8
	v_and_b32_e32 v0, 0x7fffff, v1
	v_cmp_gt_u32_e64 s[40:41], s85, v4
	v_sub_u32_e32 v1, 0x79, v4
	v_cmp_eq_u32_e32 vcc, 0, v4
	v_cndmask_b32_e64 v1, 0, v1, s[40:41]
	v_mov_b32_e32 v5, 0x78
	v_or_b32_e32 v2, 0x800000, v0
	v_cndmask_b32_e32 v5, v1, v5, vcc
	v_cndmask_b32_e32 v52, v2, v0, vcc
	v_add_u32_e32 v0, 20, v5
	v_lshlrev_b64 v[0:1], v0, -1
	v_add_u32_e32 v2, 19, v5
	v_lshlrev_b64 v[28:29], v2, 1
	v_bfi_b32 v1, v1, 0, 0
	v_bfi_b32 v0, v0, 0, v52
	v_cmp_eq_u64_e64 s[40:41], v[0:1], v[28:29]
	v_lshrrev_b64 v[0:1], v5, v[52:53]
	v_mov_b32_e32 v2, v1
	v_mov_b32_e32 v1, v0
	s_and_saveexec_b64 s[52:53], s[40:41]
; %bb.1134:                             ;   in Loop: Header=BB6_354 Depth=4
	v_bfe_u32 v1, v0, 20, 1
	v_add_co_u32_e64 v1, s[40:41], v0, v1
	v_add_co_u32_e64 v1, s[40:41], -1, v1
; %bb.1135:                             ;   in Loop: Header=BB6_354 Depth=4
	s_or_b64 exec, exec, s[52:53]
	v_add_u32_e32 v2, 0xffffff81, v4
	v_mov_b32_e32 v4, 0xffffff82
	v_cndmask_b32_e32 v2, v2, v4, vcc
	v_lshrrev_b32_e32 v4, 23, v0
	v_add3_u32 v5, v5, v2, v4
	v_add_u32_e32 v4, 6, v5
	v_and_b32_e32 v1, 0xfffff, v1
	v_add_u32_e32 v52, v1, v0
	v_cmp_ne_u32_e32 vcc, 0, v4
                                        ; implicit-def: $vgpr0_vgpr1
                                        ; implicit-def: $vgpr2
	s_and_saveexec_b64 s[40:41], vcc
	s_xor_b64 s[40:41], exec, s[40:41]
; %bb.1136:                             ;   in Loop: Header=BB6_354 Depth=4
	v_cmp_lt_u64_e32 vcc, s[88:89], v[52:53]
	v_add_u32_e32 v0, 7, v5
	v_cndmask_b32_e32 v2, v4, v0, vcc
	v_cndmask_b32_e64 v0, 0, 1, vcc
	v_lshrrev_b64 v[0:1], v0, v[52:53]
; %bb.1137:                             ;   in Loop: Header=BB6_354 Depth=4
	s_andn2_saveexec_b64 s[40:41], s[40:41]
; %bb.1138:                             ;   in Loop: Header=BB6_354 Depth=4
	v_mov_b32_e32 v0, v52
	v_bfe_u32 v2, v52, 23, 1
	v_mov_b32_e32 v1, v53
; %bb.1139:                             ;   in Loop: Header=BB6_354 Depth=4
	s_or_b64 exec, exec, s[40:41]
	v_lshrrev_b64 v[0:1], 20, v[0:1]
	v_cmp_gt_i32_e32 vcc, 16, v2
	v_cndmask_b32_e32 v1, 0, v1, vcc
	v_cndmask_b32_e32 v0, 7, v0, vcc
	v_cmp_eq_u64_e64 s[40:41], 0, v[0:1]
	v_min_i32_e32 v1, 15, v2
	v_lshlrev_b32_e32 v1, 3, v1
	v_cmp_eq_u32_e32 vcc, 0, v2
	v_and_b32_e32 v1, 0xf8, v1
	v_and_or_b32 v0, v0, 7, v1
	s_and_b64 s[40:41], vcc, s[40:41]
	v_cndmask_b32_e64 v0, v0, 0, s[40:41]
	v_or_b32_e32 v36, v0, v3
.LBB6_1140:                             ;   in Loop: Header=BB6_354 Depth=4
	s_or_b64 exec, exec, s[50:51]
                                        ; implicit-def: $vgpr3
.LBB6_1141:                             ;   in Loop: Header=BB6_354 Depth=4
	s_andn2_saveexec_b64 s[40:41], s[48:49]
; %bb.1142:                             ;   in Loop: Header=BB6_354 Depth=4
	v_or_b32_e32 v36, 0x7e, v3
; %bb.1143:                             ;   in Loop: Header=BB6_354 Depth=4
	s_or_b64 exec, exec, s[40:41]
                                        ; implicit-def: $vgpr1
.LBB6_1144:                             ;   in Loop: Header=BB6_354 Depth=4
	s_andn2_saveexec_b64 s[40:41], s[38:39]
; %bb.1145:                             ;   in Loop: Header=BB6_354 Depth=4
	v_or_b32_sdwa v36, v1, s83 dst_sel:DWORD dst_unused:UNUSED_PAD src0_sel:BYTE_3 src1_sel:DWORD
; %bb.1146:                             ;   in Loop: Header=BB6_354 Depth=4
	s_or_b64 exec, exec, s[40:41]
	v_lshrrev_b32_e32 v2, 16, v32
	v_lshrrev_b32_e32 v0, 16, v24
	v_cmp_ne_u16_sdwa s[40:41], v2, v53 src0_sel:BYTE_0 src1_sel:DWORD
	s_and_b64 vcc, exec, s[28:29]
	s_mov_b64 s[38:39], -1
                                        ; implicit-def: $vgpr1
	s_cbranch_vccnz .LBB6_1160
; %bb.1147:                             ;   in Loop: Header=BB6_354 Depth=4
	v_mov_b32_e32 v3, 0
	v_mov_b32_e32 v1, 0
	s_and_saveexec_b64 s[38:39], s[40:41]
	s_cbranch_execz .LBB6_1153
; %bb.1148:                             ;   in Loop: Header=BB6_354 Depth=4
	v_cmp_ne_u16_sdwa vcc, v2, s82 src0_sel:BYTE_0 src1_sel:DWORD
	v_bfrev_b32_e32 v1, 1
	s_and_saveexec_b64 s[48:49], vcc
	s_cbranch_execz .LBB6_1152
; %bb.1149:                             ;   in Loop: Header=BB6_354 Depth=4
	v_bfe_u32 v4, v32, 16, 7
	v_cmp_ne_u32_e32 vcc, s83, v4
	v_mov_b32_e32 v1, 0x7f800001
	s_and_saveexec_b64 s[50:51], vcc
	s_cbranch_execz .LBB6_1151
; %bb.1150:                             ;   in Loop: Header=BB6_354 Depth=4
	v_and_b32_e32 v1, 7, v2
	v_lshrrev_b32_e32 v28, 3, v4
	v_cmp_gt_u32_e32 vcc, 8, v4
	v_ffbh_u32_e32 v4, v1
	v_min_u32_e32 v29, 32, v4
	v_subrev_u32_e32 v4, 28, v29
	v_lshlrev_b64 v[4:5], v4, v[2:3]
	v_sub_u32_e32 v5, 29, v29
	v_and_b32_e32 v4, 7, v4
	v_cndmask_b32_e32 v5, v28, v5, vcc
	v_cndmask_b32_e32 v1, v1, v4, vcc
	v_lshlrev_b32_e32 v4, 24, v2
	v_bfrev_b32_e32 v28, 60
	v_lshlrev_b32_e32 v1, 20, v1
	v_and_b32_e32 v4, 0x80000000, v4
	v_lshl_add_u32 v5, v5, 23, v28
	v_or3_b32 v1, v4, v5, v1
.LBB6_1151:                             ;   in Loop: Header=BB6_354 Depth=4
	s_or_b64 exec, exec, s[50:51]
.LBB6_1152:                             ;   in Loop: Header=BB6_354 Depth=4
	s_or_b64 exec, exec, s[48:49]
.LBB6_1153:                             ;   in Loop: Header=BB6_354 Depth=4
	s_or_b64 exec, exec, s[38:39]
	v_cmp_ne_u16_sdwa vcc, v0, v53 src0_sel:BYTE_0 src1_sel:DWORD
	s_and_saveexec_b64 s[38:39], vcc
	s_cbranch_execz .LBB6_1159
; %bb.1154:                             ;   in Loop: Header=BB6_354 Depth=4
	v_cmp_ne_u16_sdwa vcc, v0, s82 src0_sel:BYTE_0 src1_sel:DWORD
	v_bfrev_b32_e32 v3, 1
	s_and_saveexec_b64 s[48:49], vcc
	s_cbranch_execz .LBB6_1158
; %bb.1155:                             ;   in Loop: Header=BB6_354 Depth=4
	v_bfe_u32 v4, v24, 16, 7
	v_cmp_ne_u32_e32 vcc, s83, v4
	v_mov_b32_e32 v3, 0x7f800001
	s_and_saveexec_b64 s[50:51], vcc
	s_cbranch_execz .LBB6_1157
; %bb.1156:                             ;   in Loop: Header=BB6_354 Depth=4
	v_and_b32_e32 v5, 7, v0
	v_ffbh_u32_e32 v3, v5
	v_min_u32_e32 v29, 32, v3
	v_subrev_u32_e32 v3, 28, v29
	v_lshrrev_b32_e32 v28, 3, v4
	v_cmp_gt_u32_e32 vcc, 8, v4
	v_lshlrev_b64 v[3:4], v3, v[0:1]
	v_sub_u32_e32 v4, 29, v29
	v_and_b32_e32 v3, 7, v3
	v_cndmask_b32_e32 v4, v28, v4, vcc
	v_cndmask_b32_e32 v3, v5, v3, vcc
	v_lshlrev_b32_e32 v5, 24, v0
	v_bfrev_b32_e32 v28, 60
	v_lshlrev_b32_e32 v3, 20, v3
	v_and_b32_e32 v5, 0x80000000, v5
	v_lshl_add_u32 v4, v4, 23, v28
	v_or3_b32 v3, v5, v4, v3
.LBB6_1157:                             ;   in Loop: Header=BB6_354 Depth=4
	s_or_b64 exec, exec, s[50:51]
.LBB6_1158:                             ;   in Loop: Header=BB6_354 Depth=4
	s_or_b64 exec, exec, s[48:49]
.LBB6_1159:                             ;   in Loop: Header=BB6_354 Depth=4
	s_or_b64 exec, exec, s[38:39]
	v_max_f32_e32 v3, v3, v3
	v_max_f32_e32 v1, v1, v1
	;; [unrolled: 1-line block ×3, first 2 shown]
	s_mov_b64 s[38:39], 0
.LBB6_1160:                             ;   in Loop: Header=BB6_354 Depth=4
	s_and_b64 vcc, exec, s[38:39]
	s_cbranch_vccz .LBB6_1174
; %bb.1161:                             ;   in Loop: Header=BB6_354 Depth=4
	v_mov_b32_e32 v3, 0
	v_mov_b32_e32 v1, 0
	s_and_saveexec_b64 s[38:39], s[40:41]
	s_cbranch_execz .LBB6_1167
; %bb.1162:                             ;   in Loop: Header=BB6_354 Depth=4
	v_cmp_ne_u16_sdwa vcc, v2, s82 src0_sel:BYTE_0 src1_sel:DWORD
	v_bfrev_b32_e32 v1, 1
	s_and_saveexec_b64 s[40:41], vcc
	s_cbranch_execz .LBB6_1166
; %bb.1163:                             ;   in Loop: Header=BB6_354 Depth=4
	v_bfe_u32 v4, v32, 16, 7
	v_cmp_ne_u32_e32 vcc, s83, v4
	v_mov_b32_e32 v1, 0x7f800001
	s_and_saveexec_b64 s[48:49], vcc
	s_cbranch_execz .LBB6_1165
; %bb.1164:                             ;   in Loop: Header=BB6_354 Depth=4
	v_and_b32_e32 v1, 7, v2
	v_lshrrev_b32_e32 v28, 3, v4
	v_cmp_gt_u32_e32 vcc, 8, v4
	v_ffbh_u32_e32 v4, v1
	v_min_u32_e32 v29, 32, v4
	v_subrev_u32_e32 v4, 28, v29
	v_lshlrev_b64 v[4:5], v4, v[2:3]
	v_sub_u32_e32 v5, 29, v29
	v_and_b32_e32 v4, 7, v4
	v_cndmask_b32_e32 v5, v28, v5, vcc
	v_cndmask_b32_e32 v1, v1, v4, vcc
	v_lshlrev_b32_e32 v2, 24, v2
	v_bfrev_b32_e32 v4, 60
	v_lshlrev_b32_e32 v1, 20, v1
	v_and_b32_e32 v2, 0x80000000, v2
	v_lshl_add_u32 v4, v5, 23, v4
	v_or3_b32 v1, v2, v4, v1
.LBB6_1165:                             ;   in Loop: Header=BB6_354 Depth=4
	s_or_b64 exec, exec, s[48:49]
.LBB6_1166:                             ;   in Loop: Header=BB6_354 Depth=4
	s_or_b64 exec, exec, s[40:41]
.LBB6_1167:                             ;   in Loop: Header=BB6_354 Depth=4
	s_or_b64 exec, exec, s[38:39]
	v_cmp_ne_u16_sdwa vcc, v0, v53 src0_sel:BYTE_0 src1_sel:DWORD
	s_and_saveexec_b64 s[40:41], vcc
	s_cbranch_execz .LBB6_1173
; %bb.1168:                             ;   in Loop: Header=BB6_354 Depth=4
	v_cmp_ne_u16_sdwa vcc, v0, s82 src0_sel:BYTE_0 src1_sel:DWORD
	v_bfrev_b32_e32 v3, 1
	s_and_saveexec_b64 s[38:39], vcc
	s_cbranch_execz .LBB6_1172
; %bb.1169:                             ;   in Loop: Header=BB6_354 Depth=4
	v_bfe_u32 v2, v24, 16, 7
	v_cmp_ne_u32_e32 vcc, s83, v2
	v_mov_b32_e32 v3, 0x7f800001
	s_and_saveexec_b64 s[48:49], vcc
	s_cbranch_execz .LBB6_1171
; %bb.1170:                             ;   in Loop: Header=BB6_354 Depth=4
	v_and_b32_e32 v4, 7, v0
	v_lshrrev_b32_e32 v5, 3, v2
	v_cmp_gt_u32_e32 vcc, 8, v2
	v_ffbh_u32_e32 v2, v4
	v_min_u32_e32 v28, 32, v2
	v_subrev_u32_e32 v2, 28, v28
	v_lshlrev_b64 v[2:3], v2, v[0:1]
	v_sub_u32_e32 v3, 29, v28
	v_and_b32_e32 v2, 7, v2
	v_cndmask_b32_e32 v3, v5, v3, vcc
	v_cndmask_b32_e32 v2, v4, v2, vcc
	v_lshlrev_b32_e32 v0, 24, v0
	v_bfrev_b32_e32 v4, 60
	v_lshlrev_b32_e32 v2, 20, v2
	v_and_b32_e32 v0, 0x80000000, v0
	v_lshl_add_u32 v3, v3, 23, v4
	v_or3_b32 v3, v0, v3, v2
.LBB6_1171:                             ;   in Loop: Header=BB6_354 Depth=4
	s_or_b64 exec, exec, s[48:49]
.LBB6_1172:                             ;   in Loop: Header=BB6_354 Depth=4
	s_or_b64 exec, exec, s[38:39]
.LBB6_1173:                             ;   in Loop: Header=BB6_354 Depth=4
	s_or_b64 exec, exec, s[40:41]
	v_max_f32_e32 v0, v3, v3
	v_max_f32_e32 v1, v1, v1
	v_min_f32_e32 v1, v1, v0
.LBB6_1174:                             ;   in Loop: Header=BB6_354 Depth=4
	v_and_b32_e32 v52, 0x7f800000, v1
	v_cmp_ne_u64_e32 vcc, s[76:77], v[52:53]
	buffer_store_dword v36, off, s[0:3], s33 offset:160 ; 4-byte Folded Spill
                                        ; implicit-def: $vgpr36
	s_and_saveexec_b64 s[40:41], vcc
	s_xor_b64 s[38:39], exec, s[40:41]
	s_cbranch_execz .LBB6_1188
; %bb.1175:                             ;   in Loop: Header=BB6_354 Depth=4
	v_and_b32_e32 v52, 0x7fffffff, v1
	v_cmp_gt_u64_e32 vcc, s[78:79], v[52:53]
	v_and_b32_sdwa v3, v1, s82 dst_sel:DWORD dst_unused:UNUSED_PAD src0_sel:BYTE_3 src1_sel:DWORD
                                        ; implicit-def: $vgpr36
	s_and_saveexec_b64 s[40:41], vcc
	s_xor_b64 s[48:49], exec, s[40:41]
	s_cbranch_execz .LBB6_1185
; %bb.1176:                             ;   in Loop: Header=BB6_354 Depth=4
	v_mov_b32_e32 v36, 0
	v_cmp_ne_u32_e32 vcc, 0, v1
	s_and_saveexec_b64 s[50:51], vcc
	s_cbranch_execz .LBB6_1184
; %bb.1177:                             ;   in Loop: Header=BB6_354 Depth=4
	v_bfe_u32 v4, v1, 23, 8
	v_and_b32_e32 v0, 0x7fffff, v1
	v_cmp_gt_u32_e64 s[40:41], s85, v4
	v_sub_u32_e32 v1, 0x79, v4
	v_cmp_eq_u32_e32 vcc, 0, v4
	v_cndmask_b32_e64 v1, 0, v1, s[40:41]
	v_mov_b32_e32 v5, 0x78
	v_or_b32_e32 v2, 0x800000, v0
	v_cndmask_b32_e32 v5, v1, v5, vcc
	v_cndmask_b32_e32 v52, v2, v0, vcc
	v_add_u32_e32 v0, 20, v5
	v_lshlrev_b64 v[0:1], v0, -1
	v_add_u32_e32 v2, 19, v5
	v_lshlrev_b64 v[28:29], v2, 1
	v_bfi_b32 v1, v1, 0, 0
	v_bfi_b32 v0, v0, 0, v52
	v_cmp_eq_u64_e64 s[40:41], v[0:1], v[28:29]
	v_lshrrev_b64 v[0:1], v5, v[52:53]
	v_mov_b32_e32 v2, v1
	v_mov_b32_e32 v1, v0
	s_and_saveexec_b64 s[52:53], s[40:41]
; %bb.1178:                             ;   in Loop: Header=BB6_354 Depth=4
	v_bfe_u32 v1, v0, 20, 1
	v_add_co_u32_e64 v1, s[40:41], v0, v1
	v_add_co_u32_e64 v1, s[40:41], -1, v1
; %bb.1179:                             ;   in Loop: Header=BB6_354 Depth=4
	s_or_b64 exec, exec, s[52:53]
	v_add_u32_e32 v2, 0xffffff81, v4
	v_mov_b32_e32 v4, 0xffffff82
	v_cndmask_b32_e32 v2, v2, v4, vcc
	v_lshrrev_b32_e32 v4, 23, v0
	v_add3_u32 v5, v5, v2, v4
	v_add_u32_e32 v4, 6, v5
	v_and_b32_e32 v1, 0xfffff, v1
	v_add_u32_e32 v52, v1, v0
	v_cmp_ne_u32_e32 vcc, 0, v4
                                        ; implicit-def: $vgpr0_vgpr1
                                        ; implicit-def: $vgpr2
	s_and_saveexec_b64 s[40:41], vcc
	s_xor_b64 s[40:41], exec, s[40:41]
; %bb.1180:                             ;   in Loop: Header=BB6_354 Depth=4
	v_cmp_lt_u64_e32 vcc, s[88:89], v[52:53]
	v_add_u32_e32 v0, 7, v5
	v_cndmask_b32_e32 v2, v4, v0, vcc
	v_cndmask_b32_e64 v0, 0, 1, vcc
	v_lshrrev_b64 v[0:1], v0, v[52:53]
; %bb.1181:                             ;   in Loop: Header=BB6_354 Depth=4
	s_andn2_saveexec_b64 s[40:41], s[40:41]
; %bb.1182:                             ;   in Loop: Header=BB6_354 Depth=4
	v_mov_b32_e32 v0, v52
	v_bfe_u32 v2, v52, 23, 1
	v_mov_b32_e32 v1, v53
; %bb.1183:                             ;   in Loop: Header=BB6_354 Depth=4
	s_or_b64 exec, exec, s[40:41]
	v_lshrrev_b64 v[0:1], 20, v[0:1]
	v_cmp_gt_i32_e32 vcc, 16, v2
	v_cndmask_b32_e32 v1, 0, v1, vcc
	v_cndmask_b32_e32 v0, 7, v0, vcc
	v_cmp_eq_u64_e64 s[40:41], 0, v[0:1]
	v_min_i32_e32 v1, 15, v2
	v_lshlrev_b32_e32 v1, 3, v1
	v_cmp_eq_u32_e32 vcc, 0, v2
	v_and_b32_e32 v1, 0xf8, v1
	v_and_or_b32 v0, v0, 7, v1
	s_and_b64 s[40:41], vcc, s[40:41]
	v_cndmask_b32_e64 v0, v0, 0, s[40:41]
	v_or_b32_e32 v36, v0, v3
.LBB6_1184:                             ;   in Loop: Header=BB6_354 Depth=4
	s_or_b64 exec, exec, s[50:51]
                                        ; implicit-def: $vgpr3
.LBB6_1185:                             ;   in Loop: Header=BB6_354 Depth=4
	s_andn2_saveexec_b64 s[40:41], s[48:49]
; %bb.1186:                             ;   in Loop: Header=BB6_354 Depth=4
	v_or_b32_e32 v36, 0x7e, v3
; %bb.1187:                             ;   in Loop: Header=BB6_354 Depth=4
	s_or_b64 exec, exec, s[40:41]
                                        ; implicit-def: $vgpr1
.LBB6_1188:                             ;   in Loop: Header=BB6_354 Depth=4
	s_andn2_saveexec_b64 s[40:41], s[38:39]
; %bb.1189:                             ;   in Loop: Header=BB6_354 Depth=4
	v_or_b32_sdwa v36, v1, s83 dst_sel:DWORD dst_unused:UNUSED_PAD src0_sel:BYTE_3 src1_sel:DWORD
; %bb.1190:                             ;   in Loop: Header=BB6_354 Depth=4
	s_or_b64 exec, exec, s[40:41]
	v_lshrrev_b32_e32 v2, 24, v32
	v_lshrrev_b32_e32 v0, 24, v24
	v_cmp_lt_u32_e64 s[40:41], s63, v32
	s_and_b64 vcc, exec, s[28:29]
	s_mov_b64 s[38:39], -1
                                        ; implicit-def: $vgpr1
	s_cbranch_vccnz .LBB6_1204
; %bb.1191:                             ;   in Loop: Header=BB6_354 Depth=4
	v_mov_b32_e32 v3, 0
	v_mov_b32_e32 v1, 0
	s_and_saveexec_b64 s[38:39], s[40:41]
	s_cbranch_execz .LBB6_1197
; %bb.1192:                             ;   in Loop: Header=BB6_354 Depth=4
	v_cmp_ne_u32_e32 vcc, s82, v2
	v_bfrev_b32_e32 v1, 1
	s_and_saveexec_b64 s[48:49], vcc
	s_cbranch_execz .LBB6_1196
; %bb.1193:                             ;   in Loop: Header=BB6_354 Depth=4
	v_bfe_u32 v4, v32, 24, 7
	v_cmp_ne_u32_e32 vcc, s83, v4
	v_mov_b32_e32 v1, 0x7f800001
	s_and_saveexec_b64 s[50:51], vcc
	s_cbranch_execz .LBB6_1195
; %bb.1194:                             ;   in Loop: Header=BB6_354 Depth=4
	v_and_b32_e32 v1, 7, v2
	v_lshrrev_b32_e32 v28, 3, v4
	v_cmp_gt_u32_e32 vcc, 8, v4
	v_ffbh_u32_e32 v4, v1
	v_min_u32_e32 v29, 32, v4
	v_subrev_u32_e32 v4, 28, v29
	v_lshlrev_b64 v[4:5], v4, v[2:3]
	v_sub_u32_e32 v5, 29, v29
	v_and_b32_e32 v4, 7, v4
	v_cndmask_b32_e32 v5, v28, v5, vcc
	v_cndmask_b32_e32 v1, v1, v4, vcc
	v_lshlrev_b32_e32 v4, 24, v2
	v_bfrev_b32_e32 v28, 60
	v_lshlrev_b32_e32 v1, 20, v1
	v_and_b32_e32 v4, 0x80000000, v4
	v_lshl_add_u32 v5, v5, 23, v28
	v_or3_b32 v1, v4, v5, v1
.LBB6_1195:                             ;   in Loop: Header=BB6_354 Depth=4
	s_or_b64 exec, exec, s[50:51]
.LBB6_1196:                             ;   in Loop: Header=BB6_354 Depth=4
	s_or_b64 exec, exec, s[48:49]
.LBB6_1197:                             ;   in Loop: Header=BB6_354 Depth=4
	s_or_b64 exec, exec, s[38:39]
	v_cmp_lt_u32_e32 vcc, s63, v24
	s_and_saveexec_b64 s[38:39], vcc
	s_cbranch_execz .LBB6_1203
; %bb.1198:                             ;   in Loop: Header=BB6_354 Depth=4
	v_cmp_ne_u32_e32 vcc, s82, v0
	v_bfrev_b32_e32 v3, 1
	s_and_saveexec_b64 s[48:49], vcc
	s_cbranch_execz .LBB6_1202
; %bb.1199:                             ;   in Loop: Header=BB6_354 Depth=4
	v_bfe_u32 v4, v24, 24, 7
	v_cmp_ne_u32_e32 vcc, s83, v4
	v_mov_b32_e32 v3, 0x7f800001
	s_and_saveexec_b64 s[50:51], vcc
	s_cbranch_execz .LBB6_1201
; %bb.1200:                             ;   in Loop: Header=BB6_354 Depth=4
	v_and_b32_e32 v5, 7, v0
	v_ffbh_u32_e32 v3, v5
	v_min_u32_e32 v29, 32, v3
	v_subrev_u32_e32 v3, 28, v29
	v_lshrrev_b32_e32 v28, 3, v4
	v_cmp_gt_u32_e32 vcc, 8, v4
	v_lshlrev_b64 v[3:4], v3, v[0:1]
	v_sub_u32_e32 v4, 29, v29
	v_and_b32_e32 v3, 7, v3
	v_cndmask_b32_e32 v4, v28, v4, vcc
	v_cndmask_b32_e32 v3, v5, v3, vcc
	v_lshlrev_b32_e32 v5, 24, v0
	v_bfrev_b32_e32 v28, 60
	v_lshlrev_b32_e32 v3, 20, v3
	v_and_b32_e32 v5, 0x80000000, v5
	v_lshl_add_u32 v4, v4, 23, v28
	v_or3_b32 v3, v5, v4, v3
.LBB6_1201:                             ;   in Loop: Header=BB6_354 Depth=4
	s_or_b64 exec, exec, s[50:51]
.LBB6_1202:                             ;   in Loop: Header=BB6_354 Depth=4
	s_or_b64 exec, exec, s[48:49]
.LBB6_1203:                             ;   in Loop: Header=BB6_354 Depth=4
	s_or_b64 exec, exec, s[38:39]
	v_max_f32_e32 v3, v3, v3
	v_max_f32_e32 v1, v1, v1
	;; [unrolled: 1-line block ×3, first 2 shown]
	s_mov_b64 s[38:39], 0
.LBB6_1204:                             ;   in Loop: Header=BB6_354 Depth=4
	s_and_b64 vcc, exec, s[38:39]
	s_cbranch_vccz .LBB6_1218
; %bb.1205:                             ;   in Loop: Header=BB6_354 Depth=4
	v_mov_b32_e32 v3, 0
	v_mov_b32_e32 v1, 0
	s_and_saveexec_b64 s[38:39], s[40:41]
	s_cbranch_execz .LBB6_1211
; %bb.1206:                             ;   in Loop: Header=BB6_354 Depth=4
	v_cmp_ne_u32_e32 vcc, s82, v2
	v_bfrev_b32_e32 v1, 1
	s_and_saveexec_b64 s[40:41], vcc
	s_cbranch_execz .LBB6_1210
; %bb.1207:                             ;   in Loop: Header=BB6_354 Depth=4
	v_bfe_u32 v4, v32, 24, 7
	v_cmp_ne_u32_e32 vcc, s83, v4
	v_mov_b32_e32 v1, 0x7f800001
	s_and_saveexec_b64 s[48:49], vcc
	s_cbranch_execz .LBB6_1209
; %bb.1208:                             ;   in Loop: Header=BB6_354 Depth=4
	v_and_b32_e32 v1, 7, v2
	v_lshrrev_b32_e32 v28, 3, v4
	v_cmp_gt_u32_e32 vcc, 8, v4
	v_ffbh_u32_e32 v4, v1
	v_min_u32_e32 v29, 32, v4
	v_subrev_u32_e32 v4, 28, v29
	v_lshlrev_b64 v[4:5], v4, v[2:3]
	v_sub_u32_e32 v5, 29, v29
	v_and_b32_e32 v4, 7, v4
	v_cndmask_b32_e32 v5, v28, v5, vcc
	v_cndmask_b32_e32 v1, v1, v4, vcc
	v_lshlrev_b32_e32 v2, 24, v2
	v_bfrev_b32_e32 v4, 60
	v_lshlrev_b32_e32 v1, 20, v1
	v_and_b32_e32 v2, 0x80000000, v2
	v_lshl_add_u32 v4, v5, 23, v4
	v_or3_b32 v1, v2, v4, v1
.LBB6_1209:                             ;   in Loop: Header=BB6_354 Depth=4
	s_or_b64 exec, exec, s[48:49]
.LBB6_1210:                             ;   in Loop: Header=BB6_354 Depth=4
	s_or_b64 exec, exec, s[40:41]
.LBB6_1211:                             ;   in Loop: Header=BB6_354 Depth=4
	s_or_b64 exec, exec, s[38:39]
	v_cmp_lt_u32_e32 vcc, s63, v24
	s_and_saveexec_b64 s[40:41], vcc
	s_cbranch_execz .LBB6_1217
; %bb.1212:                             ;   in Loop: Header=BB6_354 Depth=4
	v_cmp_ne_u32_e32 vcc, s82, v0
	v_bfrev_b32_e32 v3, 1
	s_and_saveexec_b64 s[38:39], vcc
	s_cbranch_execz .LBB6_1216
; %bb.1213:                             ;   in Loop: Header=BB6_354 Depth=4
	v_bfe_u32 v2, v24, 24, 7
	v_cmp_ne_u32_e32 vcc, s83, v2
	v_mov_b32_e32 v3, 0x7f800001
	s_and_saveexec_b64 s[48:49], vcc
	s_cbranch_execz .LBB6_1215
; %bb.1214:                             ;   in Loop: Header=BB6_354 Depth=4
	v_and_b32_e32 v4, 7, v0
	v_lshrrev_b32_e32 v5, 3, v2
	v_cmp_gt_u32_e32 vcc, 8, v2
	v_ffbh_u32_e32 v2, v4
	v_min_u32_e32 v28, 32, v2
	v_subrev_u32_e32 v2, 28, v28
	v_lshlrev_b64 v[2:3], v2, v[0:1]
	v_sub_u32_e32 v3, 29, v28
	v_and_b32_e32 v2, 7, v2
	v_cndmask_b32_e32 v3, v5, v3, vcc
	v_cndmask_b32_e32 v2, v4, v2, vcc
	v_lshlrev_b32_e32 v0, 24, v0
	v_bfrev_b32_e32 v4, 60
	v_lshlrev_b32_e32 v2, 20, v2
	v_and_b32_e32 v0, 0x80000000, v0
	v_lshl_add_u32 v3, v3, 23, v4
	v_or3_b32 v3, v0, v3, v2
.LBB6_1215:                             ;   in Loop: Header=BB6_354 Depth=4
	s_or_b64 exec, exec, s[48:49]
.LBB6_1216:                             ;   in Loop: Header=BB6_354 Depth=4
	s_or_b64 exec, exec, s[38:39]
.LBB6_1217:                             ;   in Loop: Header=BB6_354 Depth=4
	s_or_b64 exec, exec, s[40:41]
	v_max_f32_e32 v0, v3, v3
	v_max_f32_e32 v1, v1, v1
	v_min_f32_e32 v1, v1, v0
.LBB6_1218:                             ;   in Loop: Header=BB6_354 Depth=4
	v_and_b32_e32 v52, 0x7f800000, v1
	v_cmp_ne_u64_e32 vcc, s[76:77], v[52:53]
	buffer_store_dword v36, off, s[0:3], s33 offset:164 ; 4-byte Folded Spill
                                        ; implicit-def: $vgpr46
	s_and_saveexec_b64 s[40:41], vcc
	s_xor_b64 s[38:39], exec, s[40:41]
	s_cbranch_execz .LBB6_1232
; %bb.1219:                             ;   in Loop: Header=BB6_354 Depth=4
	v_and_b32_e32 v52, 0x7fffffff, v1
	v_cmp_gt_u64_e32 vcc, s[78:79], v[52:53]
	v_and_b32_sdwa v3, v1, s82 dst_sel:DWORD dst_unused:UNUSED_PAD src0_sel:BYTE_3 src1_sel:DWORD
                                        ; implicit-def: $vgpr46
	s_and_saveexec_b64 s[40:41], vcc
	s_xor_b64 s[48:49], exec, s[40:41]
	s_cbranch_execz .LBB6_1229
; %bb.1220:                             ;   in Loop: Header=BB6_354 Depth=4
	v_mov_b32_e32 v46, 0
	v_cmp_ne_u32_e32 vcc, 0, v1
	s_and_saveexec_b64 s[50:51], vcc
	s_cbranch_execz .LBB6_1228
; %bb.1221:                             ;   in Loop: Header=BB6_354 Depth=4
	v_bfe_u32 v4, v1, 23, 8
	v_and_b32_e32 v0, 0x7fffff, v1
	v_cmp_gt_u32_e64 s[40:41], s85, v4
	v_sub_u32_e32 v1, 0x79, v4
	v_cmp_eq_u32_e32 vcc, 0, v4
	v_cndmask_b32_e64 v1, 0, v1, s[40:41]
	v_mov_b32_e32 v5, 0x78
	v_or_b32_e32 v2, 0x800000, v0
	v_cndmask_b32_e32 v5, v1, v5, vcc
	v_cndmask_b32_e32 v52, v2, v0, vcc
	v_add_u32_e32 v0, 20, v5
	v_lshlrev_b64 v[0:1], v0, -1
	v_add_u32_e32 v2, 19, v5
	v_lshlrev_b64 v[28:29], v2, 1
	v_bfi_b32 v1, v1, 0, 0
	v_bfi_b32 v0, v0, 0, v52
	v_cmp_eq_u64_e64 s[40:41], v[0:1], v[28:29]
	v_lshrrev_b64 v[0:1], v5, v[52:53]
	v_mov_b32_e32 v2, v1
	v_mov_b32_e32 v1, v0
	s_and_saveexec_b64 s[52:53], s[40:41]
; %bb.1222:                             ;   in Loop: Header=BB6_354 Depth=4
	v_bfe_u32 v1, v0, 20, 1
	v_add_co_u32_e64 v1, s[40:41], v0, v1
	v_add_co_u32_e64 v1, s[40:41], -1, v1
; %bb.1223:                             ;   in Loop: Header=BB6_354 Depth=4
	s_or_b64 exec, exec, s[52:53]
	v_add_u32_e32 v2, 0xffffff81, v4
	v_mov_b32_e32 v4, 0xffffff82
	v_cndmask_b32_e32 v2, v2, v4, vcc
	v_lshrrev_b32_e32 v4, 23, v0
	v_add3_u32 v5, v5, v2, v4
	v_add_u32_e32 v4, 6, v5
	v_and_b32_e32 v1, 0xfffff, v1
	v_add_u32_e32 v52, v1, v0
	v_cmp_ne_u32_e32 vcc, 0, v4
                                        ; implicit-def: $vgpr0_vgpr1
                                        ; implicit-def: $vgpr2
	s_and_saveexec_b64 s[40:41], vcc
	s_xor_b64 s[40:41], exec, s[40:41]
; %bb.1224:                             ;   in Loop: Header=BB6_354 Depth=4
	v_cmp_lt_u64_e32 vcc, s[88:89], v[52:53]
	v_add_u32_e32 v0, 7, v5
	v_cndmask_b32_e32 v2, v4, v0, vcc
	v_cndmask_b32_e64 v0, 0, 1, vcc
	v_lshrrev_b64 v[0:1], v0, v[52:53]
; %bb.1225:                             ;   in Loop: Header=BB6_354 Depth=4
	s_andn2_saveexec_b64 s[40:41], s[40:41]
; %bb.1226:                             ;   in Loop: Header=BB6_354 Depth=4
	v_mov_b32_e32 v0, v52
	v_bfe_u32 v2, v52, 23, 1
	v_mov_b32_e32 v1, v53
; %bb.1227:                             ;   in Loop: Header=BB6_354 Depth=4
	s_or_b64 exec, exec, s[40:41]
	v_lshrrev_b64 v[0:1], 20, v[0:1]
	v_cmp_gt_i32_e32 vcc, 16, v2
	v_cndmask_b32_e32 v1, 0, v1, vcc
	v_cndmask_b32_e32 v0, 7, v0, vcc
	v_cmp_eq_u64_e64 s[40:41], 0, v[0:1]
	v_min_i32_e32 v1, 15, v2
	v_lshlrev_b32_e32 v1, 3, v1
	v_cmp_eq_u32_e32 vcc, 0, v2
	v_and_b32_e32 v1, 0xf8, v1
	v_and_or_b32 v0, v0, 7, v1
	s_and_b64 s[40:41], vcc, s[40:41]
	v_cndmask_b32_e64 v0, v0, 0, s[40:41]
	v_or_b32_e32 v46, v0, v3
.LBB6_1228:                             ;   in Loop: Header=BB6_354 Depth=4
	s_or_b64 exec, exec, s[50:51]
                                        ; implicit-def: $vgpr3
.LBB6_1229:                             ;   in Loop: Header=BB6_354 Depth=4
	s_andn2_saveexec_b64 s[40:41], s[48:49]
; %bb.1230:                             ;   in Loop: Header=BB6_354 Depth=4
	v_or_b32_e32 v46, 0x7e, v3
; %bb.1231:                             ;   in Loop: Header=BB6_354 Depth=4
	s_or_b64 exec, exec, s[40:41]
                                        ; implicit-def: $vgpr1
.LBB6_1232:                             ;   in Loop: Header=BB6_354 Depth=4
	s_andn2_saveexec_b64 s[40:41], s[38:39]
; %bb.1233:                             ;   in Loop: Header=BB6_354 Depth=4
	v_or_b32_sdwa v46, v1, s83 dst_sel:DWORD dst_unused:UNUSED_PAD src0_sel:BYTE_3 src1_sel:DWORD
; %bb.1234:                             ;   in Loop: Header=BB6_354 Depth=4
	s_or_b64 exec, exec, s[40:41]
	v_mov_b32_e32 v52, v33
	v_mov_b32_e32 v2, v25
	;; [unrolled: 1-line block ×3, first 2 shown]
	v_cmp_ne_u16_sdwa s[40:41], v33, v53 src0_sel:BYTE_0 src1_sel:DWORD
	s_and_b64 vcc, exec, s[28:29]
	s_mov_b64 s[38:39], -1
                                        ; implicit-def: $vgpr0
	s_cbranch_vccnz .LBB6_1248
; %bb.1235:                             ;   in Loop: Header=BB6_354 Depth=4
	v_mov_b32_e32 v1, 0
	v_mov_b32_e32 v0, 0
	s_and_saveexec_b64 s[38:39], s[40:41]
	s_cbranch_execz .LBB6_1241
; %bb.1236:                             ;   in Loop: Header=BB6_354 Depth=4
	v_cmp_ne_u16_sdwa vcc, v33, s82 src0_sel:BYTE_0 src1_sel:DWORD
	v_bfrev_b32_e32 v0, 1
	s_and_saveexec_b64 s[48:49], vcc
	s_cbranch_execz .LBB6_1240
; %bb.1237:                             ;   in Loop: Header=BB6_354 Depth=4
	v_and_b32_e32 v4, 0x7f, v33
	v_cmp_ne_u32_e32 vcc, s83, v4
	v_mov_b32_e32 v0, 0x7f800001
	s_and_saveexec_b64 s[50:51], vcc
	s_cbranch_execz .LBB6_1239
; %bb.1238:                             ;   in Loop: Header=BB6_354 Depth=4
	v_and_b32_e32 v0, 7, v33
	v_ffbh_u32_e32 v0, v0
	v_min_u32_e32 v0, 32, v0
	v_lshrrev_b32_e32 v5, 3, v4
	v_cmp_gt_u32_e32 vcc, 8, v4
	v_subrev_u32_e32 v4, 28, v0
	v_sub_u32_e32 v0, 29, v0
	v_cndmask_b32_e32 v4, 0, v4, vcc
	v_cndmask_b32_e32 v0, v5, v0, vcc
	v_lshlrev_b64 v[4:5], v4, v[52:53]
	v_lshlrev_b32_e32 v5, 24, v52
	v_lshlrev_b32_e32 v4, 20, v4
	v_bfrev_b32_e32 v28, 60
	v_and_b32_e32 v4, 0x700000, v4
	v_and_b32_e32 v5, 0x80000000, v5
	v_lshl_add_u32 v0, v0, 23, v28
	v_or3_b32 v0, v5, v0, v4
.LBB6_1239:                             ;   in Loop: Header=BB6_354 Depth=4
	s_or_b64 exec, exec, s[50:51]
.LBB6_1240:                             ;   in Loop: Header=BB6_354 Depth=4
	s_or_b64 exec, exec, s[48:49]
.LBB6_1241:                             ;   in Loop: Header=BB6_354 Depth=4
	s_or_b64 exec, exec, s[38:39]
	v_cmp_ne_u16_sdwa vcc, v25, v53 src0_sel:BYTE_0 src1_sel:DWORD
	s_and_saveexec_b64 s[38:39], vcc
	s_cbranch_execz .LBB6_1247
; %bb.1242:                             ;   in Loop: Header=BB6_354 Depth=4
	v_cmp_ne_u16_sdwa vcc, v25, s82 src0_sel:BYTE_0 src1_sel:DWORD
	v_bfrev_b32_e32 v1, 1
	s_and_saveexec_b64 s[48:49], vcc
	s_cbranch_execz .LBB6_1246
; %bb.1243:                             ;   in Loop: Header=BB6_354 Depth=4
	v_and_b32_e32 v4, 0x7f, v25
	v_cmp_ne_u32_e32 vcc, s83, v4
	v_mov_b32_e32 v1, 0x7f800001
	s_and_saveexec_b64 s[50:51], vcc
	s_cbranch_execz .LBB6_1245
; %bb.1244:                             ;   in Loop: Header=BB6_354 Depth=4
	v_and_b32_e32 v1, 7, v25
	v_ffbh_u32_e32 v1, v1
	v_min_u32_e32 v1, 32, v1
	v_lshrrev_b32_e32 v5, 3, v4
	v_cmp_gt_u32_e32 vcc, 8, v4
	v_subrev_u32_e32 v4, 28, v1
	v_sub_u32_e32 v1, 29, v1
	v_cndmask_b32_e32 v4, 0, v4, vcc
	v_cndmask_b32_e32 v1, v5, v1, vcc
	v_lshlrev_b64 v[4:5], v4, v[2:3]
	v_lshlrev_b32_e32 v5, 24, v2
	v_lshlrev_b32_e32 v4, 20, v4
	v_bfrev_b32_e32 v28, 60
	v_and_b32_e32 v4, 0x700000, v4
	v_and_b32_e32 v5, 0x80000000, v5
	v_lshl_add_u32 v1, v1, 23, v28
	v_or3_b32 v1, v5, v1, v4
.LBB6_1245:                             ;   in Loop: Header=BB6_354 Depth=4
	s_or_b64 exec, exec, s[50:51]
.LBB6_1246:                             ;   in Loop: Header=BB6_354 Depth=4
	s_or_b64 exec, exec, s[48:49]
.LBB6_1247:                             ;   in Loop: Header=BB6_354 Depth=4
	s_or_b64 exec, exec, s[38:39]
	v_max_f32_e32 v1, v1, v1
	v_max_f32_e32 v0, v0, v0
	v_max_f32_e32 v0, v0, v1
	s_mov_b64 s[38:39], 0
.LBB6_1248:                             ;   in Loop: Header=BB6_354 Depth=4
	s_and_b64 vcc, exec, s[38:39]
	s_cbranch_vccz .LBB6_1262
; %bb.1249:                             ;   in Loop: Header=BB6_354 Depth=4
	v_mov_b32_e32 v1, 0
	v_mov_b32_e32 v0, 0
	s_and_saveexec_b64 s[38:39], s[40:41]
	s_cbranch_execz .LBB6_1255
; %bb.1250:                             ;   in Loop: Header=BB6_354 Depth=4
	v_cmp_ne_u16_sdwa vcc, v33, s82 src0_sel:BYTE_0 src1_sel:DWORD
	v_bfrev_b32_e32 v0, 1
	s_and_saveexec_b64 s[40:41], vcc
	s_cbranch_execz .LBB6_1254
; %bb.1251:                             ;   in Loop: Header=BB6_354 Depth=4
	v_and_b32_e32 v4, 0x7f, v33
	v_cmp_ne_u32_e32 vcc, s83, v4
	v_mov_b32_e32 v0, 0x7f800001
	s_and_saveexec_b64 s[48:49], vcc
	s_cbranch_execz .LBB6_1253
; %bb.1252:                             ;   in Loop: Header=BB6_354 Depth=4
	v_and_b32_e32 v0, 7, v33
	v_ffbh_u32_e32 v0, v0
	v_min_u32_e32 v0, 32, v0
	v_lshrrev_b32_e32 v5, 3, v4
	v_cmp_gt_u32_e32 vcc, 8, v4
	v_subrev_u32_e32 v4, 28, v0
	v_sub_u32_e32 v0, 29, v0
	v_cndmask_b32_e32 v4, 0, v4, vcc
	v_cndmask_b32_e32 v0, v5, v0, vcc
	v_lshlrev_b64 v[4:5], v4, v[52:53]
	v_lshlrev_b32_e32 v5, 24, v52
	v_lshlrev_b32_e32 v4, 20, v4
	v_bfrev_b32_e32 v28, 60
	v_and_b32_e32 v4, 0x700000, v4
	v_and_b32_e32 v5, 0x80000000, v5
	v_lshl_add_u32 v0, v0, 23, v28
	v_or3_b32 v0, v5, v0, v4
.LBB6_1253:                             ;   in Loop: Header=BB6_354 Depth=4
	s_or_b64 exec, exec, s[48:49]
.LBB6_1254:                             ;   in Loop: Header=BB6_354 Depth=4
	s_or_b64 exec, exec, s[40:41]
.LBB6_1255:                             ;   in Loop: Header=BB6_354 Depth=4
	s_or_b64 exec, exec, s[38:39]
	v_cmp_ne_u16_sdwa vcc, v25, v53 src0_sel:BYTE_0 src1_sel:DWORD
	s_and_saveexec_b64 s[40:41], vcc
	s_cbranch_execz .LBB6_1261
; %bb.1256:                             ;   in Loop: Header=BB6_354 Depth=4
	v_cmp_ne_u16_sdwa vcc, v25, s82 src0_sel:BYTE_0 src1_sel:DWORD
	v_bfrev_b32_e32 v1, 1
	s_and_saveexec_b64 s[38:39], vcc
	s_cbranch_execz .LBB6_1260
; %bb.1257:                             ;   in Loop: Header=BB6_354 Depth=4
	v_and_b32_e32 v4, 0x7f, v25
	v_cmp_ne_u32_e32 vcc, s83, v4
	v_mov_b32_e32 v1, 0x7f800001
	s_and_saveexec_b64 s[48:49], vcc
	s_cbranch_execz .LBB6_1259
; %bb.1258:                             ;   in Loop: Header=BB6_354 Depth=4
	v_and_b32_e32 v1, 7, v25
	v_ffbh_u32_e32 v1, v1
	v_min_u32_e32 v1, 32, v1
	v_lshrrev_b32_e32 v5, 3, v4
	v_cmp_gt_u32_e32 vcc, 8, v4
	v_subrev_u32_e32 v4, 28, v1
	v_cndmask_b32_e32 v4, 0, v4, vcc
	v_lshlrev_b64 v[3:4], v4, v[2:3]
	v_sub_u32_e32 v1, 29, v1
	v_cndmask_b32_e32 v1, v5, v1, vcc
	v_lshlrev_b32_e32 v3, 20, v3
	v_lshlrev_b32_e32 v4, 24, v2
	v_bfrev_b32_e32 v5, 60
	v_and_b32_e32 v3, 0x700000, v3
	v_and_b32_e32 v4, 0x80000000, v4
	v_lshl_add_u32 v1, v1, 23, v5
	v_or3_b32 v1, v4, v1, v3
.LBB6_1259:                             ;   in Loop: Header=BB6_354 Depth=4
	s_or_b64 exec, exec, s[48:49]
.LBB6_1260:                             ;   in Loop: Header=BB6_354 Depth=4
	s_or_b64 exec, exec, s[38:39]
.LBB6_1261:                             ;   in Loop: Header=BB6_354 Depth=4
	s_or_b64 exec, exec, s[40:41]
	v_max_f32_e32 v1, v1, v1
	v_max_f32_e32 v0, v0, v0
	v_min_f32_e32 v0, v0, v1
.LBB6_1262:                             ;   in Loop: Header=BB6_354 Depth=4
	v_and_b32_e32 v3, 0x7f800000, v0
	v_mov_b32_e32 v4, v53
	v_cmp_ne_u64_e32 vcc, s[76:77], v[3:4]
                                        ; implicit-def: $vgpr47
	s_and_saveexec_b64 s[40:41], vcc
	s_xor_b64 s[38:39], exec, s[40:41]
	s_cbranch_execz .LBB6_1276
; %bb.1263:                             ;   in Loop: Header=BB6_354 Depth=4
	v_and_b32_e32 v3, 0x7fffffff, v0
	v_mov_b32_e32 v4, v53
	v_cmp_gt_u64_e32 vcc, s[78:79], v[3:4]
	v_and_b32_sdwa v3, v0, s82 dst_sel:DWORD dst_unused:UNUSED_PAD src0_sel:BYTE_3 src1_sel:DWORD
                                        ; implicit-def: $vgpr47
	s_and_saveexec_b64 s[40:41], vcc
	s_xor_b64 s[48:49], exec, s[40:41]
	s_cbranch_execz .LBB6_1273
; %bb.1264:                             ;   in Loop: Header=BB6_354 Depth=4
	v_mov_b32_e32 v47, 0
	v_cmp_ne_u32_e32 vcc, 0, v0
	s_and_saveexec_b64 s[50:51], vcc
	s_cbranch_execz .LBB6_1272
; %bb.1265:                             ;   in Loop: Header=BB6_354 Depth=4
	v_bfe_u32 v4, v0, 23, 8
	v_and_b32_e32 v1, 0x7fffff, v0
	v_cmp_gt_u32_e64 s[40:41], s85, v4
	v_sub_u32_e32 v0, 0x79, v4
	v_cmp_eq_u32_e32 vcc, 0, v4
	v_cndmask_b32_e64 v0, 0, v0, s[40:41]
	v_mov_b32_e32 v5, 0x78
	v_or_b32_e32 v28, 0x800000, v1
	v_cndmask_b32_e32 v5, v0, v5, vcc
	v_cndmask_b32_e32 v0, v28, v1, vcc
	v_add_u32_e32 v28, 20, v5
	v_lshlrev_b64 v[28:29], v28, -1
	v_mov_b32_e32 v1, v53
	v_add_u32_e32 v36, 19, v5
	v_bfi_b32 v28, v28, 0, v0
	v_lshlrev_b64 v[36:37], v36, 1
	v_lshrrev_b64 v[0:1], v5, v[0:1]
	v_bfi_b32 v29, v29, 0, 0
	v_cmp_eq_u64_e64 s[40:41], v[28:29], v[36:37]
	v_mov_b32_e32 v29, v1
	v_mov_b32_e32 v28, v0
	s_and_saveexec_b64 s[52:53], s[40:41]
; %bb.1266:                             ;   in Loop: Header=BB6_354 Depth=4
	v_bfe_u32 v1, v0, 20, 1
	v_add_co_u32_e64 v1, s[40:41], v0, v1
	v_add_co_u32_e64 v28, s[40:41], -1, v1
; %bb.1267:                             ;   in Loop: Header=BB6_354 Depth=4
	s_or_b64 exec, exec, s[52:53]
	v_add_u32_e32 v1, 0xffffff81, v4
	v_mov_b32_e32 v4, 0xffffff82
	v_cndmask_b32_e32 v1, v1, v4, vcc
	v_lshrrev_b32_e32 v4, 23, v0
	v_add3_u32 v29, v5, v1, v4
	v_add_u32_e32 v5, 6, v29
	v_and_b32_e32 v1, 0xfffff, v28
	v_add_u32_e32 v0, v1, v0
	v_mov_b32_e32 v1, v53
	v_cmp_ne_u32_e32 vcc, 0, v5
                                        ; implicit-def: $vgpr4
	s_and_saveexec_b64 s[40:41], vcc
	s_xor_b64 s[40:41], exec, s[40:41]
; %bb.1268:                             ;   in Loop: Header=BB6_354 Depth=4
	v_cmp_lt_u64_e32 vcc, s[88:89], v[0:1]
	v_add_u32_e32 v4, 7, v29
	v_cndmask_b32_e32 v4, v5, v4, vcc
	v_cndmask_b32_e64 v5, 0, 1, vcc
	v_lshrrev_b64 v[0:1], v5, v[0:1]
; %bb.1269:                             ;   in Loop: Header=BB6_354 Depth=4
	s_andn2_saveexec_b64 s[40:41], s[40:41]
; %bb.1270:                             ;   in Loop: Header=BB6_354 Depth=4
	v_bfe_u32 v4, v0, 23, 1
; %bb.1271:                             ;   in Loop: Header=BB6_354 Depth=4
	s_or_b64 exec, exec, s[40:41]
	v_lshrrev_b64 v[0:1], 20, v[0:1]
	v_cmp_gt_i32_e32 vcc, 16, v4
	v_cndmask_b32_e32 v1, 0, v1, vcc
	v_cndmask_b32_e32 v0, 7, v0, vcc
	v_cmp_eq_u64_e64 s[40:41], 0, v[0:1]
	v_min_i32_e32 v1, 15, v4
	v_lshlrev_b32_e32 v1, 3, v1
	v_cmp_eq_u32_e32 vcc, 0, v4
	v_and_b32_e32 v1, 0xf8, v1
	v_and_or_b32 v0, v0, 7, v1
	s_and_b64 s[40:41], vcc, s[40:41]
	v_cndmask_b32_e64 v0, v0, 0, s[40:41]
	v_or_b32_e32 v47, v0, v3
.LBB6_1272:                             ;   in Loop: Header=BB6_354 Depth=4
	s_or_b64 exec, exec, s[50:51]
                                        ; implicit-def: $vgpr3
.LBB6_1273:                             ;   in Loop: Header=BB6_354 Depth=4
	s_andn2_saveexec_b64 s[40:41], s[48:49]
; %bb.1274:                             ;   in Loop: Header=BB6_354 Depth=4
	v_or_b32_e32 v47, 0x7e, v3
; %bb.1275:                             ;   in Loop: Header=BB6_354 Depth=4
	s_or_b64 exec, exec, s[40:41]
                                        ; implicit-def: $vgpr0
.LBB6_1276:                             ;   in Loop: Header=BB6_354 Depth=4
	s_andn2_saveexec_b64 s[40:41], s[38:39]
; %bb.1277:                             ;   in Loop: Header=BB6_354 Depth=4
	v_or_b32_sdwa v47, v0, s83 dst_sel:DWORD dst_unused:UNUSED_PAD src0_sel:BYTE_3 src1_sel:DWORD
; %bb.1278:                             ;   in Loop: Header=BB6_354 Depth=4
	s_or_b64 exec, exec, s[40:41]
	v_lshrrev_b16_e32 v5, 8, v52
	v_lshrrev_b16_e32 v3, 8, v2
	v_cmp_ne_u16_e64 s[40:41], 0, v5
	s_and_b64 vcc, exec, s[28:29]
	s_mov_b64 s[38:39], -1
                                        ; implicit-def: $vgpr0
	s_cbranch_vccnz .LBB6_1292
; %bb.1279:                             ;   in Loop: Header=BB6_354 Depth=4
	v_mov_b32_e32 v1, 0
	v_mov_b32_e32 v0, 0
	s_and_saveexec_b64 s[38:39], s[40:41]
	s_cbranch_execz .LBB6_1285
; %bb.1280:                             ;   in Loop: Header=BB6_354 Depth=4
	v_cmp_ne_u16_e32 vcc, s82, v5
	v_bfrev_b32_e32 v0, 1
	s_and_saveexec_b64 s[48:49], vcc
	s_cbranch_execz .LBB6_1284
; %bb.1281:                             ;   in Loop: Header=BB6_354 Depth=4
	v_and_b32_e32 v4, 0x7f, v5
	v_cmp_ne_u32_e32 vcc, s83, v4
	v_mov_b32_e32 v0, 0x7f800001
	s_and_saveexec_b64 s[50:51], vcc
	s_cbranch_execz .LBB6_1283
; %bb.1282:                             ;   in Loop: Header=BB6_354 Depth=4
	v_and_b32_e32 v0, 7, v5
	v_lshrrev_b32_e32 v28, 3, v4
	v_cmp_gt_u32_e32 vcc, 8, v4
	v_ffbh_u32_e32 v4, v0
	v_min_u32_e32 v4, 32, v4
	v_subrev_u32_e32 v29, 28, v4
	v_lshlrev_b64 v[36:37], v29, v[5:6]
	v_sub_u32_e32 v4, 29, v4
	v_and_b32_e32 v29, 7, v36
	v_cndmask_b32_e32 v4, v28, v4, vcc
	v_cndmask_b32_e32 v0, v0, v29, vcc
	v_lshlrev_b32_e32 v28, 16, v52
	v_bfrev_b32_e32 v29, 60
	v_lshlrev_b32_e32 v0, 20, v0
	v_and_b32_e32 v28, 0x80000000, v28
	v_lshl_add_u32 v4, v4, 23, v29
	v_or3_b32 v0, v28, v4, v0
.LBB6_1283:                             ;   in Loop: Header=BB6_354 Depth=4
	s_or_b64 exec, exec, s[50:51]
.LBB6_1284:                             ;   in Loop: Header=BB6_354 Depth=4
	s_or_b64 exec, exec, s[48:49]
.LBB6_1285:                             ;   in Loop: Header=BB6_354 Depth=4
	s_or_b64 exec, exec, s[38:39]
	v_cmp_ne_u16_e32 vcc, 0, v3
	s_and_saveexec_b64 s[38:39], vcc
	s_cbranch_execz .LBB6_1291
; %bb.1286:                             ;   in Loop: Header=BB6_354 Depth=4
	v_cmp_ne_u16_e32 vcc, s82, v3
	v_bfrev_b32_e32 v1, 1
	s_and_saveexec_b64 s[48:49], vcc
	s_cbranch_execz .LBB6_1290
; %bb.1287:                             ;   in Loop: Header=BB6_354 Depth=4
	v_and_b32_e32 v4, 0x7f, v3
	v_cmp_ne_u32_e32 vcc, s83, v4
	v_mov_b32_e32 v1, 0x7f800001
	s_and_saveexec_b64 s[50:51], vcc
	s_cbranch_execz .LBB6_1289
; %bb.1288:                             ;   in Loop: Header=BB6_354 Depth=4
	v_and_b32_e32 v1, 7, v3
	v_lshrrev_b32_e32 v28, 3, v4
	v_cmp_gt_u32_e32 vcc, 8, v4
	v_ffbh_u32_e32 v4, v1
	v_min_u32_e32 v4, 32, v4
	v_subrev_u32_e32 v29, 28, v4
	v_lshlrev_b64 v[36:37], v29, v[3:4]
	v_sub_u32_e32 v4, 29, v4
	v_and_b32_e32 v29, 7, v36
	v_cndmask_b32_e32 v4, v28, v4, vcc
	v_cndmask_b32_e32 v1, v1, v29, vcc
	v_lshlrev_b32_e32 v28, 16, v2
	v_bfrev_b32_e32 v29, 60
	v_lshlrev_b32_e32 v1, 20, v1
	v_and_b32_e32 v28, 0x80000000, v28
	v_lshl_add_u32 v4, v4, 23, v29
	v_or3_b32 v1, v28, v4, v1
.LBB6_1289:                             ;   in Loop: Header=BB6_354 Depth=4
	s_or_b64 exec, exec, s[50:51]
.LBB6_1290:                             ;   in Loop: Header=BB6_354 Depth=4
	s_or_b64 exec, exec, s[48:49]
.LBB6_1291:                             ;   in Loop: Header=BB6_354 Depth=4
	s_or_b64 exec, exec, s[38:39]
	v_max_f32_e32 v1, v1, v1
	v_max_f32_e32 v0, v0, v0
	;; [unrolled: 1-line block ×3, first 2 shown]
	s_mov_b64 s[38:39], 0
.LBB6_1292:                             ;   in Loop: Header=BB6_354 Depth=4
	s_and_b64 vcc, exec, s[38:39]
	s_cbranch_vccz .LBB6_1306
; %bb.1293:                             ;   in Loop: Header=BB6_354 Depth=4
	v_mov_b32_e32 v1, 0
	v_mov_b32_e32 v0, 0
	s_and_saveexec_b64 s[38:39], s[40:41]
	s_cbranch_execz .LBB6_1299
; %bb.1294:                             ;   in Loop: Header=BB6_354 Depth=4
	v_cmp_ne_u16_e32 vcc, s82, v5
	v_bfrev_b32_e32 v0, 1
	s_and_saveexec_b64 s[40:41], vcc
	s_cbranch_execz .LBB6_1298
; %bb.1295:                             ;   in Loop: Header=BB6_354 Depth=4
	v_and_b32_e32 v4, 0x7f, v5
	v_cmp_ne_u32_e32 vcc, s83, v4
	v_mov_b32_e32 v0, 0x7f800001
	s_and_saveexec_b64 s[48:49], vcc
	s_cbranch_execz .LBB6_1297
; %bb.1296:                             ;   in Loop: Header=BB6_354 Depth=4
	v_and_b32_e32 v0, 7, v5
	v_lshrrev_b32_e32 v28, 3, v4
	v_cmp_gt_u32_e32 vcc, 8, v4
	v_ffbh_u32_e32 v4, v0
	v_min_u32_e32 v29, 32, v4
	v_subrev_u32_e32 v4, 28, v29
	v_lshlrev_b64 v[4:5], v4, v[5:6]
	v_sub_u32_e32 v5, 29, v29
	v_and_b32_e32 v4, 7, v4
	v_cndmask_b32_e32 v5, v28, v5, vcc
	v_cndmask_b32_e32 v0, v0, v4, vcc
	v_lshlrev_b32_e32 v4, 16, v52
	v_bfrev_b32_e32 v28, 60
	v_lshlrev_b32_e32 v0, 20, v0
	v_and_b32_e32 v4, 0x80000000, v4
	v_lshl_add_u32 v5, v5, 23, v28
	v_or3_b32 v0, v4, v5, v0
.LBB6_1297:                             ;   in Loop: Header=BB6_354 Depth=4
	s_or_b64 exec, exec, s[48:49]
.LBB6_1298:                             ;   in Loop: Header=BB6_354 Depth=4
	s_or_b64 exec, exec, s[40:41]
.LBB6_1299:                             ;   in Loop: Header=BB6_354 Depth=4
	s_or_b64 exec, exec, s[38:39]
	v_cmp_ne_u16_e32 vcc, 0, v3
	s_and_saveexec_b64 s[40:41], vcc
	s_cbranch_execz .LBB6_1305
; %bb.1300:                             ;   in Loop: Header=BB6_354 Depth=4
	v_cmp_ne_u16_e32 vcc, s82, v3
	v_bfrev_b32_e32 v1, 1
	s_and_saveexec_b64 s[38:39], vcc
	s_cbranch_execz .LBB6_1304
; %bb.1301:                             ;   in Loop: Header=BB6_354 Depth=4
	v_and_b32_e32 v4, 0x7f, v3
	v_cmp_ne_u32_e32 vcc, s83, v4
	v_mov_b32_e32 v1, 0x7f800001
	s_and_saveexec_b64 s[48:49], vcc
	s_cbranch_execz .LBB6_1303
; %bb.1302:                             ;   in Loop: Header=BB6_354 Depth=4
	v_and_b32_e32 v1, 7, v3
	v_lshrrev_b32_e32 v5, 3, v4
	v_cmp_gt_u32_e32 vcc, 8, v4
	v_ffbh_u32_e32 v4, v1
	v_min_u32_e32 v28, 32, v4
	v_subrev_u32_e32 v4, 28, v28
	v_lshlrev_b64 v[3:4], v4, v[3:4]
	v_sub_u32_e32 v4, 29, v28
	v_and_b32_e32 v3, 7, v3
	v_cndmask_b32_e32 v4, v5, v4, vcc
	v_cndmask_b32_e32 v1, v1, v3, vcc
	v_lshlrev_b32_e32 v2, 16, v2
	v_bfrev_b32_e32 v3, 60
	v_lshlrev_b32_e32 v1, 20, v1
	v_and_b32_e32 v2, 0x80000000, v2
	v_lshl_add_u32 v3, v4, 23, v3
	v_or3_b32 v1, v2, v3, v1
.LBB6_1303:                             ;   in Loop: Header=BB6_354 Depth=4
	s_or_b64 exec, exec, s[48:49]
.LBB6_1304:                             ;   in Loop: Header=BB6_354 Depth=4
	s_or_b64 exec, exec, s[38:39]
.LBB6_1305:                             ;   in Loop: Header=BB6_354 Depth=4
	s_or_b64 exec, exec, s[40:41]
	v_max_f32_e32 v1, v1, v1
	v_max_f32_e32 v0, v0, v0
	v_min_f32_e32 v0, v0, v1
.LBB6_1306:                             ;   in Loop: Header=BB6_354 Depth=4
	v_and_b32_e32 v52, 0x7f800000, v0
	v_cmp_ne_u64_e32 vcc, s[76:77], v[52:53]
                                        ; implicit-def: $vgpr36
	s_and_saveexec_b64 s[40:41], vcc
	s_xor_b64 s[38:39], exec, s[40:41]
	s_cbranch_execz .LBB6_1320
; %bb.1307:                             ;   in Loop: Header=BB6_354 Depth=4
	v_and_b32_e32 v52, 0x7fffffff, v0
	v_cmp_gt_u64_e32 vcc, s[78:79], v[52:53]
	v_and_b32_sdwa v3, v0, s82 dst_sel:DWORD dst_unused:UNUSED_PAD src0_sel:BYTE_3 src1_sel:DWORD
                                        ; implicit-def: $vgpr36
	s_and_saveexec_b64 s[40:41], vcc
	s_xor_b64 s[48:49], exec, s[40:41]
	s_cbranch_execz .LBB6_1317
; %bb.1308:                             ;   in Loop: Header=BB6_354 Depth=4
	v_mov_b32_e32 v36, 0
	v_cmp_ne_u32_e32 vcc, 0, v0
	s_and_saveexec_b64 s[50:51], vcc
	s_cbranch_execz .LBB6_1316
; %bb.1309:                             ;   in Loop: Header=BB6_354 Depth=4
	v_bfe_u32 v4, v0, 23, 8
	v_and_b32_e32 v1, 0x7fffff, v0
	v_cmp_gt_u32_e64 s[40:41], s85, v4
	v_sub_u32_e32 v0, 0x79, v4
	v_cmp_eq_u32_e32 vcc, 0, v4
	v_cndmask_b32_e64 v0, 0, v0, s[40:41]
	v_mov_b32_e32 v5, 0x78
	v_cndmask_b32_e32 v5, v0, v5, vcc
	v_or_b32_e32 v2, 0x800000, v1
	v_add_u32_e32 v0, 20, v5
	v_cndmask_b32_e32 v52, v2, v1, vcc
	v_lshlrev_b64 v[0:1], v0, -1
	v_add_u32_e32 v2, 19, v5
	v_lshlrev_b64 v[36:37], v2, 1
	v_bfi_b32 v1, v1, 0, 0
	v_bfi_b32 v0, v0, 0, v52
	v_cmp_eq_u64_e64 s[40:41], v[0:1], v[36:37]
	v_lshrrev_b64 v[0:1], v5, v[52:53]
	v_mov_b32_e32 v2, v1
	v_mov_b32_e32 v1, v0
	s_and_saveexec_b64 s[52:53], s[40:41]
; %bb.1310:                             ;   in Loop: Header=BB6_354 Depth=4
	v_bfe_u32 v1, v0, 20, 1
	v_add_co_u32_e64 v1, s[40:41], v0, v1
	v_add_co_u32_e64 v1, s[40:41], -1, v1
; %bb.1311:                             ;   in Loop: Header=BB6_354 Depth=4
	s_or_b64 exec, exec, s[52:53]
	v_add_u32_e32 v2, 0xffffff81, v4
	v_mov_b32_e32 v4, 0xffffff82
	v_cndmask_b32_e32 v2, v2, v4, vcc
	v_lshrrev_b32_e32 v4, 23, v0
	v_add3_u32 v5, v5, v2, v4
	v_add_u32_e32 v4, 6, v5
	v_and_b32_e32 v1, 0xfffff, v1
	v_add_u32_e32 v52, v1, v0
	v_cmp_ne_u32_e32 vcc, 0, v4
                                        ; implicit-def: $vgpr0_vgpr1
                                        ; implicit-def: $vgpr2
	s_and_saveexec_b64 s[40:41], vcc
	s_xor_b64 s[40:41], exec, s[40:41]
; %bb.1312:                             ;   in Loop: Header=BB6_354 Depth=4
	v_cmp_lt_u64_e32 vcc, s[88:89], v[52:53]
	v_add_u32_e32 v0, 7, v5
	v_cndmask_b32_e32 v2, v4, v0, vcc
	v_cndmask_b32_e64 v0, 0, 1, vcc
	v_lshrrev_b64 v[0:1], v0, v[52:53]
; %bb.1313:                             ;   in Loop: Header=BB6_354 Depth=4
	s_andn2_saveexec_b64 s[40:41], s[40:41]
; %bb.1314:                             ;   in Loop: Header=BB6_354 Depth=4
	v_mov_b32_e32 v0, v52
	v_bfe_u32 v2, v52, 23, 1
	v_mov_b32_e32 v1, v53
; %bb.1315:                             ;   in Loop: Header=BB6_354 Depth=4
	s_or_b64 exec, exec, s[40:41]
	v_lshrrev_b64 v[0:1], 20, v[0:1]
	v_cmp_gt_i32_e32 vcc, 16, v2
	v_cndmask_b32_e32 v1, 0, v1, vcc
	v_cndmask_b32_e32 v0, 7, v0, vcc
	v_cmp_eq_u64_e64 s[40:41], 0, v[0:1]
	v_min_i32_e32 v1, 15, v2
	v_lshlrev_b32_e32 v1, 3, v1
	v_cmp_eq_u32_e32 vcc, 0, v2
	v_and_b32_e32 v1, 0xf8, v1
	v_and_or_b32 v0, v0, 7, v1
	s_and_b64 s[40:41], vcc, s[40:41]
	v_cndmask_b32_e64 v0, v0, 0, s[40:41]
	v_or_b32_e32 v36, v0, v3
.LBB6_1316:                             ;   in Loop: Header=BB6_354 Depth=4
	s_or_b64 exec, exec, s[50:51]
                                        ; implicit-def: $vgpr3
.LBB6_1317:                             ;   in Loop: Header=BB6_354 Depth=4
	s_andn2_saveexec_b64 s[40:41], s[48:49]
; %bb.1318:                             ;   in Loop: Header=BB6_354 Depth=4
	v_or_b32_e32 v36, 0x7e, v3
; %bb.1319:                             ;   in Loop: Header=BB6_354 Depth=4
	s_or_b64 exec, exec, s[40:41]
                                        ; implicit-def: $vgpr0
.LBB6_1320:                             ;   in Loop: Header=BB6_354 Depth=4
	s_andn2_saveexec_b64 s[40:41], s[38:39]
; %bb.1321:                             ;   in Loop: Header=BB6_354 Depth=4
	v_or_b32_sdwa v36, v0, s83 dst_sel:DWORD dst_unused:UNUSED_PAD src0_sel:BYTE_3 src1_sel:DWORD
; %bb.1322:                             ;   in Loop: Header=BB6_354 Depth=4
	s_or_b64 exec, exec, s[40:41]
	v_lshrrev_b32_e32 v2, 16, v33
	v_lshrrev_b32_e32 v0, 16, v25
	v_cmp_ne_u16_sdwa s[40:41], v2, v53 src0_sel:BYTE_0 src1_sel:DWORD
	s_and_b64 vcc, exec, s[28:29]
	s_mov_b64 s[38:39], -1
                                        ; implicit-def: $vgpr1
	s_cbranch_vccnz .LBB6_1336
; %bb.1323:                             ;   in Loop: Header=BB6_354 Depth=4
	v_mov_b32_e32 v3, 0
	v_mov_b32_e32 v1, 0
	s_and_saveexec_b64 s[38:39], s[40:41]
	s_cbranch_execz .LBB6_1329
; %bb.1324:                             ;   in Loop: Header=BB6_354 Depth=4
	v_cmp_ne_u16_sdwa vcc, v2, s82 src0_sel:BYTE_0 src1_sel:DWORD
	v_bfrev_b32_e32 v1, 1
	s_and_saveexec_b64 s[48:49], vcc
	s_cbranch_execz .LBB6_1328
; %bb.1325:                             ;   in Loop: Header=BB6_354 Depth=4
	v_bfe_u32 v4, v33, 16, 7
	v_cmp_ne_u32_e32 vcc, s83, v4
	v_mov_b32_e32 v1, 0x7f800001
	s_and_saveexec_b64 s[50:51], vcc
	s_cbranch_execz .LBB6_1327
; %bb.1326:                             ;   in Loop: Header=BB6_354 Depth=4
	v_and_b32_e32 v1, 7, v2
	v_lshrrev_b32_e32 v28, 3, v4
	v_cmp_gt_u32_e32 vcc, 8, v4
	v_ffbh_u32_e32 v4, v1
	v_min_u32_e32 v29, 32, v4
	v_subrev_u32_e32 v4, 28, v29
	v_lshlrev_b64 v[4:5], v4, v[2:3]
	v_sub_u32_e32 v5, 29, v29
	v_and_b32_e32 v4, 7, v4
	v_cndmask_b32_e32 v5, v28, v5, vcc
	v_cndmask_b32_e32 v1, v1, v4, vcc
	v_lshlrev_b32_e32 v4, 24, v2
	v_bfrev_b32_e32 v28, 60
	v_lshlrev_b32_e32 v1, 20, v1
	v_and_b32_e32 v4, 0x80000000, v4
	v_lshl_add_u32 v5, v5, 23, v28
	v_or3_b32 v1, v4, v5, v1
.LBB6_1327:                             ;   in Loop: Header=BB6_354 Depth=4
	s_or_b64 exec, exec, s[50:51]
.LBB6_1328:                             ;   in Loop: Header=BB6_354 Depth=4
	s_or_b64 exec, exec, s[48:49]
.LBB6_1329:                             ;   in Loop: Header=BB6_354 Depth=4
	s_or_b64 exec, exec, s[38:39]
	v_cmp_ne_u16_sdwa vcc, v0, v53 src0_sel:BYTE_0 src1_sel:DWORD
	s_and_saveexec_b64 s[38:39], vcc
	s_cbranch_execz .LBB6_1335
; %bb.1330:                             ;   in Loop: Header=BB6_354 Depth=4
	v_cmp_ne_u16_sdwa vcc, v0, s82 src0_sel:BYTE_0 src1_sel:DWORD
	v_bfrev_b32_e32 v3, 1
	s_and_saveexec_b64 s[48:49], vcc
	s_cbranch_execz .LBB6_1334
; %bb.1331:                             ;   in Loop: Header=BB6_354 Depth=4
	v_bfe_u32 v4, v25, 16, 7
	v_cmp_ne_u32_e32 vcc, s83, v4
	v_mov_b32_e32 v3, 0x7f800001
	s_and_saveexec_b64 s[50:51], vcc
	s_cbranch_execz .LBB6_1333
; %bb.1332:                             ;   in Loop: Header=BB6_354 Depth=4
	v_and_b32_e32 v5, 7, v0
	v_ffbh_u32_e32 v3, v5
	v_min_u32_e32 v29, 32, v3
	v_subrev_u32_e32 v3, 28, v29
	v_lshrrev_b32_e32 v28, 3, v4
	v_cmp_gt_u32_e32 vcc, 8, v4
	v_lshlrev_b64 v[3:4], v3, v[0:1]
	v_sub_u32_e32 v4, 29, v29
	v_and_b32_e32 v3, 7, v3
	v_cndmask_b32_e32 v4, v28, v4, vcc
	v_cndmask_b32_e32 v3, v5, v3, vcc
	v_lshlrev_b32_e32 v5, 24, v0
	v_bfrev_b32_e32 v28, 60
	v_lshlrev_b32_e32 v3, 20, v3
	v_and_b32_e32 v5, 0x80000000, v5
	v_lshl_add_u32 v4, v4, 23, v28
	v_or3_b32 v3, v5, v4, v3
.LBB6_1333:                             ;   in Loop: Header=BB6_354 Depth=4
	s_or_b64 exec, exec, s[50:51]
.LBB6_1334:                             ;   in Loop: Header=BB6_354 Depth=4
	s_or_b64 exec, exec, s[48:49]
.LBB6_1335:                             ;   in Loop: Header=BB6_354 Depth=4
	s_or_b64 exec, exec, s[38:39]
	v_max_f32_e32 v3, v3, v3
	v_max_f32_e32 v1, v1, v1
	;; [unrolled: 1-line block ×3, first 2 shown]
	s_mov_b64 s[38:39], 0
.LBB6_1336:                             ;   in Loop: Header=BB6_354 Depth=4
	s_and_b64 vcc, exec, s[38:39]
	s_cbranch_vccz .LBB6_1350
; %bb.1337:                             ;   in Loop: Header=BB6_354 Depth=4
	v_mov_b32_e32 v3, 0
	v_mov_b32_e32 v1, 0
	s_and_saveexec_b64 s[38:39], s[40:41]
	s_cbranch_execz .LBB6_1343
; %bb.1338:                             ;   in Loop: Header=BB6_354 Depth=4
	v_cmp_ne_u16_sdwa vcc, v2, s82 src0_sel:BYTE_0 src1_sel:DWORD
	v_bfrev_b32_e32 v1, 1
	s_and_saveexec_b64 s[40:41], vcc
	s_cbranch_execz .LBB6_1342
; %bb.1339:                             ;   in Loop: Header=BB6_354 Depth=4
	v_bfe_u32 v4, v33, 16, 7
	v_cmp_ne_u32_e32 vcc, s83, v4
	v_mov_b32_e32 v1, 0x7f800001
	s_and_saveexec_b64 s[48:49], vcc
	s_cbranch_execz .LBB6_1341
; %bb.1340:                             ;   in Loop: Header=BB6_354 Depth=4
	v_and_b32_e32 v1, 7, v2
	v_lshrrev_b32_e32 v28, 3, v4
	v_cmp_gt_u32_e32 vcc, 8, v4
	v_ffbh_u32_e32 v4, v1
	v_min_u32_e32 v29, 32, v4
	v_subrev_u32_e32 v4, 28, v29
	v_lshlrev_b64 v[4:5], v4, v[2:3]
	v_sub_u32_e32 v5, 29, v29
	v_and_b32_e32 v4, 7, v4
	v_cndmask_b32_e32 v5, v28, v5, vcc
	v_cndmask_b32_e32 v1, v1, v4, vcc
	v_lshlrev_b32_e32 v2, 24, v2
	v_bfrev_b32_e32 v4, 60
	v_lshlrev_b32_e32 v1, 20, v1
	v_and_b32_e32 v2, 0x80000000, v2
	v_lshl_add_u32 v4, v5, 23, v4
	v_or3_b32 v1, v2, v4, v1
.LBB6_1341:                             ;   in Loop: Header=BB6_354 Depth=4
	s_or_b64 exec, exec, s[48:49]
.LBB6_1342:                             ;   in Loop: Header=BB6_354 Depth=4
	s_or_b64 exec, exec, s[40:41]
.LBB6_1343:                             ;   in Loop: Header=BB6_354 Depth=4
	s_or_b64 exec, exec, s[38:39]
	v_cmp_ne_u16_sdwa vcc, v0, v53 src0_sel:BYTE_0 src1_sel:DWORD
	s_and_saveexec_b64 s[40:41], vcc
	s_cbranch_execz .LBB6_1349
; %bb.1344:                             ;   in Loop: Header=BB6_354 Depth=4
	v_cmp_ne_u16_sdwa vcc, v0, s82 src0_sel:BYTE_0 src1_sel:DWORD
	v_bfrev_b32_e32 v3, 1
	s_and_saveexec_b64 s[38:39], vcc
	s_cbranch_execz .LBB6_1348
; %bb.1345:                             ;   in Loop: Header=BB6_354 Depth=4
	v_bfe_u32 v2, v25, 16, 7
	v_cmp_ne_u32_e32 vcc, s83, v2
	v_mov_b32_e32 v3, 0x7f800001
	s_and_saveexec_b64 s[48:49], vcc
	s_cbranch_execz .LBB6_1347
; %bb.1346:                             ;   in Loop: Header=BB6_354 Depth=4
	v_and_b32_e32 v4, 7, v0
	v_lshrrev_b32_e32 v5, 3, v2
	v_cmp_gt_u32_e32 vcc, 8, v2
	v_ffbh_u32_e32 v2, v4
	v_min_u32_e32 v28, 32, v2
	v_subrev_u32_e32 v2, 28, v28
	v_lshlrev_b64 v[2:3], v2, v[0:1]
	v_sub_u32_e32 v3, 29, v28
	v_and_b32_e32 v2, 7, v2
	v_cndmask_b32_e32 v3, v5, v3, vcc
	v_cndmask_b32_e32 v2, v4, v2, vcc
	v_lshlrev_b32_e32 v0, 24, v0
	v_bfrev_b32_e32 v4, 60
	v_lshlrev_b32_e32 v2, 20, v2
	v_and_b32_e32 v0, 0x80000000, v0
	v_lshl_add_u32 v3, v3, 23, v4
	v_or3_b32 v3, v0, v3, v2
.LBB6_1347:                             ;   in Loop: Header=BB6_354 Depth=4
	s_or_b64 exec, exec, s[48:49]
.LBB6_1348:                             ;   in Loop: Header=BB6_354 Depth=4
	s_or_b64 exec, exec, s[38:39]
.LBB6_1349:                             ;   in Loop: Header=BB6_354 Depth=4
	s_or_b64 exec, exec, s[40:41]
	v_max_f32_e32 v0, v3, v3
	v_max_f32_e32 v1, v1, v1
	v_min_f32_e32 v1, v1, v0
.LBB6_1350:                             ;   in Loop: Header=BB6_354 Depth=4
	v_and_b32_e32 v52, 0x7f800000, v1
	v_cmp_ne_u64_e32 vcc, s[76:77], v[52:53]
	buffer_store_dword v36, off, s[0:3], s33 offset:168 ; 4-byte Folded Spill
                                        ; implicit-def: $vgpr36
	s_and_saveexec_b64 s[40:41], vcc
	s_xor_b64 s[38:39], exec, s[40:41]
	s_cbranch_execz .LBB6_1364
; %bb.1351:                             ;   in Loop: Header=BB6_354 Depth=4
	v_and_b32_e32 v52, 0x7fffffff, v1
	v_cmp_gt_u64_e32 vcc, s[78:79], v[52:53]
	v_and_b32_sdwa v3, v1, s82 dst_sel:DWORD dst_unused:UNUSED_PAD src0_sel:BYTE_3 src1_sel:DWORD
                                        ; implicit-def: $vgpr36
	s_and_saveexec_b64 s[40:41], vcc
	s_xor_b64 s[48:49], exec, s[40:41]
	s_cbranch_execz .LBB6_1361
; %bb.1352:                             ;   in Loop: Header=BB6_354 Depth=4
	v_mov_b32_e32 v36, 0
	v_cmp_ne_u32_e32 vcc, 0, v1
	s_and_saveexec_b64 s[50:51], vcc
	s_cbranch_execz .LBB6_1360
; %bb.1353:                             ;   in Loop: Header=BB6_354 Depth=4
	v_bfe_u32 v4, v1, 23, 8
	v_and_b32_e32 v0, 0x7fffff, v1
	v_cmp_gt_u32_e64 s[40:41], s85, v4
	v_sub_u32_e32 v1, 0x79, v4
	v_cmp_eq_u32_e32 vcc, 0, v4
	v_cndmask_b32_e64 v1, 0, v1, s[40:41]
	v_mov_b32_e32 v5, 0x78
	v_or_b32_e32 v2, 0x800000, v0
	v_cndmask_b32_e32 v5, v1, v5, vcc
	v_cndmask_b32_e32 v52, v2, v0, vcc
	v_add_u32_e32 v0, 20, v5
	v_lshlrev_b64 v[0:1], v0, -1
	v_add_u32_e32 v2, 19, v5
	v_lshlrev_b64 v[36:37], v2, 1
	v_bfi_b32 v1, v1, 0, 0
	v_bfi_b32 v0, v0, 0, v52
	v_cmp_eq_u64_e64 s[40:41], v[0:1], v[36:37]
	v_lshrrev_b64 v[0:1], v5, v[52:53]
	v_mov_b32_e32 v2, v1
	v_mov_b32_e32 v1, v0
	s_and_saveexec_b64 s[52:53], s[40:41]
; %bb.1354:                             ;   in Loop: Header=BB6_354 Depth=4
	v_bfe_u32 v1, v0, 20, 1
	v_add_co_u32_e64 v1, s[40:41], v0, v1
	v_add_co_u32_e64 v1, s[40:41], -1, v1
; %bb.1355:                             ;   in Loop: Header=BB6_354 Depth=4
	s_or_b64 exec, exec, s[52:53]
	v_add_u32_e32 v2, 0xffffff81, v4
	v_mov_b32_e32 v4, 0xffffff82
	v_cndmask_b32_e32 v2, v2, v4, vcc
	v_lshrrev_b32_e32 v4, 23, v0
	v_add3_u32 v5, v5, v2, v4
	v_add_u32_e32 v4, 6, v5
	v_and_b32_e32 v1, 0xfffff, v1
	v_add_u32_e32 v52, v1, v0
	v_cmp_ne_u32_e32 vcc, 0, v4
                                        ; implicit-def: $vgpr0_vgpr1
                                        ; implicit-def: $vgpr2
	s_and_saveexec_b64 s[40:41], vcc
	s_xor_b64 s[40:41], exec, s[40:41]
; %bb.1356:                             ;   in Loop: Header=BB6_354 Depth=4
	v_cmp_lt_u64_e32 vcc, s[88:89], v[52:53]
	v_add_u32_e32 v0, 7, v5
	v_cndmask_b32_e32 v2, v4, v0, vcc
	v_cndmask_b32_e64 v0, 0, 1, vcc
	v_lshrrev_b64 v[0:1], v0, v[52:53]
; %bb.1357:                             ;   in Loop: Header=BB6_354 Depth=4
	s_andn2_saveexec_b64 s[40:41], s[40:41]
; %bb.1358:                             ;   in Loop: Header=BB6_354 Depth=4
	v_mov_b32_e32 v0, v52
	v_bfe_u32 v2, v52, 23, 1
	v_mov_b32_e32 v1, v53
; %bb.1359:                             ;   in Loop: Header=BB6_354 Depth=4
	s_or_b64 exec, exec, s[40:41]
	v_lshrrev_b64 v[0:1], 20, v[0:1]
	v_cmp_gt_i32_e32 vcc, 16, v2
	v_cndmask_b32_e32 v1, 0, v1, vcc
	v_cndmask_b32_e32 v0, 7, v0, vcc
	v_cmp_eq_u64_e64 s[40:41], 0, v[0:1]
	v_min_i32_e32 v1, 15, v2
	v_lshlrev_b32_e32 v1, 3, v1
	v_cmp_eq_u32_e32 vcc, 0, v2
	v_and_b32_e32 v1, 0xf8, v1
	v_and_or_b32 v0, v0, 7, v1
	s_and_b64 s[40:41], vcc, s[40:41]
	v_cndmask_b32_e64 v0, v0, 0, s[40:41]
	v_or_b32_e32 v36, v0, v3
.LBB6_1360:                             ;   in Loop: Header=BB6_354 Depth=4
	s_or_b64 exec, exec, s[50:51]
                                        ; implicit-def: $vgpr3
.LBB6_1361:                             ;   in Loop: Header=BB6_354 Depth=4
	s_andn2_saveexec_b64 s[40:41], s[48:49]
; %bb.1362:                             ;   in Loop: Header=BB6_354 Depth=4
	v_or_b32_e32 v36, 0x7e, v3
; %bb.1363:                             ;   in Loop: Header=BB6_354 Depth=4
	s_or_b64 exec, exec, s[40:41]
                                        ; implicit-def: $vgpr1
.LBB6_1364:                             ;   in Loop: Header=BB6_354 Depth=4
	s_andn2_saveexec_b64 s[40:41], s[38:39]
; %bb.1365:                             ;   in Loop: Header=BB6_354 Depth=4
	v_or_b32_sdwa v36, v1, s83 dst_sel:DWORD dst_unused:UNUSED_PAD src0_sel:BYTE_3 src1_sel:DWORD
; %bb.1366:                             ;   in Loop: Header=BB6_354 Depth=4
	s_or_b64 exec, exec, s[40:41]
	v_cmp_lt_u64_e64 s[40:41], s[62:63], v[32:33]
	v_lshrrev_b32_e32 v2, 24, v33
	v_lshrrev_b32_e32 v0, 24, v25
	s_and_b64 vcc, exec, s[28:29]
	s_mov_b64 s[38:39], -1
                                        ; implicit-def: $vgpr1
	s_cbranch_vccnz .LBB6_1380
; %bb.1367:                             ;   in Loop: Header=BB6_354 Depth=4
	v_mov_b32_e32 v3, 0
	v_mov_b32_e32 v1, 0
	s_and_saveexec_b64 s[38:39], s[40:41]
	s_cbranch_execz .LBB6_1373
; %bb.1368:                             ;   in Loop: Header=BB6_354 Depth=4
	v_cmp_ne_u32_e32 vcc, s82, v2
	v_bfrev_b32_e32 v1, 1
	s_and_saveexec_b64 s[48:49], vcc
	s_cbranch_execz .LBB6_1372
; %bb.1369:                             ;   in Loop: Header=BB6_354 Depth=4
	v_bfe_u32 v4, v33, 24, 7
	v_cmp_ne_u32_e32 vcc, s83, v4
	v_mov_b32_e32 v1, 0x7f800001
	s_and_saveexec_b64 s[50:51], vcc
	s_cbranch_execz .LBB6_1371
; %bb.1370:                             ;   in Loop: Header=BB6_354 Depth=4
	v_and_b32_e32 v1, 7, v2
	v_lshrrev_b32_e32 v28, 3, v4
	v_cmp_gt_u32_e32 vcc, 8, v4
	v_ffbh_u32_e32 v4, v1
	v_min_u32_e32 v29, 32, v4
	v_subrev_u32_e32 v4, 28, v29
	v_lshlrev_b64 v[4:5], v4, v[2:3]
	v_sub_u32_e32 v5, 29, v29
	v_and_b32_e32 v4, 7, v4
	v_cndmask_b32_e32 v5, v28, v5, vcc
	v_cndmask_b32_e32 v1, v1, v4, vcc
	v_lshlrev_b32_e32 v4, 24, v2
	v_bfrev_b32_e32 v28, 60
	v_lshlrev_b32_e32 v1, 20, v1
	v_and_b32_e32 v4, 0x80000000, v4
	v_lshl_add_u32 v5, v5, 23, v28
	v_or3_b32 v1, v4, v5, v1
.LBB6_1371:                             ;   in Loop: Header=BB6_354 Depth=4
	s_or_b64 exec, exec, s[50:51]
.LBB6_1372:                             ;   in Loop: Header=BB6_354 Depth=4
	s_or_b64 exec, exec, s[48:49]
.LBB6_1373:                             ;   in Loop: Header=BB6_354 Depth=4
	s_or_b64 exec, exec, s[38:39]
	v_cmp_lt_u64_e32 vcc, s[62:63], v[24:25]
	s_and_saveexec_b64 s[38:39], vcc
	s_cbranch_execz .LBB6_1379
; %bb.1374:                             ;   in Loop: Header=BB6_354 Depth=4
	v_cmp_ne_u32_e32 vcc, s82, v0
	v_bfrev_b32_e32 v3, 1
	s_and_saveexec_b64 s[48:49], vcc
	s_cbranch_execz .LBB6_1378
; %bb.1375:                             ;   in Loop: Header=BB6_354 Depth=4
	v_bfe_u32 v4, v25, 24, 7
	v_cmp_ne_u32_e32 vcc, s83, v4
	v_mov_b32_e32 v3, 0x7f800001
	s_and_saveexec_b64 s[50:51], vcc
	s_cbranch_execz .LBB6_1377
; %bb.1376:                             ;   in Loop: Header=BB6_354 Depth=4
	v_and_b32_e32 v5, 7, v0
	v_ffbh_u32_e32 v3, v5
	v_min_u32_e32 v29, 32, v3
	v_subrev_u32_e32 v3, 28, v29
	v_lshrrev_b32_e32 v28, 3, v4
	v_cmp_gt_u32_e32 vcc, 8, v4
	v_lshlrev_b64 v[3:4], v3, v[0:1]
	v_sub_u32_e32 v4, 29, v29
	v_and_b32_e32 v3, 7, v3
	v_cndmask_b32_e32 v4, v28, v4, vcc
	v_cndmask_b32_e32 v3, v5, v3, vcc
	v_lshlrev_b32_e32 v5, 24, v0
	v_bfrev_b32_e32 v28, 60
	v_lshlrev_b32_e32 v3, 20, v3
	v_and_b32_e32 v5, 0x80000000, v5
	v_lshl_add_u32 v4, v4, 23, v28
	v_or3_b32 v3, v5, v4, v3
.LBB6_1377:                             ;   in Loop: Header=BB6_354 Depth=4
	s_or_b64 exec, exec, s[50:51]
.LBB6_1378:                             ;   in Loop: Header=BB6_354 Depth=4
	s_or_b64 exec, exec, s[48:49]
.LBB6_1379:                             ;   in Loop: Header=BB6_354 Depth=4
	s_or_b64 exec, exec, s[38:39]
	v_max_f32_e32 v3, v3, v3
	v_max_f32_e32 v1, v1, v1
	;; [unrolled: 1-line block ×3, first 2 shown]
	s_mov_b64 s[38:39], 0
.LBB6_1380:                             ;   in Loop: Header=BB6_354 Depth=4
	s_and_b64 vcc, exec, s[38:39]
	s_cbranch_vccz .LBB6_1394
; %bb.1381:                             ;   in Loop: Header=BB6_354 Depth=4
	v_mov_b32_e32 v3, 0
	v_mov_b32_e32 v1, 0
	s_and_saveexec_b64 s[38:39], s[40:41]
	s_cbranch_execz .LBB6_1387
; %bb.1382:                             ;   in Loop: Header=BB6_354 Depth=4
	v_cmp_ne_u32_e32 vcc, s82, v2
	v_bfrev_b32_e32 v1, 1
	s_and_saveexec_b64 s[40:41], vcc
	s_cbranch_execz .LBB6_1386
; %bb.1383:                             ;   in Loop: Header=BB6_354 Depth=4
	v_bfe_u32 v4, v33, 24, 7
	v_cmp_ne_u32_e32 vcc, s83, v4
	v_mov_b32_e32 v1, 0x7f800001
	s_and_saveexec_b64 s[48:49], vcc
	s_cbranch_execz .LBB6_1385
; %bb.1384:                             ;   in Loop: Header=BB6_354 Depth=4
	v_and_b32_e32 v1, 7, v2
	v_lshrrev_b32_e32 v28, 3, v4
	v_cmp_gt_u32_e32 vcc, 8, v4
	v_ffbh_u32_e32 v4, v1
	v_min_u32_e32 v29, 32, v4
	v_subrev_u32_e32 v4, 28, v29
	v_lshlrev_b64 v[4:5], v4, v[2:3]
	v_sub_u32_e32 v5, 29, v29
	v_and_b32_e32 v4, 7, v4
	v_cndmask_b32_e32 v5, v28, v5, vcc
	v_cndmask_b32_e32 v1, v1, v4, vcc
	v_lshlrev_b32_e32 v2, 24, v2
	v_bfrev_b32_e32 v4, 60
	v_lshlrev_b32_e32 v1, 20, v1
	v_and_b32_e32 v2, 0x80000000, v2
	v_lshl_add_u32 v4, v5, 23, v4
	v_or3_b32 v1, v2, v4, v1
.LBB6_1385:                             ;   in Loop: Header=BB6_354 Depth=4
	s_or_b64 exec, exec, s[48:49]
.LBB6_1386:                             ;   in Loop: Header=BB6_354 Depth=4
	s_or_b64 exec, exec, s[40:41]
.LBB6_1387:                             ;   in Loop: Header=BB6_354 Depth=4
	s_or_b64 exec, exec, s[38:39]
	v_cmp_lt_u64_e32 vcc, s[62:63], v[24:25]
	s_and_saveexec_b64 s[40:41], vcc
	s_cbranch_execz .LBB6_1393
; %bb.1388:                             ;   in Loop: Header=BB6_354 Depth=4
	v_cmp_ne_u32_e32 vcc, s82, v0
	v_bfrev_b32_e32 v3, 1
	s_and_saveexec_b64 s[38:39], vcc
	s_cbranch_execz .LBB6_1392
; %bb.1389:                             ;   in Loop: Header=BB6_354 Depth=4
	v_bfe_u32 v2, v25, 24, 7
	v_cmp_ne_u32_e32 vcc, s83, v2
	v_mov_b32_e32 v3, 0x7f800001
	s_and_saveexec_b64 s[48:49], vcc
	s_cbranch_execz .LBB6_1391
; %bb.1390:                             ;   in Loop: Header=BB6_354 Depth=4
	v_and_b32_e32 v4, 7, v0
	v_lshrrev_b32_e32 v5, 3, v2
	v_cmp_gt_u32_e32 vcc, 8, v2
	v_ffbh_u32_e32 v2, v4
	v_min_u32_e32 v24, 32, v2
	v_subrev_u32_e32 v2, 28, v24
	v_lshlrev_b64 v[2:3], v2, v[0:1]
	v_sub_u32_e32 v3, 29, v24
	v_and_b32_e32 v2, 7, v2
	v_cndmask_b32_e32 v3, v5, v3, vcc
	v_cndmask_b32_e32 v2, v4, v2, vcc
	v_lshlrev_b32_e32 v0, 24, v0
	v_bfrev_b32_e32 v4, 60
	v_lshlrev_b32_e32 v2, 20, v2
	v_and_b32_e32 v0, 0x80000000, v0
	v_lshl_add_u32 v3, v3, 23, v4
	v_or3_b32 v3, v0, v3, v2
.LBB6_1391:                             ;   in Loop: Header=BB6_354 Depth=4
	s_or_b64 exec, exec, s[48:49]
.LBB6_1392:                             ;   in Loop: Header=BB6_354 Depth=4
	s_or_b64 exec, exec, s[38:39]
.LBB6_1393:                             ;   in Loop: Header=BB6_354 Depth=4
	s_or_b64 exec, exec, s[40:41]
	v_max_f32_e32 v0, v3, v3
	v_max_f32_e32 v1, v1, v1
	v_min_f32_e32 v1, v1, v0
.LBB6_1394:                             ;   in Loop: Header=BB6_354 Depth=4
	v_and_b32_e32 v52, 0x7f800000, v1
	v_cmp_ne_u64_e32 vcc, s[76:77], v[52:53]
	buffer_store_dword v36, off, s[0:3], s33 offset:172 ; 4-byte Folded Spill
                                        ; implicit-def: $vgpr32
	s_and_saveexec_b64 s[40:41], vcc
	s_xor_b64 s[38:39], exec, s[40:41]
	s_cbranch_execz .LBB6_1408
; %bb.1395:                             ;   in Loop: Header=BB6_354 Depth=4
	v_and_b32_e32 v52, 0x7fffffff, v1
	v_cmp_gt_u64_e32 vcc, s[78:79], v[52:53]
	v_and_b32_sdwa v3, v1, s82 dst_sel:DWORD dst_unused:UNUSED_PAD src0_sel:BYTE_3 src1_sel:DWORD
                                        ; implicit-def: $vgpr32
	s_and_saveexec_b64 s[40:41], vcc
	s_xor_b64 s[48:49], exec, s[40:41]
	s_cbranch_execz .LBB6_1405
; %bb.1396:                             ;   in Loop: Header=BB6_354 Depth=4
	v_mov_b32_e32 v32, 0
	v_cmp_ne_u32_e32 vcc, 0, v1
	s_and_saveexec_b64 s[50:51], vcc
	s_cbranch_execz .LBB6_1404
; %bb.1397:                             ;   in Loop: Header=BB6_354 Depth=4
	v_bfe_u32 v4, v1, 23, 8
	v_and_b32_e32 v0, 0x7fffff, v1
	v_cmp_gt_u32_e64 s[40:41], s85, v4
	v_sub_u32_e32 v1, 0x79, v4
	v_cmp_eq_u32_e32 vcc, 0, v4
	v_cndmask_b32_e64 v1, 0, v1, s[40:41]
	v_mov_b32_e32 v5, 0x78
	v_or_b32_e32 v2, 0x800000, v0
	v_cndmask_b32_e32 v5, v1, v5, vcc
	v_cndmask_b32_e32 v52, v2, v0, vcc
	v_add_u32_e32 v0, 20, v5
	v_lshlrev_b64 v[0:1], v0, -1
	v_add_u32_e32 v2, 19, v5
	v_lshlrev_b64 v[24:25], v2, 1
	v_bfi_b32 v1, v1, 0, 0
	v_bfi_b32 v0, v0, 0, v52
	v_cmp_eq_u64_e64 s[40:41], v[0:1], v[24:25]
	v_lshrrev_b64 v[0:1], v5, v[52:53]
	v_mov_b32_e32 v2, v1
	v_mov_b32_e32 v1, v0
	s_and_saveexec_b64 s[52:53], s[40:41]
; %bb.1398:                             ;   in Loop: Header=BB6_354 Depth=4
	v_bfe_u32 v1, v0, 20, 1
	v_add_co_u32_e64 v1, s[40:41], v0, v1
	v_add_co_u32_e64 v1, s[40:41], -1, v1
; %bb.1399:                             ;   in Loop: Header=BB6_354 Depth=4
	s_or_b64 exec, exec, s[52:53]
	v_add_u32_e32 v2, 0xffffff81, v4
	v_mov_b32_e32 v4, 0xffffff82
	v_cndmask_b32_e32 v2, v2, v4, vcc
	v_lshrrev_b32_e32 v4, 23, v0
	v_add3_u32 v5, v5, v2, v4
	v_add_u32_e32 v4, 6, v5
	v_and_b32_e32 v1, 0xfffff, v1
	v_add_u32_e32 v52, v1, v0
	v_cmp_ne_u32_e32 vcc, 0, v4
                                        ; implicit-def: $vgpr0_vgpr1
                                        ; implicit-def: $vgpr2
	s_and_saveexec_b64 s[40:41], vcc
	s_xor_b64 s[40:41], exec, s[40:41]
; %bb.1400:                             ;   in Loop: Header=BB6_354 Depth=4
	v_cmp_lt_u64_e32 vcc, s[88:89], v[52:53]
	v_add_u32_e32 v0, 7, v5
	v_cndmask_b32_e32 v2, v4, v0, vcc
	v_cndmask_b32_e64 v0, 0, 1, vcc
	v_lshrrev_b64 v[0:1], v0, v[52:53]
; %bb.1401:                             ;   in Loop: Header=BB6_354 Depth=4
	s_andn2_saveexec_b64 s[40:41], s[40:41]
; %bb.1402:                             ;   in Loop: Header=BB6_354 Depth=4
	v_mov_b32_e32 v0, v52
	v_bfe_u32 v2, v52, 23, 1
	v_mov_b32_e32 v1, v53
; %bb.1403:                             ;   in Loop: Header=BB6_354 Depth=4
	s_or_b64 exec, exec, s[40:41]
	v_lshrrev_b64 v[0:1], 20, v[0:1]
	v_cmp_gt_i32_e32 vcc, 16, v2
	v_cndmask_b32_e32 v1, 0, v1, vcc
	v_cndmask_b32_e32 v0, 7, v0, vcc
	v_cmp_eq_u64_e64 s[40:41], 0, v[0:1]
	v_min_i32_e32 v1, 15, v2
	v_lshlrev_b32_e32 v1, 3, v1
	v_cmp_eq_u32_e32 vcc, 0, v2
	v_and_b32_e32 v1, 0xf8, v1
	v_and_or_b32 v0, v0, 7, v1
	s_and_b64 s[40:41], vcc, s[40:41]
	v_cndmask_b32_e64 v0, v0, 0, s[40:41]
	v_or_b32_e32 v32, v0, v3
.LBB6_1404:                             ;   in Loop: Header=BB6_354 Depth=4
	s_or_b64 exec, exec, s[50:51]
                                        ; implicit-def: $vgpr3
.LBB6_1405:                             ;   in Loop: Header=BB6_354 Depth=4
	s_andn2_saveexec_b64 s[40:41], s[48:49]
; %bb.1406:                             ;   in Loop: Header=BB6_354 Depth=4
	v_or_b32_e32 v32, 0x7e, v3
; %bb.1407:                             ;   in Loop: Header=BB6_354 Depth=4
	s_or_b64 exec, exec, s[40:41]
                                        ; implicit-def: $vgpr1
.LBB6_1408:                             ;   in Loop: Header=BB6_354 Depth=4
	s_andn2_saveexec_b64 s[40:41], s[38:39]
; %bb.1409:                             ;   in Loop: Header=BB6_354 Depth=4
	v_or_b32_sdwa v32, v1, s83 dst_sel:DWORD dst_unused:UNUSED_PAD src0_sel:BYTE_3 src1_sel:DWORD
; %bb.1410:                             ;   in Loop: Header=BB6_354 Depth=4
	s_or_b64 exec, exec, s[40:41]
	v_cmp_ne_u16_sdwa s[40:41], v34, v53 src0_sel:BYTE_0 src1_sel:DWORD
	s_and_b64 vcc, exec, s[28:29]
	s_mov_b64 s[38:39], -1
                                        ; implicit-def: $vgpr0
	s_cbranch_vccnz .LBB6_1424
; %bb.1411:                             ;   in Loop: Header=BB6_354 Depth=4
	v_mov_b32_e32 v1, 0
	v_mov_b32_e32 v0, 0
	s_and_saveexec_b64 s[38:39], s[40:41]
	s_cbranch_execz .LBB6_1417
; %bb.1412:                             ;   in Loop: Header=BB6_354 Depth=4
	v_cmp_ne_u16_sdwa vcc, v34, s82 src0_sel:BYTE_0 src1_sel:DWORD
	v_bfrev_b32_e32 v0, 1
	s_and_saveexec_b64 s[48:49], vcc
	s_cbranch_execz .LBB6_1416
; %bb.1413:                             ;   in Loop: Header=BB6_354 Depth=4
	v_and_b32_e32 v2, 0x7f, v34
	v_cmp_ne_u32_e32 vcc, s83, v2
	v_mov_b32_e32 v0, 0x7f800001
	s_and_saveexec_b64 s[50:51], vcc
	s_cbranch_execz .LBB6_1415
; %bb.1414:                             ;   in Loop: Header=BB6_354 Depth=4
	v_and_b32_e32 v0, 7, v34
	v_ffbh_u32_e32 v0, v0
	v_min_u32_e32 v0, 32, v0
	v_lshrrev_b32_e32 v3, 3, v2
	v_cmp_gt_u32_e32 vcc, 8, v2
	v_subrev_u32_e32 v2, 28, v0
	v_sub_u32_e32 v0, 29, v0
	v_cndmask_b32_e32 v2, 0, v2, vcc
	v_cndmask_b32_e32 v0, v3, v0, vcc
	v_lshlrev_b64 v[2:3], v2, v[34:35]
	v_lshlrev_b32_e32 v3, 24, v34
	v_lshlrev_b32_e32 v2, 20, v2
	v_bfrev_b32_e32 v4, 60
	v_and_b32_e32 v2, 0x700000, v2
	v_and_b32_e32 v3, 0x80000000, v3
	v_lshl_add_u32 v0, v0, 23, v4
	v_or3_b32 v0, v3, v0, v2
.LBB6_1415:                             ;   in Loop: Header=BB6_354 Depth=4
	s_or_b64 exec, exec, s[50:51]
.LBB6_1416:                             ;   in Loop: Header=BB6_354 Depth=4
	s_or_b64 exec, exec, s[48:49]
.LBB6_1417:                             ;   in Loop: Header=BB6_354 Depth=4
	s_or_b64 exec, exec, s[38:39]
	v_cmp_ne_u16_sdwa vcc, v26, v53 src0_sel:BYTE_0 src1_sel:DWORD
	s_and_saveexec_b64 s[38:39], vcc
	s_cbranch_execz .LBB6_1423
; %bb.1418:                             ;   in Loop: Header=BB6_354 Depth=4
	v_cmp_ne_u16_sdwa vcc, v26, s82 src0_sel:BYTE_0 src1_sel:DWORD
	v_bfrev_b32_e32 v1, 1
	s_and_saveexec_b64 s[48:49], vcc
	s_cbranch_execz .LBB6_1422
; %bb.1419:                             ;   in Loop: Header=BB6_354 Depth=4
	v_and_b32_e32 v2, 0x7f, v26
	v_cmp_ne_u32_e32 vcc, s83, v2
	v_mov_b32_e32 v1, 0x7f800001
	s_and_saveexec_b64 s[50:51], vcc
	s_cbranch_execz .LBB6_1421
; %bb.1420:                             ;   in Loop: Header=BB6_354 Depth=4
	v_and_b32_e32 v1, 7, v26
	v_ffbh_u32_e32 v1, v1
	v_min_u32_e32 v1, 32, v1
	v_lshrrev_b32_e32 v3, 3, v2
	v_cmp_gt_u32_e32 vcc, 8, v2
	v_subrev_u32_e32 v2, 28, v1
	v_sub_u32_e32 v1, 29, v1
	v_cndmask_b32_e32 v3, v3, v1, vcc
	v_cndmask_b32_e32 v1, 0, v2, vcc
	v_lshlrev_b64 v[1:2], v1, v[26:27]
	v_lshlrev_b32_e32 v2, 24, v26
	v_lshlrev_b32_e32 v1, 20, v1
	v_bfrev_b32_e32 v4, 60
	v_and_b32_e32 v1, 0x700000, v1
	v_and_b32_e32 v2, 0x80000000, v2
	v_lshl_add_u32 v3, v3, 23, v4
	v_or3_b32 v1, v2, v3, v1
.LBB6_1421:                             ;   in Loop: Header=BB6_354 Depth=4
	s_or_b64 exec, exec, s[50:51]
.LBB6_1422:                             ;   in Loop: Header=BB6_354 Depth=4
	s_or_b64 exec, exec, s[48:49]
.LBB6_1423:                             ;   in Loop: Header=BB6_354 Depth=4
	s_or_b64 exec, exec, s[38:39]
	v_max_f32_e32 v1, v1, v1
	v_max_f32_e32 v0, v0, v0
	;; [unrolled: 1-line block ×3, first 2 shown]
	s_mov_b64 s[38:39], 0
.LBB6_1424:                             ;   in Loop: Header=BB6_354 Depth=4
	s_and_b64 vcc, exec, s[38:39]
	s_cbranch_vccz .LBB6_1438
; %bb.1425:                             ;   in Loop: Header=BB6_354 Depth=4
	v_mov_b32_e32 v1, 0
	v_mov_b32_e32 v0, 0
	s_and_saveexec_b64 s[38:39], s[40:41]
	s_cbranch_execz .LBB6_1431
; %bb.1426:                             ;   in Loop: Header=BB6_354 Depth=4
	v_cmp_ne_u16_sdwa vcc, v34, s82 src0_sel:BYTE_0 src1_sel:DWORD
	v_bfrev_b32_e32 v0, 1
	s_and_saveexec_b64 s[40:41], vcc
	s_cbranch_execz .LBB6_1430
; %bb.1427:                             ;   in Loop: Header=BB6_354 Depth=4
	v_and_b32_e32 v2, 0x7f, v34
	v_cmp_ne_u32_e32 vcc, s83, v2
	v_mov_b32_e32 v0, 0x7f800001
	s_and_saveexec_b64 s[48:49], vcc
	s_cbranch_execz .LBB6_1429
; %bb.1428:                             ;   in Loop: Header=BB6_354 Depth=4
	v_and_b32_e32 v0, 7, v34
	v_ffbh_u32_e32 v0, v0
	v_min_u32_e32 v0, 32, v0
	v_lshrrev_b32_e32 v3, 3, v2
	v_cmp_gt_u32_e32 vcc, 8, v2
	v_subrev_u32_e32 v2, 28, v0
	v_sub_u32_e32 v0, 29, v0
	v_cndmask_b32_e32 v2, 0, v2, vcc
	v_cndmask_b32_e32 v0, v3, v0, vcc
	v_lshlrev_b64 v[2:3], v2, v[34:35]
	v_lshlrev_b32_e32 v3, 24, v34
	v_lshlrev_b32_e32 v2, 20, v2
	v_bfrev_b32_e32 v4, 60
	v_and_b32_e32 v2, 0x700000, v2
	v_and_b32_e32 v3, 0x80000000, v3
	v_lshl_add_u32 v0, v0, 23, v4
	v_or3_b32 v0, v3, v0, v2
.LBB6_1429:                             ;   in Loop: Header=BB6_354 Depth=4
	s_or_b64 exec, exec, s[48:49]
.LBB6_1430:                             ;   in Loop: Header=BB6_354 Depth=4
	s_or_b64 exec, exec, s[40:41]
.LBB6_1431:                             ;   in Loop: Header=BB6_354 Depth=4
	s_or_b64 exec, exec, s[38:39]
	v_cmp_ne_u16_sdwa vcc, v26, v53 src0_sel:BYTE_0 src1_sel:DWORD
	s_and_saveexec_b64 s[40:41], vcc
	s_cbranch_execz .LBB6_1437
; %bb.1432:                             ;   in Loop: Header=BB6_354 Depth=4
	v_cmp_ne_u16_sdwa vcc, v26, s82 src0_sel:BYTE_0 src1_sel:DWORD
	v_bfrev_b32_e32 v1, 1
	s_and_saveexec_b64 s[38:39], vcc
	s_cbranch_execz .LBB6_1436
; %bb.1433:                             ;   in Loop: Header=BB6_354 Depth=4
	v_and_b32_e32 v2, 0x7f, v26
	v_cmp_ne_u32_e32 vcc, s83, v2
	v_mov_b32_e32 v1, 0x7f800001
	s_and_saveexec_b64 s[48:49], vcc
	s_cbranch_execz .LBB6_1435
; %bb.1434:                             ;   in Loop: Header=BB6_354 Depth=4
	v_and_b32_e32 v1, 7, v26
	v_ffbh_u32_e32 v1, v1
	v_min_u32_e32 v1, 32, v1
	v_lshrrev_b32_e32 v3, 3, v2
	v_cmp_gt_u32_e32 vcc, 8, v2
	v_subrev_u32_e32 v2, 28, v1
	v_sub_u32_e32 v1, 29, v1
	v_cndmask_b32_e32 v3, v3, v1, vcc
	v_cndmask_b32_e32 v1, 0, v2, vcc
	v_lshlrev_b64 v[1:2], v1, v[26:27]
	v_lshlrev_b32_e32 v2, 24, v26
	v_lshlrev_b32_e32 v1, 20, v1
	v_bfrev_b32_e32 v4, 60
	v_and_b32_e32 v1, 0x700000, v1
	v_and_b32_e32 v2, 0x80000000, v2
	v_lshl_add_u32 v3, v3, 23, v4
	v_or3_b32 v1, v2, v3, v1
.LBB6_1435:                             ;   in Loop: Header=BB6_354 Depth=4
	s_or_b64 exec, exec, s[48:49]
.LBB6_1436:                             ;   in Loop: Header=BB6_354 Depth=4
	s_or_b64 exec, exec, s[38:39]
.LBB6_1437:                             ;   in Loop: Header=BB6_354 Depth=4
	s_or_b64 exec, exec, s[40:41]
	v_max_f32_e32 v1, v1, v1
	v_max_f32_e32 v0, v0, v0
	v_min_f32_e32 v0, v0, v1
.LBB6_1438:                             ;   in Loop: Header=BB6_354 Depth=4
	v_and_b32_e32 v52, 0x7f800000, v0
	v_cmp_ne_u64_e32 vcc, s[76:77], v[52:53]
                                        ; implicit-def: $vgpr33
	s_and_saveexec_b64 s[40:41], vcc
	s_xor_b64 s[38:39], exec, s[40:41]
	s_cbranch_execz .LBB6_1452
; %bb.1439:                             ;   in Loop: Header=BB6_354 Depth=4
	v_and_b32_e32 v52, 0x7fffffff, v0
	v_cmp_gt_u64_e32 vcc, s[78:79], v[52:53]
	v_and_b32_sdwa v3, v0, s82 dst_sel:DWORD dst_unused:UNUSED_PAD src0_sel:BYTE_3 src1_sel:DWORD
                                        ; implicit-def: $vgpr33
	s_and_saveexec_b64 s[40:41], vcc
	s_xor_b64 s[48:49], exec, s[40:41]
	s_cbranch_execz .LBB6_1449
; %bb.1440:                             ;   in Loop: Header=BB6_354 Depth=4
	v_mov_b32_e32 v33, 0
	v_cmp_ne_u32_e32 vcc, 0, v0
	s_and_saveexec_b64 s[50:51], vcc
	s_cbranch_execz .LBB6_1448
; %bb.1441:                             ;   in Loop: Header=BB6_354 Depth=4
	v_bfe_u32 v4, v0, 23, 8
	v_and_b32_e32 v1, 0x7fffff, v0
	v_cmp_gt_u32_e64 s[40:41], s85, v4
	v_sub_u32_e32 v0, 0x79, v4
	v_cmp_eq_u32_e32 vcc, 0, v4
	v_cndmask_b32_e64 v0, 0, v0, s[40:41]
	v_mov_b32_e32 v5, 0x78
	v_cndmask_b32_e32 v5, v0, v5, vcc
	v_or_b32_e32 v2, 0x800000, v1
	v_add_u32_e32 v0, 20, v5
	v_cndmask_b32_e32 v52, v2, v1, vcc
	v_lshlrev_b64 v[0:1], v0, -1
	v_add_u32_e32 v2, 19, v5
	v_lshlrev_b64 v[24:25], v2, 1
	v_bfi_b32 v1, v1, 0, 0
	v_bfi_b32 v0, v0, 0, v52
	v_cmp_eq_u64_e64 s[40:41], v[0:1], v[24:25]
	v_lshrrev_b64 v[0:1], v5, v[52:53]
	v_mov_b32_e32 v2, v1
	v_mov_b32_e32 v1, v0
	s_and_saveexec_b64 s[52:53], s[40:41]
; %bb.1442:                             ;   in Loop: Header=BB6_354 Depth=4
	v_bfe_u32 v1, v0, 20, 1
	v_add_co_u32_e64 v1, s[40:41], v0, v1
	v_add_co_u32_e64 v1, s[40:41], -1, v1
; %bb.1443:                             ;   in Loop: Header=BB6_354 Depth=4
	s_or_b64 exec, exec, s[52:53]
	v_add_u32_e32 v2, 0xffffff81, v4
	v_mov_b32_e32 v4, 0xffffff82
	v_cndmask_b32_e32 v2, v2, v4, vcc
	v_lshrrev_b32_e32 v4, 23, v0
	v_add3_u32 v5, v5, v2, v4
	v_add_u32_e32 v4, 6, v5
	v_and_b32_e32 v1, 0xfffff, v1
	v_add_u32_e32 v52, v1, v0
	v_cmp_ne_u32_e32 vcc, 0, v4
                                        ; implicit-def: $vgpr0_vgpr1
                                        ; implicit-def: $vgpr2
	s_and_saveexec_b64 s[40:41], vcc
	s_xor_b64 s[40:41], exec, s[40:41]
; %bb.1444:                             ;   in Loop: Header=BB6_354 Depth=4
	v_cmp_lt_u64_e32 vcc, s[88:89], v[52:53]
	v_add_u32_e32 v0, 7, v5
	v_cndmask_b32_e32 v2, v4, v0, vcc
	v_cndmask_b32_e64 v0, 0, 1, vcc
	v_lshrrev_b64 v[0:1], v0, v[52:53]
; %bb.1445:                             ;   in Loop: Header=BB6_354 Depth=4
	s_andn2_saveexec_b64 s[40:41], s[40:41]
; %bb.1446:                             ;   in Loop: Header=BB6_354 Depth=4
	v_mov_b32_e32 v0, v52
	v_bfe_u32 v2, v52, 23, 1
	v_mov_b32_e32 v1, v53
; %bb.1447:                             ;   in Loop: Header=BB6_354 Depth=4
	s_or_b64 exec, exec, s[40:41]
	v_lshrrev_b64 v[0:1], 20, v[0:1]
	v_cmp_gt_i32_e32 vcc, 16, v2
	v_cndmask_b32_e32 v1, 0, v1, vcc
	v_cndmask_b32_e32 v0, 7, v0, vcc
	v_cmp_eq_u64_e64 s[40:41], 0, v[0:1]
	v_min_i32_e32 v1, 15, v2
	v_lshlrev_b32_e32 v1, 3, v1
	v_cmp_eq_u32_e32 vcc, 0, v2
	v_and_b32_e32 v1, 0xf8, v1
	v_and_or_b32 v0, v0, 7, v1
	s_and_b64 s[40:41], vcc, s[40:41]
	v_cndmask_b32_e64 v0, v0, 0, s[40:41]
	v_or_b32_e32 v33, v0, v3
.LBB6_1448:                             ;   in Loop: Header=BB6_354 Depth=4
	s_or_b64 exec, exec, s[50:51]
                                        ; implicit-def: $vgpr3
.LBB6_1449:                             ;   in Loop: Header=BB6_354 Depth=4
	s_andn2_saveexec_b64 s[40:41], s[48:49]
; %bb.1450:                             ;   in Loop: Header=BB6_354 Depth=4
	v_or_b32_e32 v33, 0x7e, v3
; %bb.1451:                             ;   in Loop: Header=BB6_354 Depth=4
	s_or_b64 exec, exec, s[40:41]
                                        ; implicit-def: $vgpr0
.LBB6_1452:                             ;   in Loop: Header=BB6_354 Depth=4
	s_andn2_saveexec_b64 s[40:41], s[38:39]
; %bb.1453:                             ;   in Loop: Header=BB6_354 Depth=4
	v_or_b32_sdwa v33, v0, s83 dst_sel:DWORD dst_unused:UNUSED_PAD src0_sel:BYTE_3 src1_sel:DWORD
; %bb.1454:                             ;   in Loop: Header=BB6_354 Depth=4
	s_or_b64 exec, exec, s[40:41]
	v_lshrrev_b16_e32 v2, 8, v34
	v_lshrrev_b16_e32 v0, 8, v26
	v_cmp_ne_u16_e64 s[40:41], 0, v2
	s_and_b64 vcc, exec, s[28:29]
	s_mov_b64 s[38:39], -1
                                        ; implicit-def: $vgpr1
	s_cbranch_vccnz .LBB6_1468
; %bb.1455:                             ;   in Loop: Header=BB6_354 Depth=4
	v_mov_b32_e32 v3, 0
	v_mov_b32_e32 v1, 0
	s_and_saveexec_b64 s[38:39], s[40:41]
	s_cbranch_execz .LBB6_1461
; %bb.1456:                             ;   in Loop: Header=BB6_354 Depth=4
	v_cmp_ne_u16_e32 vcc, s82, v2
	v_bfrev_b32_e32 v1, 1
	s_and_saveexec_b64 s[48:49], vcc
	s_cbranch_execz .LBB6_1460
; %bb.1457:                             ;   in Loop: Header=BB6_354 Depth=4
	v_and_b32_e32 v4, 0x7f, v2
	v_cmp_ne_u32_e32 vcc, s83, v4
	v_mov_b32_e32 v1, 0x7f800001
	s_and_saveexec_b64 s[50:51], vcc
	s_cbranch_execz .LBB6_1459
; %bb.1458:                             ;   in Loop: Header=BB6_354 Depth=4
	v_and_b32_e32 v1, 7, v2
	v_lshrrev_b32_e32 v24, 3, v4
	v_cmp_gt_u32_e32 vcc, 8, v4
	v_ffbh_u32_e32 v4, v1
	v_min_u32_e32 v25, 32, v4
	v_subrev_u32_e32 v4, 28, v25
	v_lshlrev_b64 v[4:5], v4, v[2:3]
	v_sub_u32_e32 v5, 29, v25
	v_and_b32_e32 v4, 7, v4
	v_cndmask_b32_e32 v5, v24, v5, vcc
	v_cndmask_b32_e32 v1, v1, v4, vcc
	v_lshlrev_b32_e32 v4, 16, v34
	v_bfrev_b32_e32 v24, 60
	v_lshlrev_b32_e32 v1, 20, v1
	v_and_b32_e32 v4, 0x80000000, v4
	v_lshl_add_u32 v5, v5, 23, v24
	v_or3_b32 v1, v4, v5, v1
.LBB6_1459:                             ;   in Loop: Header=BB6_354 Depth=4
	s_or_b64 exec, exec, s[50:51]
.LBB6_1460:                             ;   in Loop: Header=BB6_354 Depth=4
	s_or_b64 exec, exec, s[48:49]
.LBB6_1461:                             ;   in Loop: Header=BB6_354 Depth=4
	s_or_b64 exec, exec, s[38:39]
	v_cmp_ne_u16_e32 vcc, 0, v0
	s_and_saveexec_b64 s[38:39], vcc
	s_cbranch_execz .LBB6_1467
; %bb.1462:                             ;   in Loop: Header=BB6_354 Depth=4
	v_cmp_ne_u16_e32 vcc, s82, v0
	v_bfrev_b32_e32 v3, 1
	s_and_saveexec_b64 s[48:49], vcc
	s_cbranch_execz .LBB6_1466
; %bb.1463:                             ;   in Loop: Header=BB6_354 Depth=4
	v_and_b32_e32 v4, 0x7f, v0
	v_cmp_ne_u32_e32 vcc, s83, v4
	v_mov_b32_e32 v3, 0x7f800001
	s_and_saveexec_b64 s[50:51], vcc
	s_cbranch_execz .LBB6_1465
; %bb.1464:                             ;   in Loop: Header=BB6_354 Depth=4
	v_and_b32_e32 v5, 7, v0
	v_ffbh_u32_e32 v3, v5
	v_min_u32_e32 v25, 32, v3
	v_subrev_u32_e32 v3, 28, v25
	v_lshrrev_b32_e32 v24, 3, v4
	v_cmp_gt_u32_e32 vcc, 8, v4
	v_lshlrev_b64 v[3:4], v3, v[0:1]
	v_sub_u32_e32 v4, 29, v25
	v_and_b32_e32 v3, 7, v3
	v_cndmask_b32_e32 v4, v24, v4, vcc
	v_cndmask_b32_e32 v3, v5, v3, vcc
	v_lshlrev_b32_e32 v5, 16, v26
	v_bfrev_b32_e32 v24, 60
	v_lshlrev_b32_e32 v3, 20, v3
	v_and_b32_e32 v5, 0x80000000, v5
	v_lshl_add_u32 v4, v4, 23, v24
	v_or3_b32 v3, v5, v4, v3
.LBB6_1465:                             ;   in Loop: Header=BB6_354 Depth=4
	s_or_b64 exec, exec, s[50:51]
.LBB6_1466:                             ;   in Loop: Header=BB6_354 Depth=4
	s_or_b64 exec, exec, s[48:49]
.LBB6_1467:                             ;   in Loop: Header=BB6_354 Depth=4
	s_or_b64 exec, exec, s[38:39]
	v_max_f32_e32 v3, v3, v3
	v_max_f32_e32 v1, v1, v1
	;; [unrolled: 1-line block ×3, first 2 shown]
	s_mov_b64 s[38:39], 0
.LBB6_1468:                             ;   in Loop: Header=BB6_354 Depth=4
	s_and_b64 vcc, exec, s[38:39]
	s_cbranch_vccz .LBB6_1482
; %bb.1469:                             ;   in Loop: Header=BB6_354 Depth=4
	v_mov_b32_e32 v3, 0
	v_mov_b32_e32 v1, 0
	s_and_saveexec_b64 s[38:39], s[40:41]
	s_cbranch_execz .LBB6_1475
; %bb.1470:                             ;   in Loop: Header=BB6_354 Depth=4
	v_cmp_ne_u16_e32 vcc, s82, v2
	v_bfrev_b32_e32 v1, 1
	s_and_saveexec_b64 s[40:41], vcc
	s_cbranch_execz .LBB6_1474
; %bb.1471:                             ;   in Loop: Header=BB6_354 Depth=4
	v_and_b32_e32 v4, 0x7f, v2
	v_cmp_ne_u32_e32 vcc, s83, v4
	v_mov_b32_e32 v1, 0x7f800001
	s_and_saveexec_b64 s[48:49], vcc
	s_cbranch_execz .LBB6_1473
; %bb.1472:                             ;   in Loop: Header=BB6_354 Depth=4
	v_and_b32_e32 v5, 7, v2
	v_ffbh_u32_e32 v1, v5
	v_lshrrev_b32_e32 v24, 3, v4
	v_cmp_gt_u32_e32 vcc, 8, v4
	v_min_u32_e32 v4, 32, v1
	v_subrev_u32_e32 v1, 28, v4
	v_lshlrev_b64 v[1:2], v1, v[2:3]
	v_sub_u32_e32 v2, 29, v4
	v_and_b32_e32 v1, 7, v1
	v_cndmask_b32_e32 v2, v24, v2, vcc
	v_cndmask_b32_e32 v1, v5, v1, vcc
	v_lshlrev_b32_e32 v4, 16, v34
	v_bfrev_b32_e32 v5, 60
	v_lshlrev_b32_e32 v1, 20, v1
	v_and_b32_e32 v4, 0x80000000, v4
	v_lshl_add_u32 v2, v2, 23, v5
	v_or3_b32 v1, v4, v2, v1
.LBB6_1473:                             ;   in Loop: Header=BB6_354 Depth=4
	s_or_b64 exec, exec, s[48:49]
.LBB6_1474:                             ;   in Loop: Header=BB6_354 Depth=4
	s_or_b64 exec, exec, s[40:41]
.LBB6_1475:                             ;   in Loop: Header=BB6_354 Depth=4
	s_or_b64 exec, exec, s[38:39]
	v_cmp_ne_u16_e32 vcc, 0, v0
	s_and_saveexec_b64 s[40:41], vcc
	s_cbranch_execz .LBB6_1481
; %bb.1476:                             ;   in Loop: Header=BB6_354 Depth=4
	v_cmp_ne_u16_e32 vcc, s82, v0
	v_bfrev_b32_e32 v3, 1
	s_and_saveexec_b64 s[38:39], vcc
	s_cbranch_execz .LBB6_1480
; %bb.1477:                             ;   in Loop: Header=BB6_354 Depth=4
	v_and_b32_e32 v2, 0x7f, v0
	v_cmp_ne_u32_e32 vcc, s83, v2
	v_mov_b32_e32 v3, 0x7f800001
	s_and_saveexec_b64 s[48:49], vcc
	s_cbranch_execz .LBB6_1479
; %bb.1478:                             ;   in Loop: Header=BB6_354 Depth=4
	v_and_b32_e32 v4, 7, v0
	v_lshrrev_b32_e32 v5, 3, v2
	v_cmp_gt_u32_e32 vcc, 8, v2
	v_ffbh_u32_e32 v2, v4
	v_min_u32_e32 v24, 32, v2
	v_subrev_u32_e32 v2, 28, v24
	v_lshlrev_b64 v[2:3], v2, v[0:1]
	v_sub_u32_e32 v0, 29, v24
	v_and_b32_e32 v2, 7, v2
	v_cndmask_b32_e32 v0, v5, v0, vcc
	v_cndmask_b32_e32 v2, v4, v2, vcc
	v_lshlrev_b32_e32 v3, 16, v26
	v_bfrev_b32_e32 v4, 60
	v_lshlrev_b32_e32 v2, 20, v2
	v_and_b32_e32 v3, 0x80000000, v3
	v_lshl_add_u32 v0, v0, 23, v4
	v_or3_b32 v3, v3, v0, v2
.LBB6_1479:                             ;   in Loop: Header=BB6_354 Depth=4
	s_or_b64 exec, exec, s[48:49]
.LBB6_1480:                             ;   in Loop: Header=BB6_354 Depth=4
	s_or_b64 exec, exec, s[38:39]
.LBB6_1481:                             ;   in Loop: Header=BB6_354 Depth=4
	s_or_b64 exec, exec, s[40:41]
	v_max_f32_e32 v0, v3, v3
	v_max_f32_e32 v1, v1, v1
	v_min_f32_e32 v1, v1, v0
.LBB6_1482:                             ;   in Loop: Header=BB6_354 Depth=4
	v_and_b32_e32 v52, 0x7f800000, v1
	v_cmp_ne_u64_e32 vcc, s[76:77], v[52:53]
	buffer_store_dword v48, off, s[0:3], s33 offset:140 ; 4-byte Folded Spill
                                        ; implicit-def: $vgpr48
	s_and_saveexec_b64 s[40:41], vcc
	s_xor_b64 s[38:39], exec, s[40:41]
	s_cbranch_execz .LBB6_1496
; %bb.1483:                             ;   in Loop: Header=BB6_354 Depth=4
	v_and_b32_e32 v52, 0x7fffffff, v1
	v_cmp_gt_u64_e32 vcc, s[78:79], v[52:53]
	v_and_b32_sdwa v3, v1, s82 dst_sel:DWORD dst_unused:UNUSED_PAD src0_sel:BYTE_3 src1_sel:DWORD
                                        ; implicit-def: $vgpr48
	s_and_saveexec_b64 s[40:41], vcc
	s_xor_b64 s[48:49], exec, s[40:41]
	s_cbranch_execz .LBB6_1493
; %bb.1484:                             ;   in Loop: Header=BB6_354 Depth=4
	v_mov_b32_e32 v48, 0
	v_cmp_ne_u32_e32 vcc, 0, v1
	s_and_saveexec_b64 s[50:51], vcc
	s_cbranch_execz .LBB6_1492
; %bb.1485:                             ;   in Loop: Header=BB6_354 Depth=4
	v_bfe_u32 v4, v1, 23, 8
	v_and_b32_e32 v0, 0x7fffff, v1
	v_cmp_gt_u32_e64 s[40:41], s85, v4
	v_sub_u32_e32 v1, 0x79, v4
	v_cmp_eq_u32_e32 vcc, 0, v4
	v_cndmask_b32_e64 v1, 0, v1, s[40:41]
	v_mov_b32_e32 v5, 0x78
	v_or_b32_e32 v2, 0x800000, v0
	v_cndmask_b32_e32 v5, v1, v5, vcc
	v_cndmask_b32_e32 v52, v2, v0, vcc
	v_add_u32_e32 v0, 20, v5
	v_lshlrev_b64 v[0:1], v0, -1
	v_add_u32_e32 v2, 19, v5
	v_lshlrev_b64 v[24:25], v2, 1
	v_bfi_b32 v1, v1, 0, 0
	v_bfi_b32 v0, v0, 0, v52
	v_cmp_eq_u64_e64 s[40:41], v[0:1], v[24:25]
	v_lshrrev_b64 v[0:1], v5, v[52:53]
	v_mov_b32_e32 v2, v1
	v_mov_b32_e32 v1, v0
	s_and_saveexec_b64 s[52:53], s[40:41]
; %bb.1486:                             ;   in Loop: Header=BB6_354 Depth=4
	v_bfe_u32 v1, v0, 20, 1
	v_add_co_u32_e64 v1, s[40:41], v0, v1
	v_add_co_u32_e64 v1, s[40:41], -1, v1
; %bb.1487:                             ;   in Loop: Header=BB6_354 Depth=4
	s_or_b64 exec, exec, s[52:53]
	v_add_u32_e32 v2, 0xffffff81, v4
	v_mov_b32_e32 v4, 0xffffff82
	v_cndmask_b32_e32 v2, v2, v4, vcc
	v_lshrrev_b32_e32 v4, 23, v0
	v_add3_u32 v5, v5, v2, v4
	v_add_u32_e32 v4, 6, v5
	v_and_b32_e32 v1, 0xfffff, v1
	v_add_u32_e32 v52, v1, v0
	v_cmp_ne_u32_e32 vcc, 0, v4
                                        ; implicit-def: $vgpr0_vgpr1
                                        ; implicit-def: $vgpr2
	s_and_saveexec_b64 s[40:41], vcc
	s_xor_b64 s[40:41], exec, s[40:41]
; %bb.1488:                             ;   in Loop: Header=BB6_354 Depth=4
	v_cmp_lt_u64_e32 vcc, s[88:89], v[52:53]
	v_add_u32_e32 v0, 7, v5
	v_cndmask_b32_e32 v2, v4, v0, vcc
	v_cndmask_b32_e64 v0, 0, 1, vcc
	v_lshrrev_b64 v[0:1], v0, v[52:53]
; %bb.1489:                             ;   in Loop: Header=BB6_354 Depth=4
	s_andn2_saveexec_b64 s[40:41], s[40:41]
; %bb.1490:                             ;   in Loop: Header=BB6_354 Depth=4
	v_mov_b32_e32 v0, v52
	v_bfe_u32 v2, v52, 23, 1
	v_mov_b32_e32 v1, v53
; %bb.1491:                             ;   in Loop: Header=BB6_354 Depth=4
	s_or_b64 exec, exec, s[40:41]
	v_lshrrev_b64 v[0:1], 20, v[0:1]
	v_cmp_gt_i32_e32 vcc, 16, v2
	v_cndmask_b32_e32 v1, 0, v1, vcc
	v_cndmask_b32_e32 v0, 7, v0, vcc
	v_cmp_eq_u64_e64 s[40:41], 0, v[0:1]
	v_min_i32_e32 v1, 15, v2
	v_lshlrev_b32_e32 v1, 3, v1
	v_cmp_eq_u32_e32 vcc, 0, v2
	v_and_b32_e32 v1, 0xf8, v1
	v_and_or_b32 v0, v0, 7, v1
	s_and_b64 s[40:41], vcc, s[40:41]
	v_cndmask_b32_e64 v0, v0, 0, s[40:41]
	v_or_b32_e32 v48, v0, v3
.LBB6_1492:                             ;   in Loop: Header=BB6_354 Depth=4
	s_or_b64 exec, exec, s[50:51]
                                        ; implicit-def: $vgpr3
.LBB6_1493:                             ;   in Loop: Header=BB6_354 Depth=4
	s_andn2_saveexec_b64 s[40:41], s[48:49]
; %bb.1494:                             ;   in Loop: Header=BB6_354 Depth=4
	v_or_b32_e32 v48, 0x7e, v3
; %bb.1495:                             ;   in Loop: Header=BB6_354 Depth=4
	s_or_b64 exec, exec, s[40:41]
                                        ; implicit-def: $vgpr1
.LBB6_1496:                             ;   in Loop: Header=BB6_354 Depth=4
	s_andn2_saveexec_b64 s[40:41], s[38:39]
; %bb.1497:                             ;   in Loop: Header=BB6_354 Depth=4
	v_or_b32_sdwa v48, v1, s83 dst_sel:DWORD dst_unused:UNUSED_PAD src0_sel:BYTE_3 src1_sel:DWORD
; %bb.1498:                             ;   in Loop: Header=BB6_354 Depth=4
	s_or_b64 exec, exec, s[40:41]
	v_lshrrev_b32_e32 v2, 16, v34
	v_lshrrev_b32_e32 v0, 16, v26
	v_cmp_ne_u16_sdwa s[40:41], v2, v53 src0_sel:BYTE_0 src1_sel:DWORD
	s_and_b64 vcc, exec, s[28:29]
	s_mov_b64 s[38:39], -1
                                        ; implicit-def: $vgpr1
	s_cbranch_vccnz .LBB6_1512
; %bb.1499:                             ;   in Loop: Header=BB6_354 Depth=4
	v_mov_b32_e32 v3, 0
	v_mov_b32_e32 v1, 0
	s_and_saveexec_b64 s[38:39], s[40:41]
	s_cbranch_execz .LBB6_1505
; %bb.1500:                             ;   in Loop: Header=BB6_354 Depth=4
	v_cmp_ne_u16_sdwa vcc, v2, s82 src0_sel:BYTE_0 src1_sel:DWORD
	v_bfrev_b32_e32 v1, 1
	s_and_saveexec_b64 s[48:49], vcc
	s_cbranch_execz .LBB6_1504
; %bb.1501:                             ;   in Loop: Header=BB6_354 Depth=4
	v_bfe_u32 v4, v34, 16, 7
	v_cmp_ne_u32_e32 vcc, s83, v4
	v_mov_b32_e32 v1, 0x7f800001
	s_and_saveexec_b64 s[50:51], vcc
	s_cbranch_execz .LBB6_1503
; %bb.1502:                             ;   in Loop: Header=BB6_354 Depth=4
	v_and_b32_e32 v1, 7, v2
	v_lshrrev_b32_e32 v24, 3, v4
	v_cmp_gt_u32_e32 vcc, 8, v4
	v_ffbh_u32_e32 v4, v1
	v_min_u32_e32 v25, 32, v4
	v_subrev_u32_e32 v4, 28, v25
	v_lshlrev_b64 v[4:5], v4, v[2:3]
	v_sub_u32_e32 v5, 29, v25
	v_and_b32_e32 v4, 7, v4
	v_cndmask_b32_e32 v5, v24, v5, vcc
	v_cndmask_b32_e32 v1, v1, v4, vcc
	v_lshlrev_b32_e32 v4, 24, v2
	v_bfrev_b32_e32 v24, 60
	v_lshlrev_b32_e32 v1, 20, v1
	v_and_b32_e32 v4, 0x80000000, v4
	v_lshl_add_u32 v5, v5, 23, v24
	v_or3_b32 v1, v4, v5, v1
.LBB6_1503:                             ;   in Loop: Header=BB6_354 Depth=4
	s_or_b64 exec, exec, s[50:51]
.LBB6_1504:                             ;   in Loop: Header=BB6_354 Depth=4
	s_or_b64 exec, exec, s[48:49]
.LBB6_1505:                             ;   in Loop: Header=BB6_354 Depth=4
	s_or_b64 exec, exec, s[38:39]
	v_cmp_ne_u16_sdwa vcc, v0, v53 src0_sel:BYTE_0 src1_sel:DWORD
	s_and_saveexec_b64 s[38:39], vcc
	s_cbranch_execz .LBB6_1511
; %bb.1506:                             ;   in Loop: Header=BB6_354 Depth=4
	v_cmp_ne_u16_sdwa vcc, v0, s82 src0_sel:BYTE_0 src1_sel:DWORD
	v_bfrev_b32_e32 v3, 1
	s_and_saveexec_b64 s[48:49], vcc
	s_cbranch_execz .LBB6_1510
; %bb.1507:                             ;   in Loop: Header=BB6_354 Depth=4
	v_bfe_u32 v4, v26, 16, 7
	v_cmp_ne_u32_e32 vcc, s83, v4
	v_mov_b32_e32 v3, 0x7f800001
	s_and_saveexec_b64 s[50:51], vcc
	s_cbranch_execz .LBB6_1509
; %bb.1508:                             ;   in Loop: Header=BB6_354 Depth=4
	v_and_b32_e32 v5, 7, v0
	v_ffbh_u32_e32 v3, v5
	v_min_u32_e32 v25, 32, v3
	v_subrev_u32_e32 v3, 28, v25
	v_lshrrev_b32_e32 v24, 3, v4
	v_cmp_gt_u32_e32 vcc, 8, v4
	v_lshlrev_b64 v[3:4], v3, v[0:1]
	v_sub_u32_e32 v4, 29, v25
	v_and_b32_e32 v3, 7, v3
	v_cndmask_b32_e32 v4, v24, v4, vcc
	v_cndmask_b32_e32 v3, v5, v3, vcc
	v_lshlrev_b32_e32 v5, 24, v0
	v_bfrev_b32_e32 v24, 60
	v_lshlrev_b32_e32 v3, 20, v3
	v_and_b32_e32 v5, 0x80000000, v5
	v_lshl_add_u32 v4, v4, 23, v24
	v_or3_b32 v3, v5, v4, v3
.LBB6_1509:                             ;   in Loop: Header=BB6_354 Depth=4
	s_or_b64 exec, exec, s[50:51]
.LBB6_1510:                             ;   in Loop: Header=BB6_354 Depth=4
	s_or_b64 exec, exec, s[48:49]
.LBB6_1511:                             ;   in Loop: Header=BB6_354 Depth=4
	s_or_b64 exec, exec, s[38:39]
	v_max_f32_e32 v3, v3, v3
	v_max_f32_e32 v1, v1, v1
	;; [unrolled: 1-line block ×3, first 2 shown]
	s_mov_b64 s[38:39], 0
.LBB6_1512:                             ;   in Loop: Header=BB6_354 Depth=4
	s_and_b64 vcc, exec, s[38:39]
	s_cbranch_vccz .LBB6_1526
; %bb.1513:                             ;   in Loop: Header=BB6_354 Depth=4
	v_mov_b32_e32 v3, 0
	v_mov_b32_e32 v1, 0
	s_and_saveexec_b64 s[38:39], s[40:41]
	s_cbranch_execz .LBB6_1519
; %bb.1514:                             ;   in Loop: Header=BB6_354 Depth=4
	v_cmp_ne_u16_sdwa vcc, v2, s82 src0_sel:BYTE_0 src1_sel:DWORD
	v_bfrev_b32_e32 v1, 1
	s_and_saveexec_b64 s[40:41], vcc
	s_cbranch_execz .LBB6_1518
; %bb.1515:                             ;   in Loop: Header=BB6_354 Depth=4
	v_bfe_u32 v4, v34, 16, 7
	v_cmp_ne_u32_e32 vcc, s83, v4
	v_mov_b32_e32 v1, 0x7f800001
	s_and_saveexec_b64 s[48:49], vcc
	s_cbranch_execz .LBB6_1517
; %bb.1516:                             ;   in Loop: Header=BB6_354 Depth=4
	v_and_b32_e32 v1, 7, v2
	v_lshrrev_b32_e32 v24, 3, v4
	v_cmp_gt_u32_e32 vcc, 8, v4
	v_ffbh_u32_e32 v4, v1
	v_min_u32_e32 v25, 32, v4
	v_subrev_u32_e32 v4, 28, v25
	v_lshlrev_b64 v[4:5], v4, v[2:3]
	v_sub_u32_e32 v5, 29, v25
	v_and_b32_e32 v4, 7, v4
	v_cndmask_b32_e32 v5, v24, v5, vcc
	v_cndmask_b32_e32 v1, v1, v4, vcc
	v_lshlrev_b32_e32 v2, 24, v2
	v_bfrev_b32_e32 v4, 60
	v_lshlrev_b32_e32 v1, 20, v1
	v_and_b32_e32 v2, 0x80000000, v2
	v_lshl_add_u32 v4, v5, 23, v4
	v_or3_b32 v1, v2, v4, v1
.LBB6_1517:                             ;   in Loop: Header=BB6_354 Depth=4
	s_or_b64 exec, exec, s[48:49]
.LBB6_1518:                             ;   in Loop: Header=BB6_354 Depth=4
	s_or_b64 exec, exec, s[40:41]
.LBB6_1519:                             ;   in Loop: Header=BB6_354 Depth=4
	s_or_b64 exec, exec, s[38:39]
	v_cmp_ne_u16_sdwa vcc, v0, v53 src0_sel:BYTE_0 src1_sel:DWORD
	s_and_saveexec_b64 s[40:41], vcc
	s_cbranch_execz .LBB6_1525
; %bb.1520:                             ;   in Loop: Header=BB6_354 Depth=4
	v_cmp_ne_u16_sdwa vcc, v0, s82 src0_sel:BYTE_0 src1_sel:DWORD
	v_bfrev_b32_e32 v3, 1
	s_and_saveexec_b64 s[38:39], vcc
	s_cbranch_execz .LBB6_1524
; %bb.1521:                             ;   in Loop: Header=BB6_354 Depth=4
	v_bfe_u32 v2, v26, 16, 7
	v_cmp_ne_u32_e32 vcc, s83, v2
	v_mov_b32_e32 v3, 0x7f800001
	s_and_saveexec_b64 s[48:49], vcc
	s_cbranch_execz .LBB6_1523
; %bb.1522:                             ;   in Loop: Header=BB6_354 Depth=4
	v_and_b32_e32 v4, 7, v0
	v_lshrrev_b32_e32 v5, 3, v2
	v_cmp_gt_u32_e32 vcc, 8, v2
	v_ffbh_u32_e32 v2, v4
	v_min_u32_e32 v24, 32, v2
	v_subrev_u32_e32 v2, 28, v24
	v_lshlrev_b64 v[2:3], v2, v[0:1]
	v_sub_u32_e32 v3, 29, v24
	v_and_b32_e32 v2, 7, v2
	v_cndmask_b32_e32 v3, v5, v3, vcc
	v_cndmask_b32_e32 v2, v4, v2, vcc
	v_lshlrev_b32_e32 v0, 24, v0
	v_bfrev_b32_e32 v4, 60
	v_lshlrev_b32_e32 v2, 20, v2
	v_and_b32_e32 v0, 0x80000000, v0
	v_lshl_add_u32 v3, v3, 23, v4
	v_or3_b32 v3, v0, v3, v2
.LBB6_1523:                             ;   in Loop: Header=BB6_354 Depth=4
	s_or_b64 exec, exec, s[48:49]
.LBB6_1524:                             ;   in Loop: Header=BB6_354 Depth=4
	s_or_b64 exec, exec, s[38:39]
.LBB6_1525:                             ;   in Loop: Header=BB6_354 Depth=4
	s_or_b64 exec, exec, s[40:41]
	v_max_f32_e32 v0, v3, v3
	v_max_f32_e32 v1, v1, v1
	v_min_f32_e32 v1, v1, v0
.LBB6_1526:                             ;   in Loop: Header=BB6_354 Depth=4
	v_and_b32_e32 v52, 0x7f800000, v1
	v_cmp_ne_u64_e32 vcc, s[76:77], v[52:53]
                                        ; implicit-def: $vgpr4
	s_and_saveexec_b64 s[40:41], vcc
	s_xor_b64 s[38:39], exec, s[40:41]
	s_cbranch_execz .LBB6_1540
; %bb.1527:                             ;   in Loop: Header=BB6_354 Depth=4
	v_and_b32_e32 v52, 0x7fffffff, v1
	v_cmp_gt_u64_e32 vcc, s[78:79], v[52:53]
	v_and_b32_sdwa v3, v1, s82 dst_sel:DWORD dst_unused:UNUSED_PAD src0_sel:BYTE_3 src1_sel:DWORD
                                        ; implicit-def: $vgpr4
	s_and_saveexec_b64 s[40:41], vcc
	s_xor_b64 s[48:49], exec, s[40:41]
	s_cbranch_execz .LBB6_1537
; %bb.1528:                             ;   in Loop: Header=BB6_354 Depth=4
	v_mov_b32_e32 v4, 0
	v_cmp_ne_u32_e32 vcc, 0, v1
	s_and_saveexec_b64 s[50:51], vcc
	s_cbranch_execz .LBB6_1536
; %bb.1529:                             ;   in Loop: Header=BB6_354 Depth=4
	v_bfe_u32 v4, v1, 23, 8
	v_and_b32_e32 v0, 0x7fffff, v1
	v_cmp_gt_u32_e64 s[40:41], s85, v4
	v_sub_u32_e32 v1, 0x79, v4
	v_cmp_eq_u32_e32 vcc, 0, v4
	v_cndmask_b32_e64 v1, 0, v1, s[40:41]
	v_mov_b32_e32 v5, 0x78
	v_or_b32_e32 v2, 0x800000, v0
	v_cndmask_b32_e32 v5, v1, v5, vcc
	v_cndmask_b32_e32 v52, v2, v0, vcc
	v_add_u32_e32 v0, 20, v5
	v_lshlrev_b64 v[0:1], v0, -1
	v_add_u32_e32 v2, 19, v5
	v_lshlrev_b64 v[24:25], v2, 1
	v_bfi_b32 v1, v1, 0, 0
	v_bfi_b32 v0, v0, 0, v52
	v_cmp_eq_u64_e64 s[40:41], v[0:1], v[24:25]
	v_lshrrev_b64 v[0:1], v5, v[52:53]
	v_mov_b32_e32 v2, v1
	v_mov_b32_e32 v1, v0
	s_and_saveexec_b64 s[52:53], s[40:41]
; %bb.1530:                             ;   in Loop: Header=BB6_354 Depth=4
	v_bfe_u32 v1, v0, 20, 1
	v_add_co_u32_e64 v1, s[40:41], v0, v1
	v_add_co_u32_e64 v1, s[40:41], -1, v1
; %bb.1531:                             ;   in Loop: Header=BB6_354 Depth=4
	s_or_b64 exec, exec, s[52:53]
	v_add_u32_e32 v2, 0xffffff81, v4
	v_mov_b32_e32 v4, 0xffffff82
	v_cndmask_b32_e32 v2, v2, v4, vcc
	v_lshrrev_b32_e32 v4, 23, v0
	v_add3_u32 v5, v5, v2, v4
	v_add_u32_e32 v4, 6, v5
	v_and_b32_e32 v1, 0xfffff, v1
	v_add_u32_e32 v52, v1, v0
	v_cmp_ne_u32_e32 vcc, 0, v4
                                        ; implicit-def: $vgpr0_vgpr1
                                        ; implicit-def: $vgpr2
	s_and_saveexec_b64 s[40:41], vcc
	s_xor_b64 s[40:41], exec, s[40:41]
; %bb.1532:                             ;   in Loop: Header=BB6_354 Depth=4
	v_cmp_lt_u64_e32 vcc, s[88:89], v[52:53]
	v_add_u32_e32 v0, 7, v5
	v_cndmask_b32_e32 v2, v4, v0, vcc
	v_cndmask_b32_e64 v0, 0, 1, vcc
	v_lshrrev_b64 v[0:1], v0, v[52:53]
; %bb.1533:                             ;   in Loop: Header=BB6_354 Depth=4
	s_andn2_saveexec_b64 s[40:41], s[40:41]
; %bb.1534:                             ;   in Loop: Header=BB6_354 Depth=4
	v_mov_b32_e32 v0, v52
	v_bfe_u32 v2, v52, 23, 1
	v_mov_b32_e32 v1, v53
; %bb.1535:                             ;   in Loop: Header=BB6_354 Depth=4
	s_or_b64 exec, exec, s[40:41]
	v_lshrrev_b64 v[0:1], 20, v[0:1]
	v_cmp_gt_i32_e32 vcc, 16, v2
	v_cndmask_b32_e32 v1, 0, v1, vcc
	v_cndmask_b32_e32 v0, 7, v0, vcc
	v_cmp_eq_u64_e64 s[40:41], 0, v[0:1]
	v_min_i32_e32 v1, 15, v2
	v_lshlrev_b32_e32 v1, 3, v1
	v_cmp_eq_u32_e32 vcc, 0, v2
	v_and_b32_e32 v1, 0xf8, v1
	v_and_or_b32 v0, v0, 7, v1
	s_and_b64 s[40:41], vcc, s[40:41]
	v_cndmask_b32_e64 v0, v0, 0, s[40:41]
	v_or_b32_e32 v4, v0, v3
.LBB6_1536:                             ;   in Loop: Header=BB6_354 Depth=4
	s_or_b64 exec, exec, s[50:51]
                                        ; implicit-def: $vgpr3
.LBB6_1537:                             ;   in Loop: Header=BB6_354 Depth=4
	s_andn2_saveexec_b64 s[40:41], s[48:49]
; %bb.1538:                             ;   in Loop: Header=BB6_354 Depth=4
	v_or_b32_e32 v4, 0x7e, v3
; %bb.1539:                             ;   in Loop: Header=BB6_354 Depth=4
	s_or_b64 exec, exec, s[40:41]
                                        ; implicit-def: $vgpr1
.LBB6_1540:                             ;   in Loop: Header=BB6_354 Depth=4
	s_andn2_saveexec_b64 s[40:41], s[38:39]
; %bb.1541:                             ;   in Loop: Header=BB6_354 Depth=4
	v_or_b32_sdwa v4, v1, s83 dst_sel:DWORD dst_unused:UNUSED_PAD src0_sel:BYTE_3 src1_sel:DWORD
; %bb.1542:                             ;   in Loop: Header=BB6_354 Depth=4
	s_or_b64 exec, exec, s[40:41]
	v_lshrrev_b32_e32 v2, 24, v34
	v_lshrrev_b32_e32 v0, 24, v26
	v_cmp_lt_u32_e64 s[40:41], s63, v34
	s_and_b64 vcc, exec, s[28:29]
	s_mov_b64 s[38:39], -1
                                        ; implicit-def: $vgpr1
	s_cbranch_vccnz .LBB6_1556
; %bb.1543:                             ;   in Loop: Header=BB6_354 Depth=4
	v_mov_b32_e32 v3, 0
	v_mov_b32_e32 v1, 0
	s_and_saveexec_b64 s[38:39], s[40:41]
	s_cbranch_execz .LBB6_1549
; %bb.1544:                             ;   in Loop: Header=BB6_354 Depth=4
	v_cmp_ne_u32_e32 vcc, s82, v2
	v_bfrev_b32_e32 v1, 1
	s_and_saveexec_b64 s[48:49], vcc
	s_cbranch_execz .LBB6_1548
; %bb.1545:                             ;   in Loop: Header=BB6_354 Depth=4
	v_bfe_u32 v5, v34, 24, 7
	v_cmp_ne_u32_e32 vcc, s83, v5
	v_mov_b32_e32 v1, 0x7f800001
	s_and_saveexec_b64 s[50:51], vcc
	s_cbranch_execz .LBB6_1547
; %bb.1546:                             ;   in Loop: Header=BB6_354 Depth=4
	v_and_b32_e32 v1, 7, v2
	v_lshrrev_b32_e32 v28, 3, v5
	v_cmp_gt_u32_e32 vcc, 8, v5
	v_ffbh_u32_e32 v5, v1
	v_min_u32_e32 v5, 32, v5
	v_subrev_u32_e32 v24, 28, v5
	v_lshlrev_b64 v[24:25], v24, v[2:3]
	v_sub_u32_e32 v5, 29, v5
	v_and_b32_e32 v24, 7, v24
	v_cndmask_b32_e32 v5, v28, v5, vcc
	v_cndmask_b32_e32 v1, v1, v24, vcc
	v_lshlrev_b32_e32 v24, 24, v2
	v_bfrev_b32_e32 v25, 60
	v_lshlrev_b32_e32 v1, 20, v1
	v_and_b32_e32 v24, 0x80000000, v24
	v_lshl_add_u32 v5, v5, 23, v25
	v_or3_b32 v1, v24, v5, v1
.LBB6_1547:                             ;   in Loop: Header=BB6_354 Depth=4
	s_or_b64 exec, exec, s[50:51]
.LBB6_1548:                             ;   in Loop: Header=BB6_354 Depth=4
	s_or_b64 exec, exec, s[48:49]
.LBB6_1549:                             ;   in Loop: Header=BB6_354 Depth=4
	s_or_b64 exec, exec, s[38:39]
	v_cmp_lt_u32_e32 vcc, s63, v26
	s_and_saveexec_b64 s[38:39], vcc
	s_cbranch_execz .LBB6_1555
; %bb.1550:                             ;   in Loop: Header=BB6_354 Depth=4
	v_cmp_ne_u32_e32 vcc, s82, v0
	v_bfrev_b32_e32 v3, 1
	s_and_saveexec_b64 s[48:49], vcc
	s_cbranch_execz .LBB6_1554
; %bb.1551:                             ;   in Loop: Header=BB6_354 Depth=4
	v_bfe_u32 v5, v26, 24, 7
	v_cmp_ne_u32_e32 vcc, s83, v5
	v_mov_b32_e32 v3, 0x7f800001
	s_and_saveexec_b64 s[50:51], vcc
	s_cbranch_execz .LBB6_1553
; %bb.1552:                             ;   in Loop: Header=BB6_354 Depth=4
	v_and_b32_e32 v3, 7, v0
	v_lshrrev_b32_e32 v28, 3, v5
	v_cmp_gt_u32_e32 vcc, 8, v5
	v_ffbh_u32_e32 v5, v3
	v_min_u32_e32 v5, 32, v5
	v_subrev_u32_e32 v24, 28, v5
	v_lshlrev_b64 v[24:25], v24, v[0:1]
	v_sub_u32_e32 v5, 29, v5
	v_and_b32_e32 v24, 7, v24
	v_cndmask_b32_e32 v5, v28, v5, vcc
	v_cndmask_b32_e32 v3, v3, v24, vcc
	v_lshlrev_b32_e32 v24, 24, v0
	v_bfrev_b32_e32 v25, 60
	v_lshlrev_b32_e32 v3, 20, v3
	v_and_b32_e32 v24, 0x80000000, v24
	v_lshl_add_u32 v5, v5, 23, v25
	v_or3_b32 v3, v24, v5, v3
.LBB6_1553:                             ;   in Loop: Header=BB6_354 Depth=4
	s_or_b64 exec, exec, s[50:51]
.LBB6_1554:                             ;   in Loop: Header=BB6_354 Depth=4
	s_or_b64 exec, exec, s[48:49]
.LBB6_1555:                             ;   in Loop: Header=BB6_354 Depth=4
	s_or_b64 exec, exec, s[38:39]
	v_max_f32_e32 v3, v3, v3
	v_max_f32_e32 v1, v1, v1
	;; [unrolled: 1-line block ×3, first 2 shown]
	s_mov_b64 s[38:39], 0
.LBB6_1556:                             ;   in Loop: Header=BB6_354 Depth=4
	s_and_b64 vcc, exec, s[38:39]
	s_cbranch_vccz .LBB6_1570
; %bb.1557:                             ;   in Loop: Header=BB6_354 Depth=4
	v_mov_b32_e32 v3, 0
	v_mov_b32_e32 v1, 0
	s_and_saveexec_b64 s[38:39], s[40:41]
	s_cbranch_execz .LBB6_1563
; %bb.1558:                             ;   in Loop: Header=BB6_354 Depth=4
	v_cmp_ne_u32_e32 vcc, s82, v2
	v_bfrev_b32_e32 v1, 1
	s_and_saveexec_b64 s[40:41], vcc
	s_cbranch_execz .LBB6_1562
; %bb.1559:                             ;   in Loop: Header=BB6_354 Depth=4
	v_bfe_u32 v5, v34, 24, 7
	v_cmp_ne_u32_e32 vcc, s83, v5
	v_mov_b32_e32 v1, 0x7f800001
	s_and_saveexec_b64 s[48:49], vcc
	s_cbranch_execz .LBB6_1561
; %bb.1560:                             ;   in Loop: Header=BB6_354 Depth=4
	v_and_b32_e32 v1, 7, v2
	v_lshrrev_b32_e32 v28, 3, v5
	v_cmp_gt_u32_e32 vcc, 8, v5
	v_ffbh_u32_e32 v5, v1
	v_min_u32_e32 v5, 32, v5
	v_subrev_u32_e32 v24, 28, v5
	v_lshlrev_b64 v[24:25], v24, v[2:3]
	v_sub_u32_e32 v5, 29, v5
	v_and_b32_e32 v24, 7, v24
	v_cndmask_b32_e32 v5, v28, v5, vcc
	v_cndmask_b32_e32 v1, v1, v24, vcc
	v_lshlrev_b32_e32 v2, 24, v2
	v_bfrev_b32_e32 v24, 60
	v_lshlrev_b32_e32 v1, 20, v1
	v_and_b32_e32 v2, 0x80000000, v2
	v_lshl_add_u32 v5, v5, 23, v24
	v_or3_b32 v1, v2, v5, v1
.LBB6_1561:                             ;   in Loop: Header=BB6_354 Depth=4
	s_or_b64 exec, exec, s[48:49]
.LBB6_1562:                             ;   in Loop: Header=BB6_354 Depth=4
	s_or_b64 exec, exec, s[40:41]
.LBB6_1563:                             ;   in Loop: Header=BB6_354 Depth=4
	s_or_b64 exec, exec, s[38:39]
	v_cmp_lt_u32_e32 vcc, s63, v26
	s_and_saveexec_b64 s[40:41], vcc
	s_cbranch_execz .LBB6_1569
; %bb.1564:                             ;   in Loop: Header=BB6_354 Depth=4
	v_cmp_ne_u32_e32 vcc, s82, v0
	v_bfrev_b32_e32 v3, 1
	s_and_saveexec_b64 s[38:39], vcc
	s_cbranch_execz .LBB6_1568
; %bb.1565:                             ;   in Loop: Header=BB6_354 Depth=4
	v_bfe_u32 v2, v26, 24, 7
	v_cmp_ne_u32_e32 vcc, s83, v2
	v_mov_b32_e32 v3, 0x7f800001
	s_and_saveexec_b64 s[48:49], vcc
	s_cbranch_execz .LBB6_1567
; %bb.1566:                             ;   in Loop: Header=BB6_354 Depth=4
	v_and_b32_e32 v5, 7, v0
	v_lshrrev_b32_e32 v24, 3, v2
	v_cmp_gt_u32_e32 vcc, 8, v2
	v_ffbh_u32_e32 v2, v5
	v_min_u32_e32 v25, 32, v2
	v_subrev_u32_e32 v2, 28, v25
	v_lshlrev_b64 v[2:3], v2, v[0:1]
	v_sub_u32_e32 v3, 29, v25
	v_and_b32_e32 v2, 7, v2
	v_cndmask_b32_e32 v3, v24, v3, vcc
	v_cndmask_b32_e32 v2, v5, v2, vcc
	v_lshlrev_b32_e32 v0, 24, v0
	v_bfrev_b32_e32 v5, 60
	v_lshlrev_b32_e32 v2, 20, v2
	v_and_b32_e32 v0, 0x80000000, v0
	v_lshl_add_u32 v3, v3, 23, v5
	v_or3_b32 v3, v0, v3, v2
.LBB6_1567:                             ;   in Loop: Header=BB6_354 Depth=4
	s_or_b64 exec, exec, s[48:49]
.LBB6_1568:                             ;   in Loop: Header=BB6_354 Depth=4
	s_or_b64 exec, exec, s[38:39]
.LBB6_1569:                             ;   in Loop: Header=BB6_354 Depth=4
	s_or_b64 exec, exec, s[40:41]
	v_max_f32_e32 v0, v3, v3
	v_max_f32_e32 v1, v1, v1
	v_min_f32_e32 v1, v1, v0
.LBB6_1570:                             ;   in Loop: Header=BB6_354 Depth=4
	v_and_b32_e32 v52, 0x7f800000, v1
	v_cmp_ne_u64_e32 vcc, s[76:77], v[52:53]
	buffer_store_dword v49, off, s[0:3], s33 offset:144 ; 4-byte Folded Spill
                                        ; implicit-def: $vgpr42
	s_and_saveexec_b64 s[40:41], vcc
	s_xor_b64 s[38:39], exec, s[40:41]
	s_cbranch_execz .LBB6_1584
; %bb.1571:                             ;   in Loop: Header=BB6_354 Depth=4
	v_and_b32_e32 v52, 0x7fffffff, v1
	v_cmp_gt_u64_e32 vcc, s[78:79], v[52:53]
	v_and_b32_sdwa v3, v1, s82 dst_sel:DWORD dst_unused:UNUSED_PAD src0_sel:BYTE_3 src1_sel:DWORD
                                        ; implicit-def: $vgpr42
	s_and_saveexec_b64 s[40:41], vcc
	s_xor_b64 s[48:49], exec, s[40:41]
	s_cbranch_execz .LBB6_1581
; %bb.1572:                             ;   in Loop: Header=BB6_354 Depth=4
	v_mov_b32_e32 v42, 0
	v_cmp_ne_u32_e32 vcc, 0, v1
	s_and_saveexec_b64 s[50:51], vcc
	s_cbranch_execz .LBB6_1580
; %bb.1573:                             ;   in Loop: Header=BB6_354 Depth=4
	v_bfe_u32 v5, v1, 23, 8
	v_and_b32_e32 v0, 0x7fffff, v1
	v_cmp_gt_u32_e64 s[40:41], s85, v5
	v_sub_u32_e32 v1, 0x79, v5
	v_cmp_eq_u32_e32 vcc, 0, v5
	v_cndmask_b32_e64 v1, 0, v1, s[40:41]
	v_mov_b32_e32 v24, 0x78
	v_or_b32_e32 v2, 0x800000, v0
	v_cndmask_b32_e32 v24, v1, v24, vcc
	v_cndmask_b32_e32 v52, v2, v0, vcc
	v_add_u32_e32 v0, 20, v24
	v_lshlrev_b64 v[0:1], v0, -1
	v_add_u32_e32 v2, 19, v24
	v_lshlrev_b64 v[36:37], v2, 1
	v_bfi_b32 v1, v1, 0, 0
	v_bfi_b32 v0, v0, 0, v52
	v_cmp_eq_u64_e64 s[40:41], v[0:1], v[36:37]
	v_lshrrev_b64 v[0:1], v24, v[52:53]
	v_mov_b32_e32 v2, v1
	v_mov_b32_e32 v1, v0
	s_and_saveexec_b64 s[52:53], s[40:41]
; %bb.1574:                             ;   in Loop: Header=BB6_354 Depth=4
	v_bfe_u32 v1, v0, 20, 1
	v_add_co_u32_e64 v1, s[40:41], v0, v1
	v_add_co_u32_e64 v1, s[40:41], -1, v1
; %bb.1575:                             ;   in Loop: Header=BB6_354 Depth=4
	s_or_b64 exec, exec, s[52:53]
	v_add_u32_e32 v2, 0xffffff81, v5
	v_mov_b32_e32 v5, 0xffffff82
	v_cndmask_b32_e32 v2, v2, v5, vcc
	v_lshrrev_b32_e32 v5, 23, v0
	v_add3_u32 v24, v24, v2, v5
	v_add_u32_e32 v5, 6, v24
	v_and_b32_e32 v1, 0xfffff, v1
	v_add_u32_e32 v52, v1, v0
	v_cmp_ne_u32_e32 vcc, 0, v5
                                        ; implicit-def: $vgpr0_vgpr1
                                        ; implicit-def: $vgpr2
	s_and_saveexec_b64 s[40:41], vcc
	s_xor_b64 s[40:41], exec, s[40:41]
; %bb.1576:                             ;   in Loop: Header=BB6_354 Depth=4
	v_cmp_lt_u64_e32 vcc, s[88:89], v[52:53]
	v_add_u32_e32 v0, 7, v24
	v_cndmask_b32_e32 v2, v5, v0, vcc
	v_cndmask_b32_e64 v0, 0, 1, vcc
	v_lshrrev_b64 v[0:1], v0, v[52:53]
; %bb.1577:                             ;   in Loop: Header=BB6_354 Depth=4
	s_andn2_saveexec_b64 s[40:41], s[40:41]
; %bb.1578:                             ;   in Loop: Header=BB6_354 Depth=4
	v_mov_b32_e32 v0, v52
	v_bfe_u32 v2, v52, 23, 1
	v_mov_b32_e32 v1, v53
; %bb.1579:                             ;   in Loop: Header=BB6_354 Depth=4
	s_or_b64 exec, exec, s[40:41]
	v_lshrrev_b64 v[0:1], 20, v[0:1]
	v_cmp_gt_i32_e32 vcc, 16, v2
	v_cndmask_b32_e32 v1, 0, v1, vcc
	v_cndmask_b32_e32 v0, 7, v0, vcc
	v_cmp_eq_u64_e64 s[40:41], 0, v[0:1]
	v_min_i32_e32 v1, 15, v2
	v_lshlrev_b32_e32 v1, 3, v1
	v_cmp_eq_u32_e32 vcc, 0, v2
	v_and_b32_e32 v1, 0xf8, v1
	v_and_or_b32 v0, v0, 7, v1
	s_and_b64 s[40:41], vcc, s[40:41]
	v_cndmask_b32_e64 v0, v0, 0, s[40:41]
	v_or_b32_e32 v42, v0, v3
.LBB6_1580:                             ;   in Loop: Header=BB6_354 Depth=4
	s_or_b64 exec, exec, s[50:51]
                                        ; implicit-def: $vgpr3
.LBB6_1581:                             ;   in Loop: Header=BB6_354 Depth=4
	s_andn2_saveexec_b64 s[40:41], s[48:49]
; %bb.1582:                             ;   in Loop: Header=BB6_354 Depth=4
	v_or_b32_e32 v42, 0x7e, v3
; %bb.1583:                             ;   in Loop: Header=BB6_354 Depth=4
	s_or_b64 exec, exec, s[40:41]
                                        ; implicit-def: $vgpr1
.LBB6_1584:                             ;   in Loop: Header=BB6_354 Depth=4
	s_andn2_saveexec_b64 s[40:41], s[38:39]
; %bb.1585:                             ;   in Loop: Header=BB6_354 Depth=4
	v_or_b32_sdwa v42, v1, s83 dst_sel:DWORD dst_unused:UNUSED_PAD src0_sel:BYTE_3 src1_sel:DWORD
; %bb.1586:                             ;   in Loop: Header=BB6_354 Depth=4
	s_or_b64 exec, exec, s[40:41]
	v_mov_b32_e32 v52, v35
	v_mov_b32_e32 v2, v27
	;; [unrolled: 1-line block ×3, first 2 shown]
	v_cmp_ne_u16_sdwa s[40:41], v35, v53 src0_sel:BYTE_0 src1_sel:DWORD
	s_and_b64 vcc, exec, s[28:29]
	s_mov_b64 s[38:39], -1
                                        ; implicit-def: $vgpr0
	s_cbranch_vccnz .LBB6_1600
; %bb.1587:                             ;   in Loop: Header=BB6_354 Depth=4
	v_mov_b32_e32 v1, 0
	v_mov_b32_e32 v0, 0
	s_and_saveexec_b64 s[38:39], s[40:41]
	s_cbranch_execz .LBB6_1593
; %bb.1588:                             ;   in Loop: Header=BB6_354 Depth=4
	v_cmp_ne_u16_sdwa vcc, v35, s82 src0_sel:BYTE_0 src1_sel:DWORD
	v_bfrev_b32_e32 v0, 1
	s_and_saveexec_b64 s[48:49], vcc
	s_cbranch_execz .LBB6_1592
; %bb.1589:                             ;   in Loop: Header=BB6_354 Depth=4
	v_and_b32_e32 v5, 0x7f, v35
	v_cmp_ne_u32_e32 vcc, s83, v5
	v_mov_b32_e32 v0, 0x7f800001
	s_and_saveexec_b64 s[50:51], vcc
	s_cbranch_execz .LBB6_1591
; %bb.1590:                             ;   in Loop: Header=BB6_354 Depth=4
	v_and_b32_e32 v0, 7, v35
	v_ffbh_u32_e32 v0, v0
	v_min_u32_e32 v0, 32, v0
	v_lshrrev_b32_e32 v24, 3, v5
	v_cmp_gt_u32_e32 vcc, 8, v5
	v_subrev_u32_e32 v5, 28, v0
	v_sub_u32_e32 v0, 29, v0
	v_cndmask_b32_e32 v5, 0, v5, vcc
	v_cndmask_b32_e32 v0, v24, v0, vcc
	v_lshlrev_b64 v[24:25], v5, v[52:53]
	v_bfrev_b32_e32 v25, 60
	v_lshlrev_b32_e32 v5, 20, v24
	v_lshlrev_b32_e32 v24, 24, v52
	v_and_b32_e32 v5, 0x700000, v5
	v_and_b32_e32 v24, 0x80000000, v24
	v_lshl_add_u32 v0, v0, 23, v25
	v_or3_b32 v0, v24, v0, v5
.LBB6_1591:                             ;   in Loop: Header=BB6_354 Depth=4
	s_or_b64 exec, exec, s[50:51]
.LBB6_1592:                             ;   in Loop: Header=BB6_354 Depth=4
	s_or_b64 exec, exec, s[48:49]
.LBB6_1593:                             ;   in Loop: Header=BB6_354 Depth=4
	s_or_b64 exec, exec, s[38:39]
	v_cmp_ne_u16_sdwa vcc, v27, v53 src0_sel:BYTE_0 src1_sel:DWORD
	s_and_saveexec_b64 s[38:39], vcc
	s_cbranch_execz .LBB6_1599
; %bb.1594:                             ;   in Loop: Header=BB6_354 Depth=4
	v_cmp_ne_u16_sdwa vcc, v27, s82 src0_sel:BYTE_0 src1_sel:DWORD
	v_bfrev_b32_e32 v1, 1
	s_and_saveexec_b64 s[48:49], vcc
	s_cbranch_execz .LBB6_1598
; %bb.1595:                             ;   in Loop: Header=BB6_354 Depth=4
	v_and_b32_e32 v5, 0x7f, v27
	v_cmp_ne_u32_e32 vcc, s83, v5
	v_mov_b32_e32 v1, 0x7f800001
	s_and_saveexec_b64 s[50:51], vcc
	s_cbranch_execz .LBB6_1597
; %bb.1596:                             ;   in Loop: Header=BB6_354 Depth=4
	v_and_b32_e32 v1, 7, v27
	v_ffbh_u32_e32 v1, v1
	v_min_u32_e32 v1, 32, v1
	v_lshrrev_b32_e32 v24, 3, v5
	v_cmp_gt_u32_e32 vcc, 8, v5
	v_subrev_u32_e32 v5, 28, v1
	v_sub_u32_e32 v1, 29, v1
	v_cndmask_b32_e32 v5, 0, v5, vcc
	v_cndmask_b32_e32 v1, v24, v1, vcc
	v_lshlrev_b64 v[24:25], v5, v[2:3]
	v_bfrev_b32_e32 v25, 60
	v_lshlrev_b32_e32 v5, 20, v24
	v_lshlrev_b32_e32 v24, 24, v2
	v_and_b32_e32 v5, 0x700000, v5
	v_and_b32_e32 v24, 0x80000000, v24
	v_lshl_add_u32 v1, v1, 23, v25
	v_or3_b32 v1, v24, v1, v5
.LBB6_1597:                             ;   in Loop: Header=BB6_354 Depth=4
	s_or_b64 exec, exec, s[50:51]
.LBB6_1598:                             ;   in Loop: Header=BB6_354 Depth=4
	s_or_b64 exec, exec, s[48:49]
.LBB6_1599:                             ;   in Loop: Header=BB6_354 Depth=4
	s_or_b64 exec, exec, s[38:39]
	v_max_f32_e32 v1, v1, v1
	v_max_f32_e32 v0, v0, v0
	;; [unrolled: 1-line block ×3, first 2 shown]
	s_mov_b64 s[38:39], 0
.LBB6_1600:                             ;   in Loop: Header=BB6_354 Depth=4
	s_and_b64 vcc, exec, s[38:39]
	s_cbranch_vccz .LBB6_1614
; %bb.1601:                             ;   in Loop: Header=BB6_354 Depth=4
	v_mov_b32_e32 v1, 0
	v_mov_b32_e32 v0, 0
	s_and_saveexec_b64 s[38:39], s[40:41]
	s_cbranch_execz .LBB6_1607
; %bb.1602:                             ;   in Loop: Header=BB6_354 Depth=4
	v_cmp_ne_u16_sdwa vcc, v35, s82 src0_sel:BYTE_0 src1_sel:DWORD
	v_bfrev_b32_e32 v0, 1
	s_and_saveexec_b64 s[40:41], vcc
	s_cbranch_execz .LBB6_1606
; %bb.1603:                             ;   in Loop: Header=BB6_354 Depth=4
	v_and_b32_e32 v5, 0x7f, v35
	v_cmp_ne_u32_e32 vcc, s83, v5
	v_mov_b32_e32 v0, 0x7f800001
	s_and_saveexec_b64 s[48:49], vcc
	s_cbranch_execz .LBB6_1605
; %bb.1604:                             ;   in Loop: Header=BB6_354 Depth=4
	v_and_b32_e32 v0, 7, v35
	v_ffbh_u32_e32 v0, v0
	v_min_u32_e32 v0, 32, v0
	v_lshrrev_b32_e32 v24, 3, v5
	v_cmp_gt_u32_e32 vcc, 8, v5
	v_subrev_u32_e32 v5, 28, v0
	v_sub_u32_e32 v0, 29, v0
	v_cndmask_b32_e32 v5, 0, v5, vcc
	v_cndmask_b32_e32 v0, v24, v0, vcc
	v_lshlrev_b64 v[24:25], v5, v[52:53]
	v_bfrev_b32_e32 v25, 60
	v_lshlrev_b32_e32 v5, 20, v24
	v_lshlrev_b32_e32 v24, 24, v52
	v_and_b32_e32 v5, 0x700000, v5
	v_and_b32_e32 v24, 0x80000000, v24
	v_lshl_add_u32 v0, v0, 23, v25
	v_or3_b32 v0, v24, v0, v5
.LBB6_1605:                             ;   in Loop: Header=BB6_354 Depth=4
	s_or_b64 exec, exec, s[48:49]
.LBB6_1606:                             ;   in Loop: Header=BB6_354 Depth=4
	s_or_b64 exec, exec, s[40:41]
.LBB6_1607:                             ;   in Loop: Header=BB6_354 Depth=4
	s_or_b64 exec, exec, s[38:39]
	v_cmp_ne_u16_sdwa vcc, v27, v53 src0_sel:BYTE_0 src1_sel:DWORD
	s_and_saveexec_b64 s[40:41], vcc
	s_cbranch_execz .LBB6_1613
; %bb.1608:                             ;   in Loop: Header=BB6_354 Depth=4
	v_cmp_ne_u16_sdwa vcc, v27, s82 src0_sel:BYTE_0 src1_sel:DWORD
	v_bfrev_b32_e32 v1, 1
	s_and_saveexec_b64 s[38:39], vcc
	s_cbranch_execz .LBB6_1612
; %bb.1609:                             ;   in Loop: Header=BB6_354 Depth=4
	v_and_b32_e32 v5, 0x7f, v27
	v_cmp_ne_u32_e32 vcc, s83, v5
	v_mov_b32_e32 v1, 0x7f800001
	s_and_saveexec_b64 s[48:49], vcc
	s_cbranch_execz .LBB6_1611
; %bb.1610:                             ;   in Loop: Header=BB6_354 Depth=4
	v_and_b32_e32 v1, 7, v27
	v_ffbh_u32_e32 v1, v1
	v_min_u32_e32 v1, 32, v1
	v_lshrrev_b32_e32 v24, 3, v5
	v_cmp_gt_u32_e32 vcc, 8, v5
	v_subrev_u32_e32 v5, 28, v1
	v_sub_u32_e32 v1, 29, v1
	v_cndmask_b32_e32 v5, 0, v5, vcc
	v_cndmask_b32_e32 v1, v24, v1, vcc
	v_lshlrev_b64 v[24:25], v5, v[2:3]
	v_lshlrev_b32_e32 v5, 24, v2
	v_lshlrev_b32_e32 v3, 20, v24
	v_bfrev_b32_e32 v24, 60
	v_and_b32_e32 v3, 0x700000, v3
	v_and_b32_e32 v5, 0x80000000, v5
	v_lshl_add_u32 v1, v1, 23, v24
	v_or3_b32 v1, v5, v1, v3
.LBB6_1611:                             ;   in Loop: Header=BB6_354 Depth=4
	s_or_b64 exec, exec, s[48:49]
.LBB6_1612:                             ;   in Loop: Header=BB6_354 Depth=4
	s_or_b64 exec, exec, s[38:39]
.LBB6_1613:                             ;   in Loop: Header=BB6_354 Depth=4
	s_or_b64 exec, exec, s[40:41]
	v_max_f32_e32 v1, v1, v1
	v_max_f32_e32 v0, v0, v0
	v_min_f32_e32 v0, v0, v1
.LBB6_1614:                             ;   in Loop: Header=BB6_354 Depth=4
	v_and_b32_e32 v24, 0x7f800000, v0
	v_mov_b32_e32 v25, v53
	v_cmp_ne_u64_e32 vcc, s[76:77], v[24:25]
	buffer_store_dword v55, off, s[0:3], s33 offset:136 ; 4-byte Folded Spill
                                        ; implicit-def: $vgpr59
	s_and_saveexec_b64 s[40:41], vcc
	s_xor_b64 s[38:39], exec, s[40:41]
	s_cbranch_execz .LBB6_1628
; %bb.1615:                             ;   in Loop: Header=BB6_354 Depth=4
	v_and_b32_e32 v24, 0x7fffffff, v0
	v_mov_b32_e32 v25, v53
	v_cmp_gt_u64_e32 vcc, s[78:79], v[24:25]
	v_and_b32_sdwa v3, v0, s82 dst_sel:DWORD dst_unused:UNUSED_PAD src0_sel:BYTE_3 src1_sel:DWORD
                                        ; implicit-def: $vgpr59
	s_and_saveexec_b64 s[40:41], vcc
	s_xor_b64 s[48:49], exec, s[40:41]
	s_cbranch_execz .LBB6_1625
; %bb.1616:                             ;   in Loop: Header=BB6_354 Depth=4
	v_mov_b32_e32 v59, 0
	v_cmp_ne_u32_e32 vcc, 0, v0
	s_and_saveexec_b64 s[50:51], vcc
	s_cbranch_execz .LBB6_1624
; %bb.1617:                             ;   in Loop: Header=BB6_354 Depth=4
	v_bfe_u32 v5, v0, 23, 8
	v_and_b32_e32 v1, 0x7fffff, v0
	v_cmp_gt_u32_e64 s[40:41], s85, v5
	v_sub_u32_e32 v0, 0x79, v5
	v_cmp_eq_u32_e32 vcc, 0, v5
	v_cndmask_b32_e64 v0, 0, v0, s[40:41]
	v_mov_b32_e32 v25, 0x78
	v_or_b32_e32 v24, 0x800000, v1
	v_cndmask_b32_e32 v36, v0, v25, vcc
	v_cndmask_b32_e32 v0, v24, v1, vcc
	v_add_u32_e32 v24, 20, v36
	v_lshlrev_b64 v[24:25], v24, -1
	v_mov_b32_e32 v1, v53
	v_add_u32_e32 v28, 19, v36
	v_bfi_b32 v24, v24, 0, v0
	v_lshlrev_b64 v[37:38], v28, 1
	v_lshrrev_b64 v[0:1], v36, v[0:1]
	v_bfi_b32 v25, v25, 0, 0
	v_cmp_eq_u64_e64 s[40:41], v[24:25], v[37:38]
	v_mov_b32_e32 v25, v1
	v_mov_b32_e32 v24, v0
	s_and_saveexec_b64 s[52:53], s[40:41]
; %bb.1618:                             ;   in Loop: Header=BB6_354 Depth=4
	v_bfe_u32 v1, v0, 20, 1
	v_add_co_u32_e64 v1, s[40:41], v0, v1
	v_add_co_u32_e64 v24, s[40:41], -1, v1
; %bb.1619:                             ;   in Loop: Header=BB6_354 Depth=4
	s_or_b64 exec, exec, s[52:53]
	v_add_u32_e32 v1, 0xffffff81, v5
	v_mov_b32_e32 v5, 0xffffff82
	v_cndmask_b32_e32 v1, v1, v5, vcc
	v_lshrrev_b32_e32 v5, 23, v0
	v_add3_u32 v36, v36, v1, v5
	v_add_u32_e32 v25, 6, v36
	v_and_b32_e32 v1, 0xfffff, v24
	v_add_u32_e32 v0, v1, v0
	v_mov_b32_e32 v1, v53
	v_cmp_ne_u32_e32 vcc, 0, v25
                                        ; implicit-def: $vgpr5
	s_and_saveexec_b64 s[40:41], vcc
	s_xor_b64 s[40:41], exec, s[40:41]
; %bb.1620:                             ;   in Loop: Header=BB6_354 Depth=4
	v_cmp_lt_u64_e32 vcc, s[88:89], v[0:1]
	v_add_u32_e32 v5, 7, v36
	v_cndmask_b32_e64 v24, 0, 1, vcc
	v_lshrrev_b64 v[0:1], v24, v[0:1]
	v_cndmask_b32_e32 v5, v25, v5, vcc
; %bb.1621:                             ;   in Loop: Header=BB6_354 Depth=4
	s_andn2_saveexec_b64 s[40:41], s[40:41]
; %bb.1622:                             ;   in Loop: Header=BB6_354 Depth=4
	v_bfe_u32 v5, v0, 23, 1
; %bb.1623:                             ;   in Loop: Header=BB6_354 Depth=4
	s_or_b64 exec, exec, s[40:41]
	v_lshrrev_b64 v[0:1], 20, v[0:1]
	v_cmp_gt_i32_e32 vcc, 16, v5
	v_cndmask_b32_e32 v1, 0, v1, vcc
	v_cndmask_b32_e32 v0, 7, v0, vcc
	v_cmp_eq_u64_e64 s[40:41], 0, v[0:1]
	v_min_i32_e32 v1, 15, v5
	v_lshlrev_b32_e32 v1, 3, v1
	v_cmp_eq_u32_e32 vcc, 0, v5
	v_and_b32_e32 v1, 0xf8, v1
	v_and_or_b32 v0, v0, 7, v1
	s_and_b64 s[40:41], vcc, s[40:41]
	v_cndmask_b32_e64 v0, v0, 0, s[40:41]
	v_or_b32_e32 v59, v0, v3
.LBB6_1624:                             ;   in Loop: Header=BB6_354 Depth=4
	s_or_b64 exec, exec, s[50:51]
                                        ; implicit-def: $vgpr3
.LBB6_1625:                             ;   in Loop: Header=BB6_354 Depth=4
	s_andn2_saveexec_b64 s[40:41], s[48:49]
; %bb.1626:                             ;   in Loop: Header=BB6_354 Depth=4
	v_or_b32_e32 v59, 0x7e, v3
; %bb.1627:                             ;   in Loop: Header=BB6_354 Depth=4
	s_or_b64 exec, exec, s[40:41]
                                        ; implicit-def: $vgpr0
.LBB6_1628:                             ;   in Loop: Header=BB6_354 Depth=4
	s_andn2_saveexec_b64 s[40:41], s[38:39]
; %bb.1629:                             ;   in Loop: Header=BB6_354 Depth=4
	v_or_b32_sdwa v59, v0, s83 dst_sel:DWORD dst_unused:UNUSED_PAD src0_sel:BYTE_3 src1_sel:DWORD
; %bb.1630:                             ;   in Loop: Header=BB6_354 Depth=4
	s_or_b64 exec, exec, s[40:41]
	v_lshrrev_b16_e32 v5, 8, v52
	v_lshrrev_b16_e32 v3, 8, v2
	v_cmp_ne_u16_e64 s[40:41], 0, v5
	s_and_b64 vcc, exec, s[28:29]
	s_mov_b64 s[38:39], -1
                                        ; implicit-def: $vgpr0
	s_cbranch_vccnz .LBB6_1644
; %bb.1631:                             ;   in Loop: Header=BB6_354 Depth=4
	v_mov_b32_e32 v1, 0
	v_mov_b32_e32 v0, 0
	s_and_saveexec_b64 s[38:39], s[40:41]
	s_cbranch_execz .LBB6_1637
; %bb.1632:                             ;   in Loop: Header=BB6_354 Depth=4
	v_cmp_ne_u16_e32 vcc, s82, v5
	v_bfrev_b32_e32 v0, 1
	s_and_saveexec_b64 s[48:49], vcc
	s_cbranch_execz .LBB6_1636
; %bb.1633:                             ;   in Loop: Header=BB6_354 Depth=4
	v_and_b32_e32 v24, 0x7f, v5
	v_cmp_ne_u32_e32 vcc, s83, v24
	v_mov_b32_e32 v0, 0x7f800001
	s_and_saveexec_b64 s[50:51], vcc
	s_cbranch_execz .LBB6_1635
; %bb.1634:                             ;   in Loop: Header=BB6_354 Depth=4
	v_and_b32_e32 v0, 7, v5
	v_lshrrev_b32_e32 v28, 3, v24
	v_cmp_gt_u32_e32 vcc, 8, v24
	v_ffbh_u32_e32 v24, v0
	v_min_u32_e32 v29, 32, v24
	v_subrev_u32_e32 v24, 28, v29
	v_lshlrev_b64 v[24:25], v24, v[5:6]
	v_sub_u32_e32 v25, 29, v29
	v_and_b32_e32 v24, 7, v24
	v_cndmask_b32_e32 v25, v28, v25, vcc
	v_cndmask_b32_e32 v0, v0, v24, vcc
	v_lshlrev_b32_e32 v24, 16, v52
	v_bfrev_b32_e32 v28, 60
	v_lshlrev_b32_e32 v0, 20, v0
	v_and_b32_e32 v24, 0x80000000, v24
	v_lshl_add_u32 v25, v25, 23, v28
	v_or3_b32 v0, v24, v25, v0
.LBB6_1635:                             ;   in Loop: Header=BB6_354 Depth=4
	s_or_b64 exec, exec, s[50:51]
.LBB6_1636:                             ;   in Loop: Header=BB6_354 Depth=4
	s_or_b64 exec, exec, s[48:49]
.LBB6_1637:                             ;   in Loop: Header=BB6_354 Depth=4
	s_or_b64 exec, exec, s[38:39]
	v_cmp_ne_u16_e32 vcc, 0, v3
	s_and_saveexec_b64 s[38:39], vcc
	s_cbranch_execz .LBB6_1643
; %bb.1638:                             ;   in Loop: Header=BB6_354 Depth=4
	v_cmp_ne_u16_e32 vcc, s82, v3
	v_bfrev_b32_e32 v1, 1
	s_and_saveexec_b64 s[48:49], vcc
	s_cbranch_execz .LBB6_1642
; %bb.1639:                             ;   in Loop: Header=BB6_354 Depth=4
	v_and_b32_e32 v24, 0x7f, v3
	v_cmp_ne_u32_e32 vcc, s83, v24
	v_mov_b32_e32 v1, 0x7f800001
	s_and_saveexec_b64 s[50:51], vcc
	s_cbranch_execz .LBB6_1641
; %bb.1640:                             ;   in Loop: Header=BB6_354 Depth=4
	v_and_b32_e32 v1, 7, v3
	v_lshrrev_b32_e32 v28, 3, v24
	v_cmp_gt_u32_e32 vcc, 8, v24
	v_ffbh_u32_e32 v24, v1
	v_min_u32_e32 v29, 32, v24
	v_subrev_u32_e32 v24, 28, v29
	v_lshlrev_b64 v[24:25], v24, v[3:4]
	v_sub_u32_e32 v25, 29, v29
	v_and_b32_e32 v24, 7, v24
	v_cndmask_b32_e32 v25, v28, v25, vcc
	v_cndmask_b32_e32 v1, v1, v24, vcc
	v_lshlrev_b32_e32 v24, 16, v2
	v_bfrev_b32_e32 v28, 60
	v_lshlrev_b32_e32 v1, 20, v1
	v_and_b32_e32 v24, 0x80000000, v24
	v_lshl_add_u32 v25, v25, 23, v28
	v_or3_b32 v1, v24, v25, v1
.LBB6_1641:                             ;   in Loop: Header=BB6_354 Depth=4
	s_or_b64 exec, exec, s[50:51]
.LBB6_1642:                             ;   in Loop: Header=BB6_354 Depth=4
	s_or_b64 exec, exec, s[48:49]
.LBB6_1643:                             ;   in Loop: Header=BB6_354 Depth=4
	s_or_b64 exec, exec, s[38:39]
	v_max_f32_e32 v1, v1, v1
	v_max_f32_e32 v0, v0, v0
	;; [unrolled: 1-line block ×3, first 2 shown]
	s_mov_b64 s[38:39], 0
.LBB6_1644:                             ;   in Loop: Header=BB6_354 Depth=4
	s_and_b64 vcc, exec, s[38:39]
	s_cbranch_vccz .LBB6_1658
; %bb.1645:                             ;   in Loop: Header=BB6_354 Depth=4
	v_mov_b32_e32 v1, 0
	v_mov_b32_e32 v0, 0
	s_and_saveexec_b64 s[38:39], s[40:41]
	s_cbranch_execz .LBB6_1651
; %bb.1646:                             ;   in Loop: Header=BB6_354 Depth=4
	v_cmp_ne_u16_e32 vcc, s82, v5
	v_bfrev_b32_e32 v0, 1
	s_and_saveexec_b64 s[40:41], vcc
	s_cbranch_execz .LBB6_1650
; %bb.1647:                             ;   in Loop: Header=BB6_354 Depth=4
	v_and_b32_e32 v24, 0x7f, v5
	v_cmp_ne_u32_e32 vcc, s83, v24
	v_mov_b32_e32 v0, 0x7f800001
	s_and_saveexec_b64 s[48:49], vcc
	s_cbranch_execz .LBB6_1649
; %bb.1648:                             ;   in Loop: Header=BB6_354 Depth=4
	v_and_b32_e32 v0, 7, v5
	v_lshrrev_b32_e32 v28, 3, v24
	v_cmp_gt_u32_e32 vcc, 8, v24
	v_ffbh_u32_e32 v24, v0
	v_min_u32_e32 v29, 32, v24
	v_subrev_u32_e32 v24, 28, v29
	v_lshlrev_b64 v[24:25], v24, v[5:6]
	v_sub_u32_e32 v5, 29, v29
	v_and_b32_e32 v24, 7, v24
	v_cndmask_b32_e32 v5, v28, v5, vcc
	v_cndmask_b32_e32 v0, v0, v24, vcc
	v_lshlrev_b32_e32 v24, 16, v52
	v_bfrev_b32_e32 v25, 60
	v_lshlrev_b32_e32 v0, 20, v0
	v_and_b32_e32 v24, 0x80000000, v24
	v_lshl_add_u32 v5, v5, 23, v25
	v_or3_b32 v0, v24, v5, v0
.LBB6_1649:                             ;   in Loop: Header=BB6_354 Depth=4
	s_or_b64 exec, exec, s[48:49]
.LBB6_1650:                             ;   in Loop: Header=BB6_354 Depth=4
	s_or_b64 exec, exec, s[40:41]
.LBB6_1651:                             ;   in Loop: Header=BB6_354 Depth=4
	s_or_b64 exec, exec, s[38:39]
	v_cmp_ne_u16_e32 vcc, 0, v3
	s_and_saveexec_b64 s[40:41], vcc
	s_cbranch_execz .LBB6_1657
; %bb.1652:                             ;   in Loop: Header=BB6_354 Depth=4
	v_cmp_ne_u16_e32 vcc, s82, v3
	v_bfrev_b32_e32 v1, 1
	s_and_saveexec_b64 s[38:39], vcc
	s_cbranch_execz .LBB6_1656
; %bb.1653:                             ;   in Loop: Header=BB6_354 Depth=4
	v_and_b32_e32 v5, 0x7f, v3
	v_cmp_ne_u32_e32 vcc, s83, v5
	v_mov_b32_e32 v1, 0x7f800001
	s_and_saveexec_b64 s[48:49], vcc
	s_cbranch_execz .LBB6_1655
; %bb.1654:                             ;   in Loop: Header=BB6_354 Depth=4
	v_and_b32_e32 v1, 7, v3
	v_lshrrev_b32_e32 v28, 3, v5
	v_cmp_gt_u32_e32 vcc, 8, v5
	v_ffbh_u32_e32 v5, v1
	v_min_u32_e32 v5, 32, v5
	v_subrev_u32_e32 v24, 28, v5
	v_lshlrev_b64 v[24:25], v24, v[3:4]
	v_sub_u32_e32 v3, 29, v5
	v_and_b32_e32 v5, 7, v24
	v_cndmask_b32_e32 v3, v28, v3, vcc
	v_cndmask_b32_e32 v1, v1, v5, vcc
	v_lshlrev_b32_e32 v2, 16, v2
	v_bfrev_b32_e32 v5, 60
	v_lshlrev_b32_e32 v1, 20, v1
	v_and_b32_e32 v2, 0x80000000, v2
	v_lshl_add_u32 v3, v3, 23, v5
	v_or3_b32 v1, v2, v3, v1
.LBB6_1655:                             ;   in Loop: Header=BB6_354 Depth=4
	s_or_b64 exec, exec, s[48:49]
.LBB6_1656:                             ;   in Loop: Header=BB6_354 Depth=4
	s_or_b64 exec, exec, s[38:39]
.LBB6_1657:                             ;   in Loop: Header=BB6_354 Depth=4
	s_or_b64 exec, exec, s[40:41]
	v_max_f32_e32 v1, v1, v1
	v_max_f32_e32 v0, v0, v0
	v_min_f32_e32 v0, v0, v1
.LBB6_1658:                             ;   in Loop: Header=BB6_354 Depth=4
	v_and_b32_e32 v52, 0x7f800000, v0
	v_cmp_ne_u64_e32 vcc, s[76:77], v[52:53]
                                        ; implicit-def: $vgpr49
	s_and_saveexec_b64 s[40:41], vcc
	s_xor_b64 s[38:39], exec, s[40:41]
	s_cbranch_execz .LBB6_1672
; %bb.1659:                             ;   in Loop: Header=BB6_354 Depth=4
	v_and_b32_e32 v52, 0x7fffffff, v0
	v_cmp_gt_u64_e32 vcc, s[78:79], v[52:53]
	v_and_b32_sdwa v3, v0, s82 dst_sel:DWORD dst_unused:UNUSED_PAD src0_sel:BYTE_3 src1_sel:DWORD
                                        ; implicit-def: $vgpr49
	s_and_saveexec_b64 s[40:41], vcc
	s_xor_b64 s[48:49], exec, s[40:41]
	s_cbranch_execz .LBB6_1669
; %bb.1660:                             ;   in Loop: Header=BB6_354 Depth=4
	v_mov_b32_e32 v49, 0
	v_cmp_ne_u32_e32 vcc, 0, v0
	s_and_saveexec_b64 s[50:51], vcc
	s_cbranch_execz .LBB6_1668
; %bb.1661:                             ;   in Loop: Header=BB6_354 Depth=4
	v_bfe_u32 v5, v0, 23, 8
	v_and_b32_e32 v1, 0x7fffff, v0
	v_cmp_gt_u32_e64 s[40:41], s85, v5
	v_sub_u32_e32 v0, 0x79, v5
	v_cmp_eq_u32_e32 vcc, 0, v5
	v_cndmask_b32_e64 v0, 0, v0, s[40:41]
	v_mov_b32_e32 v24, 0x78
	v_cndmask_b32_e32 v24, v0, v24, vcc
	v_or_b32_e32 v2, 0x800000, v1
	v_add_u32_e32 v0, 20, v24
	v_cndmask_b32_e32 v52, v2, v1, vcc
	v_lshlrev_b64 v[0:1], v0, -1
	v_add_u32_e32 v2, 19, v24
	v_lshlrev_b64 v[36:37], v2, 1
	v_bfi_b32 v1, v1, 0, 0
	v_bfi_b32 v0, v0, 0, v52
	v_cmp_eq_u64_e64 s[40:41], v[0:1], v[36:37]
	v_lshrrev_b64 v[0:1], v24, v[52:53]
	v_mov_b32_e32 v2, v1
	v_mov_b32_e32 v1, v0
	s_and_saveexec_b64 s[52:53], s[40:41]
; %bb.1662:                             ;   in Loop: Header=BB6_354 Depth=4
	v_bfe_u32 v1, v0, 20, 1
	v_add_co_u32_e64 v1, s[40:41], v0, v1
	v_add_co_u32_e64 v1, s[40:41], -1, v1
; %bb.1663:                             ;   in Loop: Header=BB6_354 Depth=4
	s_or_b64 exec, exec, s[52:53]
	v_add_u32_e32 v2, 0xffffff81, v5
	v_mov_b32_e32 v5, 0xffffff82
	v_cndmask_b32_e32 v2, v2, v5, vcc
	v_lshrrev_b32_e32 v5, 23, v0
	v_add3_u32 v24, v24, v2, v5
	v_add_u32_e32 v5, 6, v24
	v_and_b32_e32 v1, 0xfffff, v1
	v_add_u32_e32 v52, v1, v0
	v_cmp_ne_u32_e32 vcc, 0, v5
                                        ; implicit-def: $vgpr0_vgpr1
                                        ; implicit-def: $vgpr2
	s_and_saveexec_b64 s[40:41], vcc
	s_xor_b64 s[40:41], exec, s[40:41]
; %bb.1664:                             ;   in Loop: Header=BB6_354 Depth=4
	v_cmp_lt_u64_e32 vcc, s[88:89], v[52:53]
	v_add_u32_e32 v0, 7, v24
	v_cndmask_b32_e32 v2, v5, v0, vcc
	v_cndmask_b32_e64 v0, 0, 1, vcc
	v_lshrrev_b64 v[0:1], v0, v[52:53]
; %bb.1665:                             ;   in Loop: Header=BB6_354 Depth=4
	s_andn2_saveexec_b64 s[40:41], s[40:41]
; %bb.1666:                             ;   in Loop: Header=BB6_354 Depth=4
	v_mov_b32_e32 v0, v52
	v_bfe_u32 v2, v52, 23, 1
	v_mov_b32_e32 v1, v53
; %bb.1667:                             ;   in Loop: Header=BB6_354 Depth=4
	s_or_b64 exec, exec, s[40:41]
	v_lshrrev_b64 v[0:1], 20, v[0:1]
	v_cmp_gt_i32_e32 vcc, 16, v2
	v_cndmask_b32_e32 v1, 0, v1, vcc
	v_cndmask_b32_e32 v0, 7, v0, vcc
	v_cmp_eq_u64_e64 s[40:41], 0, v[0:1]
	v_min_i32_e32 v1, 15, v2
	v_lshlrev_b32_e32 v1, 3, v1
	v_cmp_eq_u32_e32 vcc, 0, v2
	v_and_b32_e32 v1, 0xf8, v1
	v_and_or_b32 v0, v0, 7, v1
	s_and_b64 s[40:41], vcc, s[40:41]
	v_cndmask_b32_e64 v0, v0, 0, s[40:41]
	v_or_b32_e32 v49, v0, v3
.LBB6_1668:                             ;   in Loop: Header=BB6_354 Depth=4
	s_or_b64 exec, exec, s[50:51]
                                        ; implicit-def: $vgpr3
.LBB6_1669:                             ;   in Loop: Header=BB6_354 Depth=4
	s_andn2_saveexec_b64 s[40:41], s[48:49]
; %bb.1670:                             ;   in Loop: Header=BB6_354 Depth=4
	v_or_b32_e32 v49, 0x7e, v3
; %bb.1671:                             ;   in Loop: Header=BB6_354 Depth=4
	s_or_b64 exec, exec, s[40:41]
                                        ; implicit-def: $vgpr0
.LBB6_1672:                             ;   in Loop: Header=BB6_354 Depth=4
	s_andn2_saveexec_b64 s[40:41], s[38:39]
; %bb.1673:                             ;   in Loop: Header=BB6_354 Depth=4
	v_or_b32_sdwa v49, v0, s83 dst_sel:DWORD dst_unused:UNUSED_PAD src0_sel:BYTE_3 src1_sel:DWORD
; %bb.1674:                             ;   in Loop: Header=BB6_354 Depth=4
	s_or_b64 exec, exec, s[40:41]
	v_lshrrev_b32_e32 v2, 16, v35
	v_lshrrev_b32_e32 v0, 16, v27
	v_cmp_ne_u16_sdwa s[40:41], v2, v53 src0_sel:BYTE_0 src1_sel:DWORD
	s_and_b64 vcc, exec, s[28:29]
	s_mov_b64 s[38:39], -1
                                        ; implicit-def: $vgpr1
	s_cbranch_vccnz .LBB6_1688
; %bb.1675:                             ;   in Loop: Header=BB6_354 Depth=4
	v_mov_b32_e32 v3, 0
	v_mov_b32_e32 v1, 0
	s_and_saveexec_b64 s[38:39], s[40:41]
	s_cbranch_execz .LBB6_1681
; %bb.1676:                             ;   in Loop: Header=BB6_354 Depth=4
	v_cmp_ne_u16_sdwa vcc, v2, s82 src0_sel:BYTE_0 src1_sel:DWORD
	v_bfrev_b32_e32 v1, 1
	s_and_saveexec_b64 s[48:49], vcc
	s_cbranch_execz .LBB6_1680
; %bb.1677:                             ;   in Loop: Header=BB6_354 Depth=4
	v_bfe_u32 v5, v35, 16, 7
	v_cmp_ne_u32_e32 vcc, s83, v5
	v_mov_b32_e32 v1, 0x7f800001
	s_and_saveexec_b64 s[50:51], vcc
	s_cbranch_execz .LBB6_1679
; %bb.1678:                             ;   in Loop: Header=BB6_354 Depth=4
	v_and_b32_e32 v1, 7, v2
	v_lshrrev_b32_e32 v28, 3, v5
	v_cmp_gt_u32_e32 vcc, 8, v5
	v_ffbh_u32_e32 v5, v1
	v_min_u32_e32 v5, 32, v5
	v_subrev_u32_e32 v24, 28, v5
	v_lshlrev_b64 v[24:25], v24, v[2:3]
	v_sub_u32_e32 v5, 29, v5
	v_and_b32_e32 v24, 7, v24
	v_cndmask_b32_e32 v5, v28, v5, vcc
	v_cndmask_b32_e32 v1, v1, v24, vcc
	v_lshlrev_b32_e32 v24, 24, v2
	v_bfrev_b32_e32 v25, 60
	v_lshlrev_b32_e32 v1, 20, v1
	v_and_b32_e32 v24, 0x80000000, v24
	v_lshl_add_u32 v5, v5, 23, v25
	v_or3_b32 v1, v24, v5, v1
.LBB6_1679:                             ;   in Loop: Header=BB6_354 Depth=4
	s_or_b64 exec, exec, s[50:51]
.LBB6_1680:                             ;   in Loop: Header=BB6_354 Depth=4
	s_or_b64 exec, exec, s[48:49]
.LBB6_1681:                             ;   in Loop: Header=BB6_354 Depth=4
	s_or_b64 exec, exec, s[38:39]
	v_cmp_ne_u16_sdwa vcc, v0, v53 src0_sel:BYTE_0 src1_sel:DWORD
	s_and_saveexec_b64 s[38:39], vcc
	s_cbranch_execz .LBB6_1687
; %bb.1682:                             ;   in Loop: Header=BB6_354 Depth=4
	v_cmp_ne_u16_sdwa vcc, v0, s82 src0_sel:BYTE_0 src1_sel:DWORD
	v_bfrev_b32_e32 v3, 1
	s_and_saveexec_b64 s[48:49], vcc
	s_cbranch_execz .LBB6_1686
; %bb.1683:                             ;   in Loop: Header=BB6_354 Depth=4
	v_bfe_u32 v5, v27, 16, 7
	v_cmp_ne_u32_e32 vcc, s83, v5
	v_mov_b32_e32 v3, 0x7f800001
	s_and_saveexec_b64 s[50:51], vcc
	s_cbranch_execz .LBB6_1685
; %bb.1684:                             ;   in Loop: Header=BB6_354 Depth=4
	v_and_b32_e32 v3, 7, v0
	v_lshrrev_b32_e32 v28, 3, v5
	v_cmp_gt_u32_e32 vcc, 8, v5
	v_ffbh_u32_e32 v5, v3
	v_min_u32_e32 v5, 32, v5
	v_subrev_u32_e32 v24, 28, v5
	v_lshlrev_b64 v[24:25], v24, v[0:1]
	v_sub_u32_e32 v5, 29, v5
	v_and_b32_e32 v24, 7, v24
	v_cndmask_b32_e32 v5, v28, v5, vcc
	v_cndmask_b32_e32 v3, v3, v24, vcc
	v_lshlrev_b32_e32 v24, 24, v0
	v_bfrev_b32_e32 v25, 60
	v_lshlrev_b32_e32 v3, 20, v3
	v_and_b32_e32 v24, 0x80000000, v24
	v_lshl_add_u32 v5, v5, 23, v25
	v_or3_b32 v3, v24, v5, v3
.LBB6_1685:                             ;   in Loop: Header=BB6_354 Depth=4
	s_or_b64 exec, exec, s[50:51]
.LBB6_1686:                             ;   in Loop: Header=BB6_354 Depth=4
	s_or_b64 exec, exec, s[48:49]
.LBB6_1687:                             ;   in Loop: Header=BB6_354 Depth=4
	s_or_b64 exec, exec, s[38:39]
	v_max_f32_e32 v3, v3, v3
	v_max_f32_e32 v1, v1, v1
	v_max_f32_e32 v1, v1, v3
	s_mov_b64 s[38:39], 0
.LBB6_1688:                             ;   in Loop: Header=BB6_354 Depth=4
	s_and_b64 vcc, exec, s[38:39]
	s_cbranch_vccz .LBB6_1702
; %bb.1689:                             ;   in Loop: Header=BB6_354 Depth=4
	v_mov_b32_e32 v3, 0
	v_mov_b32_e32 v1, 0
	s_and_saveexec_b64 s[38:39], s[40:41]
	s_cbranch_execz .LBB6_1695
; %bb.1690:                             ;   in Loop: Header=BB6_354 Depth=4
	v_cmp_ne_u16_sdwa vcc, v2, s82 src0_sel:BYTE_0 src1_sel:DWORD
	v_bfrev_b32_e32 v1, 1
	s_and_saveexec_b64 s[40:41], vcc
	s_cbranch_execz .LBB6_1694
; %bb.1691:                             ;   in Loop: Header=BB6_354 Depth=4
	v_bfe_u32 v5, v35, 16, 7
	v_cmp_ne_u32_e32 vcc, s83, v5
	v_mov_b32_e32 v1, 0x7f800001
	s_and_saveexec_b64 s[48:49], vcc
	s_cbranch_execz .LBB6_1693
; %bb.1692:                             ;   in Loop: Header=BB6_354 Depth=4
	v_and_b32_e32 v1, 7, v2
	v_lshrrev_b32_e32 v28, 3, v5
	v_cmp_gt_u32_e32 vcc, 8, v5
	v_ffbh_u32_e32 v5, v1
	v_min_u32_e32 v5, 32, v5
	v_subrev_u32_e32 v24, 28, v5
	v_lshlrev_b64 v[24:25], v24, v[2:3]
	v_sub_u32_e32 v5, 29, v5
	v_and_b32_e32 v24, 7, v24
	v_cndmask_b32_e32 v5, v28, v5, vcc
	v_cndmask_b32_e32 v1, v1, v24, vcc
	v_lshlrev_b32_e32 v2, 24, v2
	v_bfrev_b32_e32 v24, 60
	v_lshlrev_b32_e32 v1, 20, v1
	v_and_b32_e32 v2, 0x80000000, v2
	v_lshl_add_u32 v5, v5, 23, v24
	v_or3_b32 v1, v2, v5, v1
.LBB6_1693:                             ;   in Loop: Header=BB6_354 Depth=4
	s_or_b64 exec, exec, s[48:49]
.LBB6_1694:                             ;   in Loop: Header=BB6_354 Depth=4
	s_or_b64 exec, exec, s[40:41]
.LBB6_1695:                             ;   in Loop: Header=BB6_354 Depth=4
	s_or_b64 exec, exec, s[38:39]
	v_cmp_ne_u16_sdwa vcc, v0, v53 src0_sel:BYTE_0 src1_sel:DWORD
	s_and_saveexec_b64 s[40:41], vcc
	s_cbranch_execz .LBB6_1701
; %bb.1696:                             ;   in Loop: Header=BB6_354 Depth=4
	v_cmp_ne_u16_sdwa vcc, v0, s82 src0_sel:BYTE_0 src1_sel:DWORD
	v_bfrev_b32_e32 v3, 1
	s_and_saveexec_b64 s[38:39], vcc
	s_cbranch_execz .LBB6_1700
; %bb.1697:                             ;   in Loop: Header=BB6_354 Depth=4
	v_bfe_u32 v2, v27, 16, 7
	v_cmp_ne_u32_e32 vcc, s83, v2
	v_mov_b32_e32 v3, 0x7f800001
	s_and_saveexec_b64 s[48:49], vcc
	s_cbranch_execz .LBB6_1699
; %bb.1698:                             ;   in Loop: Header=BB6_354 Depth=4
	v_and_b32_e32 v5, 7, v0
	v_lshrrev_b32_e32 v24, 3, v2
	v_cmp_gt_u32_e32 vcc, 8, v2
	v_ffbh_u32_e32 v2, v5
	v_min_u32_e32 v25, 32, v2
	v_subrev_u32_e32 v2, 28, v25
	v_lshlrev_b64 v[2:3], v2, v[0:1]
	v_sub_u32_e32 v3, 29, v25
	v_and_b32_e32 v2, 7, v2
	v_cndmask_b32_e32 v3, v24, v3, vcc
	v_cndmask_b32_e32 v2, v5, v2, vcc
	v_lshlrev_b32_e32 v0, 24, v0
	v_bfrev_b32_e32 v5, 60
	v_lshlrev_b32_e32 v2, 20, v2
	v_and_b32_e32 v0, 0x80000000, v0
	v_lshl_add_u32 v3, v3, 23, v5
	v_or3_b32 v3, v0, v3, v2
.LBB6_1699:                             ;   in Loop: Header=BB6_354 Depth=4
	s_or_b64 exec, exec, s[48:49]
.LBB6_1700:                             ;   in Loop: Header=BB6_354 Depth=4
	s_or_b64 exec, exec, s[38:39]
.LBB6_1701:                             ;   in Loop: Header=BB6_354 Depth=4
	s_or_b64 exec, exec, s[40:41]
	v_max_f32_e32 v0, v3, v3
	v_max_f32_e32 v1, v1, v1
	v_min_f32_e32 v1, v1, v0
.LBB6_1702:                             ;   in Loop: Header=BB6_354 Depth=4
	v_and_b32_e32 v52, 0x7f800000, v1
	v_cmp_ne_u64_e32 vcc, s[76:77], v[52:53]
                                        ; implicit-def: $vgpr29
	s_and_saveexec_b64 s[40:41], vcc
	s_xor_b64 s[38:39], exec, s[40:41]
	s_cbranch_execz .LBB6_1716
; %bb.1703:                             ;   in Loop: Header=BB6_354 Depth=4
	v_and_b32_e32 v52, 0x7fffffff, v1
	v_cmp_gt_u64_e32 vcc, s[78:79], v[52:53]
	v_and_b32_sdwa v3, v1, s82 dst_sel:DWORD dst_unused:UNUSED_PAD src0_sel:BYTE_3 src1_sel:DWORD
                                        ; implicit-def: $vgpr29
	s_and_saveexec_b64 s[40:41], vcc
	s_xor_b64 s[48:49], exec, s[40:41]
	s_cbranch_execz .LBB6_1713
; %bb.1704:                             ;   in Loop: Header=BB6_354 Depth=4
	v_mov_b32_e32 v29, 0
	v_cmp_ne_u32_e32 vcc, 0, v1
	s_and_saveexec_b64 s[50:51], vcc
	s_cbranch_execz .LBB6_1712
; %bb.1705:                             ;   in Loop: Header=BB6_354 Depth=4
	v_bfe_u32 v5, v1, 23, 8
	v_and_b32_e32 v0, 0x7fffff, v1
	v_cmp_gt_u32_e64 s[40:41], s85, v5
	v_sub_u32_e32 v1, 0x79, v5
	v_cmp_eq_u32_e32 vcc, 0, v5
	v_cndmask_b32_e64 v1, 0, v1, s[40:41]
	v_mov_b32_e32 v24, 0x78
	v_or_b32_e32 v2, 0x800000, v0
	v_cndmask_b32_e32 v24, v1, v24, vcc
	v_cndmask_b32_e32 v52, v2, v0, vcc
	v_add_u32_e32 v0, 20, v24
	v_lshlrev_b64 v[0:1], v0, -1
	v_add_u32_e32 v2, 19, v24
	v_lshlrev_b64 v[36:37], v2, 1
	v_bfi_b32 v1, v1, 0, 0
	v_bfi_b32 v0, v0, 0, v52
	v_cmp_eq_u64_e64 s[40:41], v[0:1], v[36:37]
	v_lshrrev_b64 v[0:1], v24, v[52:53]
	v_mov_b32_e32 v2, v1
	v_mov_b32_e32 v1, v0
	s_and_saveexec_b64 s[52:53], s[40:41]
; %bb.1706:                             ;   in Loop: Header=BB6_354 Depth=4
	v_bfe_u32 v1, v0, 20, 1
	v_add_co_u32_e64 v1, s[40:41], v0, v1
	v_add_co_u32_e64 v1, s[40:41], -1, v1
; %bb.1707:                             ;   in Loop: Header=BB6_354 Depth=4
	s_or_b64 exec, exec, s[52:53]
	v_add_u32_e32 v2, 0xffffff81, v5
	v_mov_b32_e32 v5, 0xffffff82
	v_cndmask_b32_e32 v2, v2, v5, vcc
	v_lshrrev_b32_e32 v5, 23, v0
	v_add3_u32 v24, v24, v2, v5
	v_add_u32_e32 v5, 6, v24
	v_and_b32_e32 v1, 0xfffff, v1
	v_add_u32_e32 v52, v1, v0
	v_cmp_ne_u32_e32 vcc, 0, v5
                                        ; implicit-def: $vgpr0_vgpr1
                                        ; implicit-def: $vgpr2
	s_and_saveexec_b64 s[40:41], vcc
	s_xor_b64 s[40:41], exec, s[40:41]
; %bb.1708:                             ;   in Loop: Header=BB6_354 Depth=4
	v_cmp_lt_u64_e32 vcc, s[88:89], v[52:53]
	v_add_u32_e32 v0, 7, v24
	v_cndmask_b32_e32 v2, v5, v0, vcc
	v_cndmask_b32_e64 v0, 0, 1, vcc
	v_lshrrev_b64 v[0:1], v0, v[52:53]
; %bb.1709:                             ;   in Loop: Header=BB6_354 Depth=4
	s_andn2_saveexec_b64 s[40:41], s[40:41]
; %bb.1710:                             ;   in Loop: Header=BB6_354 Depth=4
	v_mov_b32_e32 v0, v52
	v_bfe_u32 v2, v52, 23, 1
	v_mov_b32_e32 v1, v53
; %bb.1711:                             ;   in Loop: Header=BB6_354 Depth=4
	s_or_b64 exec, exec, s[40:41]
	v_lshrrev_b64 v[0:1], 20, v[0:1]
	v_cmp_gt_i32_e32 vcc, 16, v2
	v_cndmask_b32_e32 v1, 0, v1, vcc
	v_cndmask_b32_e32 v0, 7, v0, vcc
	v_cmp_eq_u64_e64 s[40:41], 0, v[0:1]
	v_min_i32_e32 v1, 15, v2
	v_lshlrev_b32_e32 v1, 3, v1
	v_cmp_eq_u32_e32 vcc, 0, v2
	v_and_b32_e32 v1, 0xf8, v1
	v_and_or_b32 v0, v0, 7, v1
	s_and_b64 s[40:41], vcc, s[40:41]
	v_cndmask_b32_e64 v0, v0, 0, s[40:41]
	v_or_b32_e32 v29, v0, v3
.LBB6_1712:                             ;   in Loop: Header=BB6_354 Depth=4
	s_or_b64 exec, exec, s[50:51]
                                        ; implicit-def: $vgpr3
.LBB6_1713:                             ;   in Loop: Header=BB6_354 Depth=4
	s_andn2_saveexec_b64 s[40:41], s[48:49]
; %bb.1714:                             ;   in Loop: Header=BB6_354 Depth=4
	v_or_b32_e32 v29, 0x7e, v3
; %bb.1715:                             ;   in Loop: Header=BB6_354 Depth=4
	s_or_b64 exec, exec, s[40:41]
                                        ; implicit-def: $vgpr1
.LBB6_1716:                             ;   in Loop: Header=BB6_354 Depth=4
	s_andn2_saveexec_b64 s[40:41], s[38:39]
; %bb.1717:                             ;   in Loop: Header=BB6_354 Depth=4
	v_or_b32_sdwa v29, v1, s83 dst_sel:DWORD dst_unused:UNUSED_PAD src0_sel:BYTE_3 src1_sel:DWORD
; %bb.1718:                             ;   in Loop: Header=BB6_354 Depth=4
	s_or_b64 exec, exec, s[40:41]
	v_cmp_lt_u64_e64 s[40:41], s[62:63], v[34:35]
	v_lshrrev_b32_e32 v2, 24, v35
	v_lshrrev_b32_e32 v0, 24, v27
	s_and_b64 vcc, exec, s[28:29]
	s_mov_b64 s[38:39], -1
                                        ; implicit-def: $vgpr1
	s_cbranch_vccnz .LBB6_1732
; %bb.1719:                             ;   in Loop: Header=BB6_354 Depth=4
	v_mov_b32_e32 v3, 0
	v_mov_b32_e32 v1, 0
	s_and_saveexec_b64 s[38:39], s[40:41]
	s_cbranch_execz .LBB6_1725
; %bb.1720:                             ;   in Loop: Header=BB6_354 Depth=4
	v_cmp_ne_u32_e32 vcc, s82, v2
	v_bfrev_b32_e32 v1, 1
	s_and_saveexec_b64 s[48:49], vcc
	s_cbranch_execz .LBB6_1724
; %bb.1721:                             ;   in Loop: Header=BB6_354 Depth=4
	v_bfe_u32 v5, v35, 24, 7
	v_cmp_ne_u32_e32 vcc, s83, v5
	v_mov_b32_e32 v1, 0x7f800001
	s_and_saveexec_b64 s[50:51], vcc
	s_cbranch_execz .LBB6_1723
; %bb.1722:                             ;   in Loop: Header=BB6_354 Depth=4
	v_and_b32_e32 v1, 7, v2
	v_lshrrev_b32_e32 v28, 3, v5
	v_cmp_gt_u32_e32 vcc, 8, v5
	v_ffbh_u32_e32 v5, v1
	v_min_u32_e32 v5, 32, v5
	v_subrev_u32_e32 v24, 28, v5
	v_lshlrev_b64 v[24:25], v24, v[2:3]
	v_sub_u32_e32 v5, 29, v5
	v_and_b32_e32 v24, 7, v24
	v_cndmask_b32_e32 v5, v28, v5, vcc
	v_cndmask_b32_e32 v1, v1, v24, vcc
	v_lshlrev_b32_e32 v24, 24, v2
	v_bfrev_b32_e32 v25, 60
	v_lshlrev_b32_e32 v1, 20, v1
	v_and_b32_e32 v24, 0x80000000, v24
	v_lshl_add_u32 v5, v5, 23, v25
	v_or3_b32 v1, v24, v5, v1
.LBB6_1723:                             ;   in Loop: Header=BB6_354 Depth=4
	s_or_b64 exec, exec, s[50:51]
.LBB6_1724:                             ;   in Loop: Header=BB6_354 Depth=4
	s_or_b64 exec, exec, s[48:49]
.LBB6_1725:                             ;   in Loop: Header=BB6_354 Depth=4
	s_or_b64 exec, exec, s[38:39]
	v_cmp_lt_u64_e32 vcc, s[62:63], v[26:27]
	s_and_saveexec_b64 s[38:39], vcc
	s_cbranch_execz .LBB6_1731
; %bb.1726:                             ;   in Loop: Header=BB6_354 Depth=4
	v_cmp_ne_u32_e32 vcc, s82, v0
	v_bfrev_b32_e32 v3, 1
	s_and_saveexec_b64 s[48:49], vcc
	s_cbranch_execz .LBB6_1730
; %bb.1727:                             ;   in Loop: Header=BB6_354 Depth=4
	v_bfe_u32 v5, v27, 24, 7
	v_cmp_ne_u32_e32 vcc, s83, v5
	v_mov_b32_e32 v3, 0x7f800001
	s_and_saveexec_b64 s[50:51], vcc
	s_cbranch_execz .LBB6_1729
; %bb.1728:                             ;   in Loop: Header=BB6_354 Depth=4
	v_and_b32_e32 v3, 7, v0
	v_lshrrev_b32_e32 v28, 3, v5
	v_cmp_gt_u32_e32 vcc, 8, v5
	v_ffbh_u32_e32 v5, v3
	v_min_u32_e32 v5, 32, v5
	v_subrev_u32_e32 v24, 28, v5
	v_lshlrev_b64 v[24:25], v24, v[0:1]
	v_sub_u32_e32 v5, 29, v5
	v_and_b32_e32 v24, 7, v24
	v_cndmask_b32_e32 v5, v28, v5, vcc
	v_cndmask_b32_e32 v3, v3, v24, vcc
	v_lshlrev_b32_e32 v24, 24, v0
	v_bfrev_b32_e32 v25, 60
	v_lshlrev_b32_e32 v3, 20, v3
	v_and_b32_e32 v24, 0x80000000, v24
	v_lshl_add_u32 v5, v5, 23, v25
	v_or3_b32 v3, v24, v5, v3
.LBB6_1729:                             ;   in Loop: Header=BB6_354 Depth=4
	s_or_b64 exec, exec, s[50:51]
.LBB6_1730:                             ;   in Loop: Header=BB6_354 Depth=4
	s_or_b64 exec, exec, s[48:49]
.LBB6_1731:                             ;   in Loop: Header=BB6_354 Depth=4
	s_or_b64 exec, exec, s[38:39]
	v_max_f32_e32 v3, v3, v3
	v_max_f32_e32 v1, v1, v1
	v_max_f32_e32 v1, v1, v3
	s_mov_b64 s[38:39], 0
.LBB6_1732:                             ;   in Loop: Header=BB6_354 Depth=4
	s_and_b64 vcc, exec, s[38:39]
	s_cbranch_vccz .LBB6_1746
; %bb.1733:                             ;   in Loop: Header=BB6_354 Depth=4
	v_mov_b32_e32 v3, 0
	v_mov_b32_e32 v1, 0
	s_and_saveexec_b64 s[38:39], s[40:41]
	s_cbranch_execz .LBB6_1739
; %bb.1734:                             ;   in Loop: Header=BB6_354 Depth=4
	v_cmp_ne_u32_e32 vcc, s82, v2
	v_bfrev_b32_e32 v1, 1
	s_and_saveexec_b64 s[40:41], vcc
	s_cbranch_execz .LBB6_1738
; %bb.1735:                             ;   in Loop: Header=BB6_354 Depth=4
	v_bfe_u32 v5, v35, 24, 7
	v_cmp_ne_u32_e32 vcc, s83, v5
	v_mov_b32_e32 v1, 0x7f800001
	s_and_saveexec_b64 s[48:49], vcc
	s_cbranch_execz .LBB6_1737
; %bb.1736:                             ;   in Loop: Header=BB6_354 Depth=4
	v_and_b32_e32 v1, 7, v2
	v_lshrrev_b32_e32 v28, 3, v5
	v_cmp_gt_u32_e32 vcc, 8, v5
	v_ffbh_u32_e32 v5, v1
	v_min_u32_e32 v5, 32, v5
	v_subrev_u32_e32 v24, 28, v5
	v_lshlrev_b64 v[24:25], v24, v[2:3]
	v_sub_u32_e32 v5, 29, v5
	v_and_b32_e32 v24, 7, v24
	v_cndmask_b32_e32 v5, v28, v5, vcc
	v_cndmask_b32_e32 v1, v1, v24, vcc
	v_lshlrev_b32_e32 v2, 24, v2
	v_bfrev_b32_e32 v24, 60
	v_lshlrev_b32_e32 v1, 20, v1
	v_and_b32_e32 v2, 0x80000000, v2
	v_lshl_add_u32 v5, v5, 23, v24
	v_or3_b32 v1, v2, v5, v1
.LBB6_1737:                             ;   in Loop: Header=BB6_354 Depth=4
	s_or_b64 exec, exec, s[48:49]
.LBB6_1738:                             ;   in Loop: Header=BB6_354 Depth=4
	s_or_b64 exec, exec, s[40:41]
.LBB6_1739:                             ;   in Loop: Header=BB6_354 Depth=4
	s_or_b64 exec, exec, s[38:39]
	v_cmp_lt_u64_e32 vcc, s[62:63], v[26:27]
	s_and_saveexec_b64 s[40:41], vcc
	s_cbranch_execz .LBB6_1745
; %bb.1740:                             ;   in Loop: Header=BB6_354 Depth=4
	v_cmp_ne_u32_e32 vcc, s82, v0
	v_bfrev_b32_e32 v3, 1
	s_and_saveexec_b64 s[38:39], vcc
	s_cbranch_execz .LBB6_1744
; %bb.1741:                             ;   in Loop: Header=BB6_354 Depth=4
	v_bfe_u32 v2, v27, 24, 7
	v_cmp_ne_u32_e32 vcc, s83, v2
	v_mov_b32_e32 v3, 0x7f800001
	s_and_saveexec_b64 s[48:49], vcc
	s_cbranch_execz .LBB6_1743
; %bb.1742:                             ;   in Loop: Header=BB6_354 Depth=4
	v_and_b32_e32 v5, 7, v0
	v_lshrrev_b32_e32 v24, 3, v2
	v_cmp_gt_u32_e32 vcc, 8, v2
	v_ffbh_u32_e32 v2, v5
	v_min_u32_e32 v25, 32, v2
	v_subrev_u32_e32 v2, 28, v25
	v_lshlrev_b64 v[2:3], v2, v[0:1]
	v_sub_u32_e32 v3, 29, v25
	v_and_b32_e32 v2, 7, v2
	v_cndmask_b32_e32 v3, v24, v3, vcc
	v_cndmask_b32_e32 v2, v5, v2, vcc
	v_lshlrev_b32_e32 v0, 24, v0
	v_bfrev_b32_e32 v5, 60
	v_lshlrev_b32_e32 v2, 20, v2
	v_and_b32_e32 v0, 0x80000000, v0
	v_lshl_add_u32 v3, v3, 23, v5
	v_or3_b32 v3, v0, v3, v2
.LBB6_1743:                             ;   in Loop: Header=BB6_354 Depth=4
	s_or_b64 exec, exec, s[48:49]
.LBB6_1744:                             ;   in Loop: Header=BB6_354 Depth=4
	s_or_b64 exec, exec, s[38:39]
.LBB6_1745:                             ;   in Loop: Header=BB6_354 Depth=4
	s_or_b64 exec, exec, s[40:41]
	v_max_f32_e32 v0, v3, v3
	v_max_f32_e32 v1, v1, v1
	v_min_f32_e32 v1, v1, v0
.LBB6_1746:                             ;   in Loop: Header=BB6_354 Depth=4
	v_and_b32_e32 v52, 0x7f800000, v1
	v_cmp_ne_u64_e32 vcc, s[76:77], v[52:53]
	buffer_store_dword v29, off, s[0:3], s33 offset:176 ; 4-byte Folded Spill
                                        ; implicit-def: $vgpr27
	s_and_saveexec_b64 s[40:41], vcc
	s_xor_b64 s[38:39], exec, s[40:41]
	s_cbranch_execz .LBB6_1760
; %bb.1747:                             ;   in Loop: Header=BB6_354 Depth=4
	v_and_b32_e32 v52, 0x7fffffff, v1
	v_cmp_gt_u64_e32 vcc, s[78:79], v[52:53]
	v_and_b32_sdwa v3, v1, s82 dst_sel:DWORD dst_unused:UNUSED_PAD src0_sel:BYTE_3 src1_sel:DWORD
                                        ; implicit-def: $vgpr27
	s_and_saveexec_b64 s[40:41], vcc
	s_xor_b64 s[48:49], exec, s[40:41]
	s_cbranch_execz .LBB6_1757
; %bb.1748:                             ;   in Loop: Header=BB6_354 Depth=4
	v_mov_b32_e32 v27, 0
	v_cmp_ne_u32_e32 vcc, 0, v1
	s_and_saveexec_b64 s[50:51], vcc
	s_cbranch_execz .LBB6_1756
; %bb.1749:                             ;   in Loop: Header=BB6_354 Depth=4
	v_bfe_u32 v5, v1, 23, 8
	v_and_b32_e32 v0, 0x7fffff, v1
	v_cmp_gt_u32_e64 s[40:41], s85, v5
	v_sub_u32_e32 v1, 0x79, v5
	v_cmp_eq_u32_e32 vcc, 0, v5
	v_cndmask_b32_e64 v1, 0, v1, s[40:41]
	v_mov_b32_e32 v24, 0x78
	v_or_b32_e32 v2, 0x800000, v0
	v_cndmask_b32_e32 v24, v1, v24, vcc
	v_cndmask_b32_e32 v52, v2, v0, vcc
	v_add_u32_e32 v0, 20, v24
	v_lshlrev_b64 v[0:1], v0, -1
	v_add_u32_e32 v2, 19, v24
	v_lshlrev_b64 v[25:26], v2, 1
	v_bfi_b32 v1, v1, 0, 0
	v_bfi_b32 v0, v0, 0, v52
	v_cmp_eq_u64_e64 s[40:41], v[0:1], v[25:26]
	v_lshrrev_b64 v[0:1], v24, v[52:53]
	v_mov_b32_e32 v2, v1
	v_mov_b32_e32 v1, v0
	s_and_saveexec_b64 s[52:53], s[40:41]
; %bb.1750:                             ;   in Loop: Header=BB6_354 Depth=4
	v_bfe_u32 v1, v0, 20, 1
	v_add_co_u32_e64 v1, s[40:41], v0, v1
	v_add_co_u32_e64 v1, s[40:41], -1, v1
; %bb.1751:                             ;   in Loop: Header=BB6_354 Depth=4
	s_or_b64 exec, exec, s[52:53]
	v_add_u32_e32 v2, 0xffffff81, v5
	v_mov_b32_e32 v5, 0xffffff82
	v_cndmask_b32_e32 v2, v2, v5, vcc
	v_lshrrev_b32_e32 v5, 23, v0
	v_add3_u32 v24, v24, v2, v5
	v_add_u32_e32 v5, 6, v24
	v_and_b32_e32 v1, 0xfffff, v1
	v_add_u32_e32 v52, v1, v0
	v_cmp_ne_u32_e32 vcc, 0, v5
                                        ; implicit-def: $vgpr0_vgpr1
                                        ; implicit-def: $vgpr2
	s_and_saveexec_b64 s[40:41], vcc
	s_xor_b64 s[40:41], exec, s[40:41]
; %bb.1752:                             ;   in Loop: Header=BB6_354 Depth=4
	v_cmp_lt_u64_e32 vcc, s[88:89], v[52:53]
	v_add_u32_e32 v0, 7, v24
	v_cndmask_b32_e32 v2, v5, v0, vcc
	v_cndmask_b32_e64 v0, 0, 1, vcc
	v_lshrrev_b64 v[0:1], v0, v[52:53]
; %bb.1753:                             ;   in Loop: Header=BB6_354 Depth=4
	s_andn2_saveexec_b64 s[40:41], s[40:41]
; %bb.1754:                             ;   in Loop: Header=BB6_354 Depth=4
	v_mov_b32_e32 v0, v52
	v_bfe_u32 v2, v52, 23, 1
	v_mov_b32_e32 v1, v53
; %bb.1755:                             ;   in Loop: Header=BB6_354 Depth=4
	s_or_b64 exec, exec, s[40:41]
	v_lshrrev_b64 v[0:1], 20, v[0:1]
	v_cmp_gt_i32_e32 vcc, 16, v2
	v_cndmask_b32_e32 v1, 0, v1, vcc
	v_cndmask_b32_e32 v0, 7, v0, vcc
	v_cmp_eq_u64_e64 s[40:41], 0, v[0:1]
	v_min_i32_e32 v1, 15, v2
	v_lshlrev_b32_e32 v1, 3, v1
	v_cmp_eq_u32_e32 vcc, 0, v2
	v_and_b32_e32 v1, 0xf8, v1
	v_and_or_b32 v0, v0, 7, v1
	s_and_b64 s[40:41], vcc, s[40:41]
	v_cndmask_b32_e64 v0, v0, 0, s[40:41]
	v_or_b32_e32 v27, v0, v3
.LBB6_1756:                             ;   in Loop: Header=BB6_354 Depth=4
	s_or_b64 exec, exec, s[50:51]
                                        ; implicit-def: $vgpr3
.LBB6_1757:                             ;   in Loop: Header=BB6_354 Depth=4
	s_andn2_saveexec_b64 s[40:41], s[48:49]
; %bb.1758:                             ;   in Loop: Header=BB6_354 Depth=4
	v_or_b32_e32 v27, 0x7e, v3
; %bb.1759:                             ;   in Loop: Header=BB6_354 Depth=4
	s_or_b64 exec, exec, s[40:41]
                                        ; implicit-def: $vgpr1
.LBB6_1760:                             ;   in Loop: Header=BB6_354 Depth=4
	s_andn2_saveexec_b64 s[40:41], s[38:39]
; %bb.1761:                             ;   in Loop: Header=BB6_354 Depth=4
	v_or_b32_sdwa v27, v1, s83 dst_sel:DWORD dst_unused:UNUSED_PAD src0_sel:BYTE_3 src1_sel:DWORD
; %bb.1762:                             ;   in Loop: Header=BB6_354 Depth=4
	s_or_b64 exec, exec, s[40:41]
	v_cmp_ne_u16_sdwa s[40:41], v20, v53 src0_sel:BYTE_0 src1_sel:DWORD
	s_and_b64 vcc, exec, s[28:29]
	s_mov_b64 s[38:39], -1
                                        ; implicit-def: $vgpr0
	s_cbranch_vccnz .LBB6_1776
; %bb.1763:                             ;   in Loop: Header=BB6_354 Depth=4
	v_mov_b32_e32 v1, 0
	v_mov_b32_e32 v0, 0
	s_and_saveexec_b64 s[38:39], s[40:41]
	s_cbranch_execz .LBB6_1769
; %bb.1764:                             ;   in Loop: Header=BB6_354 Depth=4
	v_cmp_ne_u16_sdwa vcc, v20, s82 src0_sel:BYTE_0 src1_sel:DWORD
	v_bfrev_b32_e32 v0, 1
	s_and_saveexec_b64 s[48:49], vcc
	s_cbranch_execz .LBB6_1768
; %bb.1765:                             ;   in Loop: Header=BB6_354 Depth=4
	v_and_b32_e32 v2, 0x7f, v20
	v_cmp_ne_u32_e32 vcc, s83, v2
	v_mov_b32_e32 v0, 0x7f800001
	s_and_saveexec_b64 s[50:51], vcc
	s_cbranch_execz .LBB6_1767
; %bb.1766:                             ;   in Loop: Header=BB6_354 Depth=4
	v_and_b32_e32 v0, 7, v20
	v_ffbh_u32_e32 v0, v0
	v_min_u32_e32 v0, 32, v0
	v_lshrrev_b32_e32 v3, 3, v2
	v_cmp_gt_u32_e32 vcc, 8, v2
	v_subrev_u32_e32 v2, 28, v0
	v_sub_u32_e32 v0, 29, v0
	v_cndmask_b32_e32 v2, 0, v2, vcc
	v_cndmask_b32_e32 v0, v3, v0, vcc
	v_lshlrev_b64 v[2:3], v2, v[20:21]
	v_lshlrev_b32_e32 v3, 24, v20
	v_lshlrev_b32_e32 v2, 20, v2
	v_bfrev_b32_e32 v5, 60
	v_and_b32_e32 v2, 0x700000, v2
	v_and_b32_e32 v3, 0x80000000, v3
	v_lshl_add_u32 v0, v0, 23, v5
	v_or3_b32 v0, v3, v0, v2
.LBB6_1767:                             ;   in Loop: Header=BB6_354 Depth=4
	s_or_b64 exec, exec, s[50:51]
.LBB6_1768:                             ;   in Loop: Header=BB6_354 Depth=4
	s_or_b64 exec, exec, s[48:49]
.LBB6_1769:                             ;   in Loop: Header=BB6_354 Depth=4
	s_or_b64 exec, exec, s[38:39]
	s_waitcnt vmcnt(21)
	v_cmp_ne_u16_sdwa vcc, v16, v53 src0_sel:BYTE_0 src1_sel:DWORD
	s_and_saveexec_b64 s[38:39], vcc
	s_cbranch_execz .LBB6_1775
; %bb.1770:                             ;   in Loop: Header=BB6_354 Depth=4
	v_cmp_ne_u16_sdwa vcc, v16, s82 src0_sel:BYTE_0 src1_sel:DWORD
	v_bfrev_b32_e32 v1, 1
	s_and_saveexec_b64 s[48:49], vcc
	s_cbranch_execz .LBB6_1774
; %bb.1771:                             ;   in Loop: Header=BB6_354 Depth=4
	v_and_b32_e32 v2, 0x7f, v16
	v_cmp_ne_u32_e32 vcc, s83, v2
	v_mov_b32_e32 v1, 0x7f800001
	s_and_saveexec_b64 s[50:51], vcc
	s_cbranch_execz .LBB6_1773
; %bb.1772:                             ;   in Loop: Header=BB6_354 Depth=4
	v_and_b32_e32 v1, 7, v16
	v_ffbh_u32_e32 v1, v1
	v_min_u32_e32 v1, 32, v1
	v_lshrrev_b32_e32 v3, 3, v2
	v_cmp_gt_u32_e32 vcc, 8, v2
	v_subrev_u32_e32 v2, 28, v1
	v_sub_u32_e32 v1, 29, v1
	v_cndmask_b32_e32 v3, v3, v1, vcc
	v_cndmask_b32_e32 v1, 0, v2, vcc
	v_lshlrev_b64 v[1:2], v1, v[16:17]
	v_lshlrev_b32_e32 v2, 24, v16
	v_lshlrev_b32_e32 v1, 20, v1
	v_bfrev_b32_e32 v5, 60
	v_and_b32_e32 v1, 0x700000, v1
	v_and_b32_e32 v2, 0x80000000, v2
	v_lshl_add_u32 v3, v3, 23, v5
	v_or3_b32 v1, v2, v3, v1
.LBB6_1773:                             ;   in Loop: Header=BB6_354 Depth=4
	s_or_b64 exec, exec, s[50:51]
.LBB6_1774:                             ;   in Loop: Header=BB6_354 Depth=4
	s_or_b64 exec, exec, s[48:49]
.LBB6_1775:                             ;   in Loop: Header=BB6_354 Depth=4
	s_or_b64 exec, exec, s[38:39]
	v_max_f32_e32 v1, v1, v1
	v_max_f32_e32 v0, v0, v0
	;; [unrolled: 1-line block ×3, first 2 shown]
	s_mov_b64 s[38:39], 0
.LBB6_1776:                             ;   in Loop: Header=BB6_354 Depth=4
	s_and_b64 vcc, exec, s[38:39]
	s_cbranch_vccz .LBB6_1790
; %bb.1777:                             ;   in Loop: Header=BB6_354 Depth=4
	v_mov_b32_e32 v1, 0
	v_mov_b32_e32 v0, 0
	s_and_saveexec_b64 s[38:39], s[40:41]
	s_cbranch_execz .LBB6_1783
; %bb.1778:                             ;   in Loop: Header=BB6_354 Depth=4
	v_cmp_ne_u16_sdwa vcc, v20, s82 src0_sel:BYTE_0 src1_sel:DWORD
	v_bfrev_b32_e32 v0, 1
	s_and_saveexec_b64 s[40:41], vcc
	s_cbranch_execz .LBB6_1782
; %bb.1779:                             ;   in Loop: Header=BB6_354 Depth=4
	v_and_b32_e32 v2, 0x7f, v20
	v_cmp_ne_u32_e32 vcc, s83, v2
	v_mov_b32_e32 v0, 0x7f800001
	s_and_saveexec_b64 s[48:49], vcc
	s_cbranch_execz .LBB6_1781
; %bb.1780:                             ;   in Loop: Header=BB6_354 Depth=4
	v_and_b32_e32 v0, 7, v20
	v_ffbh_u32_e32 v0, v0
	v_min_u32_e32 v0, 32, v0
	v_lshrrev_b32_e32 v3, 3, v2
	v_cmp_gt_u32_e32 vcc, 8, v2
	v_subrev_u32_e32 v2, 28, v0
	v_sub_u32_e32 v0, 29, v0
	v_cndmask_b32_e32 v2, 0, v2, vcc
	v_cndmask_b32_e32 v0, v3, v0, vcc
	v_lshlrev_b64 v[2:3], v2, v[20:21]
	v_lshlrev_b32_e32 v3, 24, v20
	v_lshlrev_b32_e32 v2, 20, v2
	v_bfrev_b32_e32 v5, 60
	v_and_b32_e32 v2, 0x700000, v2
	v_and_b32_e32 v3, 0x80000000, v3
	v_lshl_add_u32 v0, v0, 23, v5
	v_or3_b32 v0, v3, v0, v2
.LBB6_1781:                             ;   in Loop: Header=BB6_354 Depth=4
	s_or_b64 exec, exec, s[48:49]
.LBB6_1782:                             ;   in Loop: Header=BB6_354 Depth=4
	s_or_b64 exec, exec, s[40:41]
.LBB6_1783:                             ;   in Loop: Header=BB6_354 Depth=4
	s_or_b64 exec, exec, s[38:39]
	s_waitcnt vmcnt(21)
	v_cmp_ne_u16_sdwa vcc, v16, v53 src0_sel:BYTE_0 src1_sel:DWORD
	s_and_saveexec_b64 s[40:41], vcc
	s_cbranch_execz .LBB6_1789
; %bb.1784:                             ;   in Loop: Header=BB6_354 Depth=4
	v_cmp_ne_u16_sdwa vcc, v16, s82 src0_sel:BYTE_0 src1_sel:DWORD
	v_bfrev_b32_e32 v1, 1
	s_and_saveexec_b64 s[38:39], vcc
	s_cbranch_execz .LBB6_1788
; %bb.1785:                             ;   in Loop: Header=BB6_354 Depth=4
	v_and_b32_e32 v2, 0x7f, v16
	v_cmp_ne_u32_e32 vcc, s83, v2
	v_mov_b32_e32 v1, 0x7f800001
	s_and_saveexec_b64 s[48:49], vcc
	s_cbranch_execz .LBB6_1787
; %bb.1786:                             ;   in Loop: Header=BB6_354 Depth=4
	v_and_b32_e32 v1, 7, v16
	v_ffbh_u32_e32 v1, v1
	v_min_u32_e32 v1, 32, v1
	v_lshrrev_b32_e32 v3, 3, v2
	v_cmp_gt_u32_e32 vcc, 8, v2
	v_subrev_u32_e32 v2, 28, v1
	v_sub_u32_e32 v1, 29, v1
	v_cndmask_b32_e32 v3, v3, v1, vcc
	v_cndmask_b32_e32 v1, 0, v2, vcc
	v_lshlrev_b64 v[1:2], v1, v[16:17]
	v_lshlrev_b32_e32 v2, 24, v16
	v_lshlrev_b32_e32 v1, 20, v1
	v_bfrev_b32_e32 v5, 60
	v_and_b32_e32 v1, 0x700000, v1
	v_and_b32_e32 v2, 0x80000000, v2
	v_lshl_add_u32 v3, v3, 23, v5
	v_or3_b32 v1, v2, v3, v1
.LBB6_1787:                             ;   in Loop: Header=BB6_354 Depth=4
	s_or_b64 exec, exec, s[48:49]
.LBB6_1788:                             ;   in Loop: Header=BB6_354 Depth=4
	s_or_b64 exec, exec, s[38:39]
.LBB6_1789:                             ;   in Loop: Header=BB6_354 Depth=4
	s_or_b64 exec, exec, s[40:41]
	v_max_f32_e32 v1, v1, v1
	v_max_f32_e32 v0, v0, v0
	v_min_f32_e32 v0, v0, v1
.LBB6_1790:                             ;   in Loop: Header=BB6_354 Depth=4
	v_and_b32_e32 v52, 0x7f800000, v0
	v_cmp_ne_u64_e32 vcc, s[76:77], v[52:53]
                                        ; implicit-def: $vgpr26
	s_and_saveexec_b64 s[40:41], vcc
	s_xor_b64 s[38:39], exec, s[40:41]
	s_cbranch_execz .LBB6_1804
; %bb.1791:                             ;   in Loop: Header=BB6_354 Depth=4
	v_and_b32_e32 v52, 0x7fffffff, v0
	v_cmp_gt_u64_e32 vcc, s[78:79], v[52:53]
	v_and_b32_sdwa v3, v0, s82 dst_sel:DWORD dst_unused:UNUSED_PAD src0_sel:BYTE_3 src1_sel:DWORD
                                        ; implicit-def: $vgpr26
	s_and_saveexec_b64 s[40:41], vcc
	s_xor_b64 s[48:49], exec, s[40:41]
	s_cbranch_execz .LBB6_1801
; %bb.1792:                             ;   in Loop: Header=BB6_354 Depth=4
	v_mov_b32_e32 v26, 0
	v_cmp_ne_u32_e32 vcc, 0, v0
	s_and_saveexec_b64 s[50:51], vcc
	s_cbranch_execz .LBB6_1800
; %bb.1793:                             ;   in Loop: Header=BB6_354 Depth=4
	v_bfe_u32 v5, v0, 23, 8
	v_and_b32_e32 v1, 0x7fffff, v0
	v_cmp_gt_u32_e64 s[40:41], s85, v5
	v_sub_u32_e32 v0, 0x79, v5
	v_cmp_eq_u32_e32 vcc, 0, v5
	v_cndmask_b32_e64 v0, 0, v0, s[40:41]
	v_mov_b32_e32 v24, 0x78
	v_cndmask_b32_e32 v24, v0, v24, vcc
	v_or_b32_e32 v2, 0x800000, v1
	v_add_u32_e32 v0, 20, v24
	v_cndmask_b32_e32 v52, v2, v1, vcc
	v_lshlrev_b64 v[0:1], v0, -1
	v_add_u32_e32 v2, 19, v24
	v_lshlrev_b64 v[34:35], v2, 1
	v_bfi_b32 v1, v1, 0, 0
	v_bfi_b32 v0, v0, 0, v52
	v_cmp_eq_u64_e64 s[40:41], v[0:1], v[34:35]
	v_lshrrev_b64 v[0:1], v24, v[52:53]
	v_mov_b32_e32 v2, v1
	v_mov_b32_e32 v1, v0
	s_and_saveexec_b64 s[52:53], s[40:41]
; %bb.1794:                             ;   in Loop: Header=BB6_354 Depth=4
	v_bfe_u32 v1, v0, 20, 1
	v_add_co_u32_e64 v1, s[40:41], v0, v1
	v_add_co_u32_e64 v1, s[40:41], -1, v1
; %bb.1795:                             ;   in Loop: Header=BB6_354 Depth=4
	s_or_b64 exec, exec, s[52:53]
	v_add_u32_e32 v2, 0xffffff81, v5
	v_mov_b32_e32 v5, 0xffffff82
	v_cndmask_b32_e32 v2, v2, v5, vcc
	v_lshrrev_b32_e32 v5, 23, v0
	v_add3_u32 v24, v24, v2, v5
	v_add_u32_e32 v5, 6, v24
	v_and_b32_e32 v1, 0xfffff, v1
	v_add_u32_e32 v52, v1, v0
	v_cmp_ne_u32_e32 vcc, 0, v5
                                        ; implicit-def: $vgpr0_vgpr1
                                        ; implicit-def: $vgpr2
	s_and_saveexec_b64 s[40:41], vcc
	s_xor_b64 s[40:41], exec, s[40:41]
; %bb.1796:                             ;   in Loop: Header=BB6_354 Depth=4
	v_cmp_lt_u64_e32 vcc, s[88:89], v[52:53]
	v_add_u32_e32 v0, 7, v24
	v_cndmask_b32_e32 v2, v5, v0, vcc
	v_cndmask_b32_e64 v0, 0, 1, vcc
	v_lshrrev_b64 v[0:1], v0, v[52:53]
; %bb.1797:                             ;   in Loop: Header=BB6_354 Depth=4
	s_andn2_saveexec_b64 s[40:41], s[40:41]
; %bb.1798:                             ;   in Loop: Header=BB6_354 Depth=4
	v_mov_b32_e32 v0, v52
	v_bfe_u32 v2, v52, 23, 1
	v_mov_b32_e32 v1, v53
; %bb.1799:                             ;   in Loop: Header=BB6_354 Depth=4
	s_or_b64 exec, exec, s[40:41]
	v_lshrrev_b64 v[0:1], 20, v[0:1]
	v_cmp_gt_i32_e32 vcc, 16, v2
	v_cndmask_b32_e32 v1, 0, v1, vcc
	v_cndmask_b32_e32 v0, 7, v0, vcc
	v_cmp_eq_u64_e64 s[40:41], 0, v[0:1]
	v_min_i32_e32 v1, 15, v2
	v_lshlrev_b32_e32 v1, 3, v1
	v_cmp_eq_u32_e32 vcc, 0, v2
	v_and_b32_e32 v1, 0xf8, v1
	v_and_or_b32 v0, v0, 7, v1
	s_and_b64 s[40:41], vcc, s[40:41]
	v_cndmask_b32_e64 v0, v0, 0, s[40:41]
	v_or_b32_e32 v26, v0, v3
.LBB6_1800:                             ;   in Loop: Header=BB6_354 Depth=4
	s_or_b64 exec, exec, s[50:51]
                                        ; implicit-def: $vgpr3
.LBB6_1801:                             ;   in Loop: Header=BB6_354 Depth=4
	s_andn2_saveexec_b64 s[40:41], s[48:49]
; %bb.1802:                             ;   in Loop: Header=BB6_354 Depth=4
	v_or_b32_e32 v26, 0x7e, v3
; %bb.1803:                             ;   in Loop: Header=BB6_354 Depth=4
	s_or_b64 exec, exec, s[40:41]
                                        ; implicit-def: $vgpr0
.LBB6_1804:                             ;   in Loop: Header=BB6_354 Depth=4
	s_andn2_saveexec_b64 s[40:41], s[38:39]
; %bb.1805:                             ;   in Loop: Header=BB6_354 Depth=4
	v_or_b32_sdwa v26, v0, s83 dst_sel:DWORD dst_unused:UNUSED_PAD src0_sel:BYTE_3 src1_sel:DWORD
; %bb.1806:                             ;   in Loop: Header=BB6_354 Depth=4
	s_or_b64 exec, exec, s[40:41]
	v_lshrrev_b16_e32 v2, 8, v20
	s_waitcnt vmcnt(21)
	v_lshrrev_b16_e32 v0, 8, v16
	v_cmp_ne_u16_e64 s[40:41], 0, v2
	s_and_b64 vcc, exec, s[28:29]
	s_mov_b64 s[38:39], -1
                                        ; implicit-def: $vgpr1
	s_cbranch_vccnz .LBB6_1820
; %bb.1807:                             ;   in Loop: Header=BB6_354 Depth=4
	v_mov_b32_e32 v3, 0
	v_mov_b32_e32 v1, 0
	s_and_saveexec_b64 s[38:39], s[40:41]
	s_cbranch_execz .LBB6_1813
; %bb.1808:                             ;   in Loop: Header=BB6_354 Depth=4
	v_cmp_ne_u16_e32 vcc, s82, v2
	v_bfrev_b32_e32 v1, 1
	s_and_saveexec_b64 s[48:49], vcc
	s_cbranch_execz .LBB6_1812
; %bb.1809:                             ;   in Loop: Header=BB6_354 Depth=4
	v_and_b32_e32 v5, 0x7f, v2
	v_cmp_ne_u32_e32 vcc, s83, v5
	v_mov_b32_e32 v1, 0x7f800001
	s_and_saveexec_b64 s[50:51], vcc
	s_cbranch_execz .LBB6_1811
; %bb.1810:                             ;   in Loop: Header=BB6_354 Depth=4
	v_and_b32_e32 v1, 7, v2
	v_lshrrev_b32_e32 v28, 3, v5
	v_cmp_gt_u32_e32 vcc, 8, v5
	v_ffbh_u32_e32 v5, v1
	v_min_u32_e32 v5, 32, v5
	v_subrev_u32_e32 v24, 28, v5
	v_lshlrev_b64 v[24:25], v24, v[2:3]
	v_sub_u32_e32 v5, 29, v5
	v_and_b32_e32 v24, 7, v24
	v_cndmask_b32_e32 v5, v28, v5, vcc
	v_cndmask_b32_e32 v1, v1, v24, vcc
	v_lshlrev_b32_e32 v24, 16, v20
	v_bfrev_b32_e32 v25, 60
	v_lshlrev_b32_e32 v1, 20, v1
	v_and_b32_e32 v24, 0x80000000, v24
	v_lshl_add_u32 v5, v5, 23, v25
	v_or3_b32 v1, v24, v5, v1
.LBB6_1811:                             ;   in Loop: Header=BB6_354 Depth=4
	s_or_b64 exec, exec, s[50:51]
.LBB6_1812:                             ;   in Loop: Header=BB6_354 Depth=4
	s_or_b64 exec, exec, s[48:49]
.LBB6_1813:                             ;   in Loop: Header=BB6_354 Depth=4
	s_or_b64 exec, exec, s[38:39]
	v_cmp_ne_u16_e32 vcc, 0, v0
	s_and_saveexec_b64 s[38:39], vcc
	s_cbranch_execz .LBB6_1819
; %bb.1814:                             ;   in Loop: Header=BB6_354 Depth=4
	v_cmp_ne_u16_e32 vcc, s82, v0
	v_bfrev_b32_e32 v3, 1
	s_and_saveexec_b64 s[48:49], vcc
	s_cbranch_execz .LBB6_1818
; %bb.1815:                             ;   in Loop: Header=BB6_354 Depth=4
	v_and_b32_e32 v5, 0x7f, v0
	v_cmp_ne_u32_e32 vcc, s83, v5
	v_mov_b32_e32 v3, 0x7f800001
	s_and_saveexec_b64 s[50:51], vcc
	s_cbranch_execz .LBB6_1817
; %bb.1816:                             ;   in Loop: Header=BB6_354 Depth=4
	v_and_b32_e32 v3, 7, v0
	v_lshrrev_b32_e32 v28, 3, v5
	v_cmp_gt_u32_e32 vcc, 8, v5
	v_ffbh_u32_e32 v5, v3
	v_min_u32_e32 v5, 32, v5
	v_subrev_u32_e32 v24, 28, v5
	v_lshlrev_b64 v[24:25], v24, v[0:1]
	v_sub_u32_e32 v5, 29, v5
	v_and_b32_e32 v24, 7, v24
	v_cndmask_b32_e32 v5, v28, v5, vcc
	v_cndmask_b32_e32 v3, v3, v24, vcc
	v_lshlrev_b32_e32 v24, 16, v16
	v_bfrev_b32_e32 v25, 60
	v_lshlrev_b32_e32 v3, 20, v3
	v_and_b32_e32 v24, 0x80000000, v24
	v_lshl_add_u32 v5, v5, 23, v25
	v_or3_b32 v3, v24, v5, v3
.LBB6_1817:                             ;   in Loop: Header=BB6_354 Depth=4
	s_or_b64 exec, exec, s[50:51]
.LBB6_1818:                             ;   in Loop: Header=BB6_354 Depth=4
	s_or_b64 exec, exec, s[48:49]
.LBB6_1819:                             ;   in Loop: Header=BB6_354 Depth=4
	s_or_b64 exec, exec, s[38:39]
	v_max_f32_e32 v3, v3, v3
	v_max_f32_e32 v1, v1, v1
	;; [unrolled: 1-line block ×3, first 2 shown]
	s_mov_b64 s[38:39], 0
.LBB6_1820:                             ;   in Loop: Header=BB6_354 Depth=4
	s_and_b64 vcc, exec, s[38:39]
	s_cbranch_vccz .LBB6_1834
; %bb.1821:                             ;   in Loop: Header=BB6_354 Depth=4
	v_mov_b32_e32 v3, 0
	v_mov_b32_e32 v1, 0
	s_and_saveexec_b64 s[38:39], s[40:41]
	s_cbranch_execz .LBB6_1827
; %bb.1822:                             ;   in Loop: Header=BB6_354 Depth=4
	v_cmp_ne_u16_e32 vcc, s82, v2
	v_bfrev_b32_e32 v1, 1
	s_and_saveexec_b64 s[40:41], vcc
	s_cbranch_execz .LBB6_1826
; %bb.1823:                             ;   in Loop: Header=BB6_354 Depth=4
	v_and_b32_e32 v5, 0x7f, v2
	v_cmp_ne_u32_e32 vcc, s83, v5
	v_mov_b32_e32 v1, 0x7f800001
	s_and_saveexec_b64 s[48:49], vcc
	s_cbranch_execz .LBB6_1825
; %bb.1824:                             ;   in Loop: Header=BB6_354 Depth=4
	v_and_b32_e32 v24, 7, v2
	v_ffbh_u32_e32 v1, v24
	v_lshrrev_b32_e32 v25, 3, v5
	v_cmp_gt_u32_e32 vcc, 8, v5
	v_min_u32_e32 v5, 32, v1
	v_subrev_u32_e32 v1, 28, v5
	v_lshlrev_b64 v[1:2], v1, v[2:3]
	v_sub_u32_e32 v2, 29, v5
	v_and_b32_e32 v1, 7, v1
	v_cndmask_b32_e32 v2, v25, v2, vcc
	v_cndmask_b32_e32 v1, v24, v1, vcc
	v_lshlrev_b32_e32 v5, 16, v20
	v_bfrev_b32_e32 v24, 60
	v_lshlrev_b32_e32 v1, 20, v1
	v_and_b32_e32 v5, 0x80000000, v5
	v_lshl_add_u32 v2, v2, 23, v24
	v_or3_b32 v1, v5, v2, v1
.LBB6_1825:                             ;   in Loop: Header=BB6_354 Depth=4
	s_or_b64 exec, exec, s[48:49]
.LBB6_1826:                             ;   in Loop: Header=BB6_354 Depth=4
	s_or_b64 exec, exec, s[40:41]
.LBB6_1827:                             ;   in Loop: Header=BB6_354 Depth=4
	s_or_b64 exec, exec, s[38:39]
	v_cmp_ne_u16_e32 vcc, 0, v0
	s_and_saveexec_b64 s[40:41], vcc
	s_cbranch_execz .LBB6_1833
; %bb.1828:                             ;   in Loop: Header=BB6_354 Depth=4
	v_cmp_ne_u16_e32 vcc, s82, v0
	v_bfrev_b32_e32 v3, 1
	s_and_saveexec_b64 s[38:39], vcc
	s_cbranch_execz .LBB6_1832
; %bb.1829:                             ;   in Loop: Header=BB6_354 Depth=4
	v_and_b32_e32 v2, 0x7f, v0
	v_cmp_ne_u32_e32 vcc, s83, v2
	v_mov_b32_e32 v3, 0x7f800001
	s_and_saveexec_b64 s[48:49], vcc
	s_cbranch_execz .LBB6_1831
; %bb.1830:                             ;   in Loop: Header=BB6_354 Depth=4
	v_and_b32_e32 v5, 7, v0
	v_lshrrev_b32_e32 v24, 3, v2
	v_cmp_gt_u32_e32 vcc, 8, v2
	v_ffbh_u32_e32 v2, v5
	v_min_u32_e32 v25, 32, v2
	v_subrev_u32_e32 v2, 28, v25
	v_lshlrev_b64 v[2:3], v2, v[0:1]
	v_sub_u32_e32 v0, 29, v25
	v_and_b32_e32 v2, 7, v2
	v_cndmask_b32_e32 v0, v24, v0, vcc
	v_cndmask_b32_e32 v2, v5, v2, vcc
	v_lshlrev_b32_e32 v3, 16, v16
	v_bfrev_b32_e32 v5, 60
	v_lshlrev_b32_e32 v2, 20, v2
	v_and_b32_e32 v3, 0x80000000, v3
	v_lshl_add_u32 v0, v0, 23, v5
	v_or3_b32 v3, v3, v0, v2
.LBB6_1831:                             ;   in Loop: Header=BB6_354 Depth=4
	s_or_b64 exec, exec, s[48:49]
.LBB6_1832:                             ;   in Loop: Header=BB6_354 Depth=4
	s_or_b64 exec, exec, s[38:39]
.LBB6_1833:                             ;   in Loop: Header=BB6_354 Depth=4
	s_or_b64 exec, exec, s[40:41]
	v_max_f32_e32 v0, v3, v3
	v_max_f32_e32 v1, v1, v1
	v_min_f32_e32 v1, v1, v0
.LBB6_1834:                             ;   in Loop: Header=BB6_354 Depth=4
	v_and_b32_e32 v52, 0x7f800000, v1
	v_cmp_ne_u64_e32 vcc, s[76:77], v[52:53]
                                        ; implicit-def: $vgpr34
	s_and_saveexec_b64 s[40:41], vcc
	s_xor_b64 s[38:39], exec, s[40:41]
	s_cbranch_execz .LBB6_1848
; %bb.1835:                             ;   in Loop: Header=BB6_354 Depth=4
	v_and_b32_e32 v52, 0x7fffffff, v1
	v_cmp_gt_u64_e32 vcc, s[78:79], v[52:53]
	v_and_b32_sdwa v3, v1, s82 dst_sel:DWORD dst_unused:UNUSED_PAD src0_sel:BYTE_3 src1_sel:DWORD
                                        ; implicit-def: $vgpr34
	s_and_saveexec_b64 s[40:41], vcc
	s_xor_b64 s[48:49], exec, s[40:41]
	s_cbranch_execz .LBB6_1845
; %bb.1836:                             ;   in Loop: Header=BB6_354 Depth=4
	v_mov_b32_e32 v34, 0
	v_cmp_ne_u32_e32 vcc, 0, v1
	s_and_saveexec_b64 s[50:51], vcc
	s_cbranch_execz .LBB6_1844
; %bb.1837:                             ;   in Loop: Header=BB6_354 Depth=4
	v_bfe_u32 v5, v1, 23, 8
	v_and_b32_e32 v0, 0x7fffff, v1
	v_cmp_gt_u32_e64 s[40:41], s85, v5
	v_sub_u32_e32 v1, 0x79, v5
	v_cmp_eq_u32_e32 vcc, 0, v5
	v_cndmask_b32_e64 v1, 0, v1, s[40:41]
	v_mov_b32_e32 v24, 0x78
	v_or_b32_e32 v2, 0x800000, v0
	v_cndmask_b32_e32 v24, v1, v24, vcc
	v_cndmask_b32_e32 v52, v2, v0, vcc
	v_add_u32_e32 v0, 20, v24
	v_lshlrev_b64 v[0:1], v0, -1
	v_add_u32_e32 v2, 19, v24
	v_lshlrev_b64 v[34:35], v2, 1
	v_bfi_b32 v1, v1, 0, 0
	v_bfi_b32 v0, v0, 0, v52
	v_cmp_eq_u64_e64 s[40:41], v[0:1], v[34:35]
	v_lshrrev_b64 v[0:1], v24, v[52:53]
	v_mov_b32_e32 v2, v1
	v_mov_b32_e32 v1, v0
	s_and_saveexec_b64 s[52:53], s[40:41]
; %bb.1838:                             ;   in Loop: Header=BB6_354 Depth=4
	v_bfe_u32 v1, v0, 20, 1
	v_add_co_u32_e64 v1, s[40:41], v0, v1
	v_add_co_u32_e64 v1, s[40:41], -1, v1
; %bb.1839:                             ;   in Loop: Header=BB6_354 Depth=4
	s_or_b64 exec, exec, s[52:53]
	v_add_u32_e32 v2, 0xffffff81, v5
	v_mov_b32_e32 v5, 0xffffff82
	v_cndmask_b32_e32 v2, v2, v5, vcc
	v_lshrrev_b32_e32 v5, 23, v0
	v_add3_u32 v24, v24, v2, v5
	v_add_u32_e32 v5, 6, v24
	v_and_b32_e32 v1, 0xfffff, v1
	v_add_u32_e32 v52, v1, v0
	v_cmp_ne_u32_e32 vcc, 0, v5
                                        ; implicit-def: $vgpr0_vgpr1
                                        ; implicit-def: $vgpr2
	s_and_saveexec_b64 s[40:41], vcc
	s_xor_b64 s[40:41], exec, s[40:41]
; %bb.1840:                             ;   in Loop: Header=BB6_354 Depth=4
	v_cmp_lt_u64_e32 vcc, s[88:89], v[52:53]
	v_add_u32_e32 v0, 7, v24
	v_cndmask_b32_e32 v2, v5, v0, vcc
	v_cndmask_b32_e64 v0, 0, 1, vcc
	v_lshrrev_b64 v[0:1], v0, v[52:53]
; %bb.1841:                             ;   in Loop: Header=BB6_354 Depth=4
	s_andn2_saveexec_b64 s[40:41], s[40:41]
; %bb.1842:                             ;   in Loop: Header=BB6_354 Depth=4
	v_mov_b32_e32 v0, v52
	v_bfe_u32 v2, v52, 23, 1
	v_mov_b32_e32 v1, v53
; %bb.1843:                             ;   in Loop: Header=BB6_354 Depth=4
	s_or_b64 exec, exec, s[40:41]
	v_lshrrev_b64 v[0:1], 20, v[0:1]
	v_cmp_gt_i32_e32 vcc, 16, v2
	v_cndmask_b32_e32 v1, 0, v1, vcc
	v_cndmask_b32_e32 v0, 7, v0, vcc
	v_cmp_eq_u64_e64 s[40:41], 0, v[0:1]
	v_min_i32_e32 v1, 15, v2
	v_lshlrev_b32_e32 v1, 3, v1
	v_cmp_eq_u32_e32 vcc, 0, v2
	v_and_b32_e32 v1, 0xf8, v1
	v_and_or_b32 v0, v0, 7, v1
	s_and_b64 s[40:41], vcc, s[40:41]
	v_cndmask_b32_e64 v0, v0, 0, s[40:41]
	v_or_b32_e32 v34, v0, v3
.LBB6_1844:                             ;   in Loop: Header=BB6_354 Depth=4
	s_or_b64 exec, exec, s[50:51]
                                        ; implicit-def: $vgpr3
.LBB6_1845:                             ;   in Loop: Header=BB6_354 Depth=4
	s_andn2_saveexec_b64 s[40:41], s[48:49]
; %bb.1846:                             ;   in Loop: Header=BB6_354 Depth=4
	v_or_b32_e32 v34, 0x7e, v3
; %bb.1847:                             ;   in Loop: Header=BB6_354 Depth=4
	s_or_b64 exec, exec, s[40:41]
                                        ; implicit-def: $vgpr1
.LBB6_1848:                             ;   in Loop: Header=BB6_354 Depth=4
	s_andn2_saveexec_b64 s[40:41], s[38:39]
; %bb.1849:                             ;   in Loop: Header=BB6_354 Depth=4
	v_or_b32_sdwa v34, v1, s83 dst_sel:DWORD dst_unused:UNUSED_PAD src0_sel:BYTE_3 src1_sel:DWORD
; %bb.1850:                             ;   in Loop: Header=BB6_354 Depth=4
	s_or_b64 exec, exec, s[40:41]
	v_lshrrev_b32_e32 v2, 16, v20
	v_lshrrev_b32_e32 v0, 16, v16
	v_cmp_ne_u16_sdwa s[40:41], v2, v53 src0_sel:BYTE_0 src1_sel:DWORD
	s_and_b64 vcc, exec, s[28:29]
	s_mov_b64 s[38:39], -1
                                        ; implicit-def: $vgpr1
	s_cbranch_vccnz .LBB6_1864
; %bb.1851:                             ;   in Loop: Header=BB6_354 Depth=4
	v_mov_b32_e32 v3, 0
	v_mov_b32_e32 v1, 0
	s_and_saveexec_b64 s[38:39], s[40:41]
	s_cbranch_execz .LBB6_1857
; %bb.1852:                             ;   in Loop: Header=BB6_354 Depth=4
	v_cmp_ne_u16_sdwa vcc, v2, s82 src0_sel:BYTE_0 src1_sel:DWORD
	v_bfrev_b32_e32 v1, 1
	s_and_saveexec_b64 s[48:49], vcc
	s_cbranch_execz .LBB6_1856
; %bb.1853:                             ;   in Loop: Header=BB6_354 Depth=4
	v_bfe_u32 v5, v20, 16, 7
	v_cmp_ne_u32_e32 vcc, s83, v5
	v_mov_b32_e32 v1, 0x7f800001
	s_and_saveexec_b64 s[50:51], vcc
	s_cbranch_execz .LBB6_1855
; %bb.1854:                             ;   in Loop: Header=BB6_354 Depth=4
	v_and_b32_e32 v1, 7, v2
	v_lshrrev_b32_e32 v28, 3, v5
	v_cmp_gt_u32_e32 vcc, 8, v5
	v_ffbh_u32_e32 v5, v1
	v_min_u32_e32 v5, 32, v5
	v_subrev_u32_e32 v24, 28, v5
	v_lshlrev_b64 v[24:25], v24, v[2:3]
	v_sub_u32_e32 v5, 29, v5
	v_and_b32_e32 v24, 7, v24
	v_cndmask_b32_e32 v5, v28, v5, vcc
	v_cndmask_b32_e32 v1, v1, v24, vcc
	v_lshlrev_b32_e32 v24, 24, v2
	v_bfrev_b32_e32 v25, 60
	v_lshlrev_b32_e32 v1, 20, v1
	v_and_b32_e32 v24, 0x80000000, v24
	v_lshl_add_u32 v5, v5, 23, v25
	v_or3_b32 v1, v24, v5, v1
.LBB6_1855:                             ;   in Loop: Header=BB6_354 Depth=4
	s_or_b64 exec, exec, s[50:51]
.LBB6_1856:                             ;   in Loop: Header=BB6_354 Depth=4
	s_or_b64 exec, exec, s[48:49]
.LBB6_1857:                             ;   in Loop: Header=BB6_354 Depth=4
	s_or_b64 exec, exec, s[38:39]
	v_cmp_ne_u16_sdwa vcc, v0, v53 src0_sel:BYTE_0 src1_sel:DWORD
	s_and_saveexec_b64 s[38:39], vcc
	s_cbranch_execz .LBB6_1863
; %bb.1858:                             ;   in Loop: Header=BB6_354 Depth=4
	v_cmp_ne_u16_sdwa vcc, v0, s82 src0_sel:BYTE_0 src1_sel:DWORD
	v_bfrev_b32_e32 v3, 1
	s_and_saveexec_b64 s[48:49], vcc
	s_cbranch_execz .LBB6_1862
; %bb.1859:                             ;   in Loop: Header=BB6_354 Depth=4
	v_bfe_u32 v5, v16, 16, 7
	v_cmp_ne_u32_e32 vcc, s83, v5
	v_mov_b32_e32 v3, 0x7f800001
	s_and_saveexec_b64 s[50:51], vcc
	s_cbranch_execz .LBB6_1861
; %bb.1860:                             ;   in Loop: Header=BB6_354 Depth=4
	v_and_b32_e32 v3, 7, v0
	v_lshrrev_b32_e32 v28, 3, v5
	v_cmp_gt_u32_e32 vcc, 8, v5
	v_ffbh_u32_e32 v5, v3
	v_min_u32_e32 v5, 32, v5
	v_subrev_u32_e32 v24, 28, v5
	v_lshlrev_b64 v[24:25], v24, v[0:1]
	v_sub_u32_e32 v5, 29, v5
	v_and_b32_e32 v24, 7, v24
	v_cndmask_b32_e32 v5, v28, v5, vcc
	v_cndmask_b32_e32 v3, v3, v24, vcc
	v_lshlrev_b32_e32 v24, 24, v0
	v_bfrev_b32_e32 v25, 60
	v_lshlrev_b32_e32 v3, 20, v3
	v_and_b32_e32 v24, 0x80000000, v24
	v_lshl_add_u32 v5, v5, 23, v25
	v_or3_b32 v3, v24, v5, v3
.LBB6_1861:                             ;   in Loop: Header=BB6_354 Depth=4
	s_or_b64 exec, exec, s[50:51]
.LBB6_1862:                             ;   in Loop: Header=BB6_354 Depth=4
	s_or_b64 exec, exec, s[48:49]
.LBB6_1863:                             ;   in Loop: Header=BB6_354 Depth=4
	s_or_b64 exec, exec, s[38:39]
	v_max_f32_e32 v3, v3, v3
	v_max_f32_e32 v1, v1, v1
	v_max_f32_e32 v1, v1, v3
	s_mov_b64 s[38:39], 0
.LBB6_1864:                             ;   in Loop: Header=BB6_354 Depth=4
	s_and_b64 vcc, exec, s[38:39]
	s_cbranch_vccz .LBB6_1878
; %bb.1865:                             ;   in Loop: Header=BB6_354 Depth=4
	v_mov_b32_e32 v3, 0
	v_mov_b32_e32 v1, 0
	s_and_saveexec_b64 s[38:39], s[40:41]
	s_cbranch_execz .LBB6_1871
; %bb.1866:                             ;   in Loop: Header=BB6_354 Depth=4
	v_cmp_ne_u16_sdwa vcc, v2, s82 src0_sel:BYTE_0 src1_sel:DWORD
	v_bfrev_b32_e32 v1, 1
	s_and_saveexec_b64 s[40:41], vcc
	s_cbranch_execz .LBB6_1870
; %bb.1867:                             ;   in Loop: Header=BB6_354 Depth=4
	v_bfe_u32 v5, v20, 16, 7
	v_cmp_ne_u32_e32 vcc, s83, v5
	v_mov_b32_e32 v1, 0x7f800001
	s_and_saveexec_b64 s[48:49], vcc
	s_cbranch_execz .LBB6_1869
; %bb.1868:                             ;   in Loop: Header=BB6_354 Depth=4
	v_and_b32_e32 v1, 7, v2
	v_lshrrev_b32_e32 v28, 3, v5
	v_cmp_gt_u32_e32 vcc, 8, v5
	v_ffbh_u32_e32 v5, v1
	v_min_u32_e32 v5, 32, v5
	v_subrev_u32_e32 v24, 28, v5
	v_lshlrev_b64 v[24:25], v24, v[2:3]
	v_sub_u32_e32 v5, 29, v5
	v_and_b32_e32 v24, 7, v24
	v_cndmask_b32_e32 v5, v28, v5, vcc
	v_cndmask_b32_e32 v1, v1, v24, vcc
	v_lshlrev_b32_e32 v2, 24, v2
	v_bfrev_b32_e32 v24, 60
	v_lshlrev_b32_e32 v1, 20, v1
	v_and_b32_e32 v2, 0x80000000, v2
	v_lshl_add_u32 v5, v5, 23, v24
	v_or3_b32 v1, v2, v5, v1
.LBB6_1869:                             ;   in Loop: Header=BB6_354 Depth=4
	s_or_b64 exec, exec, s[48:49]
.LBB6_1870:                             ;   in Loop: Header=BB6_354 Depth=4
	s_or_b64 exec, exec, s[40:41]
.LBB6_1871:                             ;   in Loop: Header=BB6_354 Depth=4
	s_or_b64 exec, exec, s[38:39]
	v_cmp_ne_u16_sdwa vcc, v0, v53 src0_sel:BYTE_0 src1_sel:DWORD
	s_and_saveexec_b64 s[40:41], vcc
	s_cbranch_execz .LBB6_1877
; %bb.1872:                             ;   in Loop: Header=BB6_354 Depth=4
	v_cmp_ne_u16_sdwa vcc, v0, s82 src0_sel:BYTE_0 src1_sel:DWORD
	v_bfrev_b32_e32 v3, 1
	s_and_saveexec_b64 s[38:39], vcc
	s_cbranch_execz .LBB6_1876
; %bb.1873:                             ;   in Loop: Header=BB6_354 Depth=4
	v_bfe_u32 v2, v16, 16, 7
	v_cmp_ne_u32_e32 vcc, s83, v2
	v_mov_b32_e32 v3, 0x7f800001
	s_and_saveexec_b64 s[48:49], vcc
	s_cbranch_execz .LBB6_1875
; %bb.1874:                             ;   in Loop: Header=BB6_354 Depth=4
	v_and_b32_e32 v5, 7, v0
	v_lshrrev_b32_e32 v24, 3, v2
	v_cmp_gt_u32_e32 vcc, 8, v2
	v_ffbh_u32_e32 v2, v5
	v_min_u32_e32 v25, 32, v2
	v_subrev_u32_e32 v2, 28, v25
	v_lshlrev_b64 v[2:3], v2, v[0:1]
	v_sub_u32_e32 v3, 29, v25
	v_and_b32_e32 v2, 7, v2
	v_cndmask_b32_e32 v3, v24, v3, vcc
	v_cndmask_b32_e32 v2, v5, v2, vcc
	v_lshlrev_b32_e32 v0, 24, v0
	v_bfrev_b32_e32 v5, 60
	v_lshlrev_b32_e32 v2, 20, v2
	v_and_b32_e32 v0, 0x80000000, v0
	v_lshl_add_u32 v3, v3, 23, v5
	v_or3_b32 v3, v0, v3, v2
.LBB6_1875:                             ;   in Loop: Header=BB6_354 Depth=4
	s_or_b64 exec, exec, s[48:49]
.LBB6_1876:                             ;   in Loop: Header=BB6_354 Depth=4
	s_or_b64 exec, exec, s[38:39]
.LBB6_1877:                             ;   in Loop: Header=BB6_354 Depth=4
	s_or_b64 exec, exec, s[40:41]
	v_max_f32_e32 v0, v3, v3
	v_max_f32_e32 v1, v1, v1
	v_min_f32_e32 v1, v1, v0
.LBB6_1878:                             ;   in Loop: Header=BB6_354 Depth=4
	v_and_b32_e32 v52, 0x7f800000, v1
	v_cmp_ne_u64_e32 vcc, s[76:77], v[52:53]
                                        ; implicit-def: $vgpr43
	s_and_saveexec_b64 s[40:41], vcc
	s_xor_b64 s[38:39], exec, s[40:41]
	s_cbranch_execz .LBB6_1892
; %bb.1879:                             ;   in Loop: Header=BB6_354 Depth=4
	v_and_b32_e32 v52, 0x7fffffff, v1
	v_cmp_gt_u64_e32 vcc, s[78:79], v[52:53]
	v_and_b32_sdwa v3, v1, s82 dst_sel:DWORD dst_unused:UNUSED_PAD src0_sel:BYTE_3 src1_sel:DWORD
                                        ; implicit-def: $vgpr43
	s_and_saveexec_b64 s[40:41], vcc
	s_xor_b64 s[48:49], exec, s[40:41]
	s_cbranch_execz .LBB6_1889
; %bb.1880:                             ;   in Loop: Header=BB6_354 Depth=4
	v_mov_b32_e32 v43, 0
	v_cmp_ne_u32_e32 vcc, 0, v1
	s_and_saveexec_b64 s[50:51], vcc
	s_cbranch_execz .LBB6_1888
; %bb.1881:                             ;   in Loop: Header=BB6_354 Depth=4
	v_bfe_u32 v5, v1, 23, 8
	v_and_b32_e32 v0, 0x7fffff, v1
	v_cmp_gt_u32_e64 s[40:41], s85, v5
	v_sub_u32_e32 v1, 0x79, v5
	v_cmp_eq_u32_e32 vcc, 0, v5
	v_cndmask_b32_e64 v1, 0, v1, s[40:41]
	v_mov_b32_e32 v24, 0x78
	v_or_b32_e32 v2, 0x800000, v0
	v_cndmask_b32_e32 v24, v1, v24, vcc
	v_cndmask_b32_e32 v52, v2, v0, vcc
	v_add_u32_e32 v0, 20, v24
	v_lshlrev_b64 v[0:1], v0, -1
	v_add_u32_e32 v2, 19, v24
	v_lshlrev_b64 v[35:36], v2, 1
	v_bfi_b32 v1, v1, 0, 0
	v_bfi_b32 v0, v0, 0, v52
	v_cmp_eq_u64_e64 s[40:41], v[0:1], v[35:36]
	v_lshrrev_b64 v[0:1], v24, v[52:53]
	v_mov_b32_e32 v2, v1
	v_mov_b32_e32 v1, v0
	s_and_saveexec_b64 s[52:53], s[40:41]
; %bb.1882:                             ;   in Loop: Header=BB6_354 Depth=4
	v_bfe_u32 v1, v0, 20, 1
	v_add_co_u32_e64 v1, s[40:41], v0, v1
	v_add_co_u32_e64 v1, s[40:41], -1, v1
; %bb.1883:                             ;   in Loop: Header=BB6_354 Depth=4
	s_or_b64 exec, exec, s[52:53]
	v_add_u32_e32 v2, 0xffffff81, v5
	v_mov_b32_e32 v5, 0xffffff82
	v_cndmask_b32_e32 v2, v2, v5, vcc
	v_lshrrev_b32_e32 v5, 23, v0
	v_add3_u32 v24, v24, v2, v5
	v_add_u32_e32 v5, 6, v24
	v_and_b32_e32 v1, 0xfffff, v1
	v_add_u32_e32 v52, v1, v0
	v_cmp_ne_u32_e32 vcc, 0, v5
                                        ; implicit-def: $vgpr0_vgpr1
                                        ; implicit-def: $vgpr2
	s_and_saveexec_b64 s[40:41], vcc
	s_xor_b64 s[40:41], exec, s[40:41]
; %bb.1884:                             ;   in Loop: Header=BB6_354 Depth=4
	v_cmp_lt_u64_e32 vcc, s[88:89], v[52:53]
	v_add_u32_e32 v0, 7, v24
	v_cndmask_b32_e32 v2, v5, v0, vcc
	v_cndmask_b32_e64 v0, 0, 1, vcc
	v_lshrrev_b64 v[0:1], v0, v[52:53]
; %bb.1885:                             ;   in Loop: Header=BB6_354 Depth=4
	s_andn2_saveexec_b64 s[40:41], s[40:41]
; %bb.1886:                             ;   in Loop: Header=BB6_354 Depth=4
	v_mov_b32_e32 v0, v52
	v_bfe_u32 v2, v52, 23, 1
	v_mov_b32_e32 v1, v53
; %bb.1887:                             ;   in Loop: Header=BB6_354 Depth=4
	s_or_b64 exec, exec, s[40:41]
	v_lshrrev_b64 v[0:1], 20, v[0:1]
	v_cmp_gt_i32_e32 vcc, 16, v2
	v_cndmask_b32_e32 v1, 0, v1, vcc
	v_cndmask_b32_e32 v0, 7, v0, vcc
	v_cmp_eq_u64_e64 s[40:41], 0, v[0:1]
	v_min_i32_e32 v1, 15, v2
	v_lshlrev_b32_e32 v1, 3, v1
	v_cmp_eq_u32_e32 vcc, 0, v2
	v_and_b32_e32 v1, 0xf8, v1
	v_and_or_b32 v0, v0, 7, v1
	s_and_b64 s[40:41], vcc, s[40:41]
	v_cndmask_b32_e64 v0, v0, 0, s[40:41]
	v_or_b32_e32 v43, v0, v3
.LBB6_1888:                             ;   in Loop: Header=BB6_354 Depth=4
	s_or_b64 exec, exec, s[50:51]
                                        ; implicit-def: $vgpr3
.LBB6_1889:                             ;   in Loop: Header=BB6_354 Depth=4
	s_andn2_saveexec_b64 s[40:41], s[48:49]
; %bb.1890:                             ;   in Loop: Header=BB6_354 Depth=4
	v_or_b32_e32 v43, 0x7e, v3
; %bb.1891:                             ;   in Loop: Header=BB6_354 Depth=4
	s_or_b64 exec, exec, s[40:41]
                                        ; implicit-def: $vgpr1
.LBB6_1892:                             ;   in Loop: Header=BB6_354 Depth=4
	s_andn2_saveexec_b64 s[40:41], s[38:39]
; %bb.1893:                             ;   in Loop: Header=BB6_354 Depth=4
	v_or_b32_sdwa v43, v1, s83 dst_sel:DWORD dst_unused:UNUSED_PAD src0_sel:BYTE_3 src1_sel:DWORD
; %bb.1894:                             ;   in Loop: Header=BB6_354 Depth=4
	s_or_b64 exec, exec, s[40:41]
	v_lshrrev_b32_e32 v2, 24, v20
	v_lshrrev_b32_e32 v0, 24, v16
	v_cmp_lt_u32_e64 s[40:41], s63, v20
	s_and_b64 vcc, exec, s[28:29]
	s_mov_b64 s[38:39], -1
                                        ; implicit-def: $vgpr1
	s_cbranch_vccnz .LBB6_1908
; %bb.1895:                             ;   in Loop: Header=BB6_354 Depth=4
	v_mov_b32_e32 v3, 0
	v_mov_b32_e32 v1, 0
	s_and_saveexec_b64 s[38:39], s[40:41]
	s_cbranch_execz .LBB6_1901
; %bb.1896:                             ;   in Loop: Header=BB6_354 Depth=4
	v_cmp_ne_u32_e32 vcc, s82, v2
	v_bfrev_b32_e32 v1, 1
	s_and_saveexec_b64 s[48:49], vcc
	s_cbranch_execz .LBB6_1900
; %bb.1897:                             ;   in Loop: Header=BB6_354 Depth=4
	v_bfe_u32 v5, v20, 24, 7
	v_cmp_ne_u32_e32 vcc, s83, v5
	v_mov_b32_e32 v1, 0x7f800001
	s_and_saveexec_b64 s[50:51], vcc
	s_cbranch_execz .LBB6_1899
; %bb.1898:                             ;   in Loop: Header=BB6_354 Depth=4
	v_and_b32_e32 v1, 7, v2
	v_lshrrev_b32_e32 v28, 3, v5
	v_cmp_gt_u32_e32 vcc, 8, v5
	v_ffbh_u32_e32 v5, v1
	v_min_u32_e32 v5, 32, v5
	v_subrev_u32_e32 v24, 28, v5
	v_lshlrev_b64 v[24:25], v24, v[2:3]
	v_sub_u32_e32 v5, 29, v5
	v_and_b32_e32 v24, 7, v24
	v_cndmask_b32_e32 v5, v28, v5, vcc
	v_cndmask_b32_e32 v1, v1, v24, vcc
	v_lshlrev_b32_e32 v24, 24, v2
	v_bfrev_b32_e32 v25, 60
	v_lshlrev_b32_e32 v1, 20, v1
	v_and_b32_e32 v24, 0x80000000, v24
	v_lshl_add_u32 v5, v5, 23, v25
	v_or3_b32 v1, v24, v5, v1
.LBB6_1899:                             ;   in Loop: Header=BB6_354 Depth=4
	s_or_b64 exec, exec, s[50:51]
.LBB6_1900:                             ;   in Loop: Header=BB6_354 Depth=4
	s_or_b64 exec, exec, s[48:49]
.LBB6_1901:                             ;   in Loop: Header=BB6_354 Depth=4
	s_or_b64 exec, exec, s[38:39]
	v_cmp_lt_u32_e32 vcc, s63, v16
	s_and_saveexec_b64 s[38:39], vcc
	s_cbranch_execz .LBB6_1907
; %bb.1902:                             ;   in Loop: Header=BB6_354 Depth=4
	v_cmp_ne_u32_e32 vcc, s82, v0
	v_bfrev_b32_e32 v3, 1
	s_and_saveexec_b64 s[48:49], vcc
	s_cbranch_execz .LBB6_1906
; %bb.1903:                             ;   in Loop: Header=BB6_354 Depth=4
	v_bfe_u32 v5, v16, 24, 7
	v_cmp_ne_u32_e32 vcc, s83, v5
	v_mov_b32_e32 v3, 0x7f800001
	s_and_saveexec_b64 s[50:51], vcc
	s_cbranch_execz .LBB6_1905
; %bb.1904:                             ;   in Loop: Header=BB6_354 Depth=4
	v_and_b32_e32 v3, 7, v0
	v_lshrrev_b32_e32 v28, 3, v5
	v_cmp_gt_u32_e32 vcc, 8, v5
	v_ffbh_u32_e32 v5, v3
	v_min_u32_e32 v5, 32, v5
	v_subrev_u32_e32 v24, 28, v5
	v_lshlrev_b64 v[24:25], v24, v[0:1]
	v_sub_u32_e32 v5, 29, v5
	v_and_b32_e32 v24, 7, v24
	v_cndmask_b32_e32 v5, v28, v5, vcc
	v_cndmask_b32_e32 v3, v3, v24, vcc
	v_lshlrev_b32_e32 v24, 24, v0
	v_bfrev_b32_e32 v25, 60
	v_lshlrev_b32_e32 v3, 20, v3
	v_and_b32_e32 v24, 0x80000000, v24
	v_lshl_add_u32 v5, v5, 23, v25
	v_or3_b32 v3, v24, v5, v3
.LBB6_1905:                             ;   in Loop: Header=BB6_354 Depth=4
	s_or_b64 exec, exec, s[50:51]
.LBB6_1906:                             ;   in Loop: Header=BB6_354 Depth=4
	s_or_b64 exec, exec, s[48:49]
.LBB6_1907:                             ;   in Loop: Header=BB6_354 Depth=4
	s_or_b64 exec, exec, s[38:39]
	v_max_f32_e32 v3, v3, v3
	v_max_f32_e32 v1, v1, v1
	;; [unrolled: 1-line block ×3, first 2 shown]
	s_mov_b64 s[38:39], 0
.LBB6_1908:                             ;   in Loop: Header=BB6_354 Depth=4
	s_and_b64 vcc, exec, s[38:39]
	s_cbranch_vccz .LBB6_1922
; %bb.1909:                             ;   in Loop: Header=BB6_354 Depth=4
	v_mov_b32_e32 v3, 0
	v_mov_b32_e32 v1, 0
	s_and_saveexec_b64 s[38:39], s[40:41]
	s_cbranch_execz .LBB6_1915
; %bb.1910:                             ;   in Loop: Header=BB6_354 Depth=4
	v_cmp_ne_u32_e32 vcc, s82, v2
	v_bfrev_b32_e32 v1, 1
	s_and_saveexec_b64 s[40:41], vcc
	s_cbranch_execz .LBB6_1914
; %bb.1911:                             ;   in Loop: Header=BB6_354 Depth=4
	v_bfe_u32 v5, v20, 24, 7
	v_cmp_ne_u32_e32 vcc, s83, v5
	v_mov_b32_e32 v1, 0x7f800001
	s_and_saveexec_b64 s[48:49], vcc
	s_cbranch_execz .LBB6_1913
; %bb.1912:                             ;   in Loop: Header=BB6_354 Depth=4
	v_and_b32_e32 v1, 7, v2
	v_lshrrev_b32_e32 v28, 3, v5
	v_cmp_gt_u32_e32 vcc, 8, v5
	v_ffbh_u32_e32 v5, v1
	v_min_u32_e32 v5, 32, v5
	v_subrev_u32_e32 v24, 28, v5
	v_lshlrev_b64 v[24:25], v24, v[2:3]
	v_sub_u32_e32 v5, 29, v5
	v_and_b32_e32 v24, 7, v24
	v_cndmask_b32_e32 v5, v28, v5, vcc
	v_cndmask_b32_e32 v1, v1, v24, vcc
	v_lshlrev_b32_e32 v2, 24, v2
	v_bfrev_b32_e32 v24, 60
	v_lshlrev_b32_e32 v1, 20, v1
	v_and_b32_e32 v2, 0x80000000, v2
	v_lshl_add_u32 v5, v5, 23, v24
	v_or3_b32 v1, v2, v5, v1
.LBB6_1913:                             ;   in Loop: Header=BB6_354 Depth=4
	s_or_b64 exec, exec, s[48:49]
.LBB6_1914:                             ;   in Loop: Header=BB6_354 Depth=4
	s_or_b64 exec, exec, s[40:41]
.LBB6_1915:                             ;   in Loop: Header=BB6_354 Depth=4
	s_or_b64 exec, exec, s[38:39]
	v_cmp_lt_u32_e32 vcc, s63, v16
	s_and_saveexec_b64 s[40:41], vcc
	s_cbranch_execz .LBB6_1921
; %bb.1916:                             ;   in Loop: Header=BB6_354 Depth=4
	v_cmp_ne_u32_e32 vcc, s82, v0
	v_bfrev_b32_e32 v3, 1
	s_and_saveexec_b64 s[38:39], vcc
	s_cbranch_execz .LBB6_1920
; %bb.1917:                             ;   in Loop: Header=BB6_354 Depth=4
	v_bfe_u32 v2, v16, 24, 7
	v_cmp_ne_u32_e32 vcc, s83, v2
	v_mov_b32_e32 v3, 0x7f800001
	s_and_saveexec_b64 s[48:49], vcc
	s_cbranch_execz .LBB6_1919
; %bb.1918:                             ;   in Loop: Header=BB6_354 Depth=4
	v_and_b32_e32 v5, 7, v0
	v_lshrrev_b32_e32 v24, 3, v2
	v_cmp_gt_u32_e32 vcc, 8, v2
	v_ffbh_u32_e32 v2, v5
	v_min_u32_e32 v25, 32, v2
	v_subrev_u32_e32 v2, 28, v25
	v_lshlrev_b64 v[2:3], v2, v[0:1]
	v_sub_u32_e32 v3, 29, v25
	v_and_b32_e32 v2, 7, v2
	v_cndmask_b32_e32 v3, v24, v3, vcc
	v_cndmask_b32_e32 v2, v5, v2, vcc
	v_lshlrev_b32_e32 v0, 24, v0
	v_bfrev_b32_e32 v5, 60
	v_lshlrev_b32_e32 v2, 20, v2
	v_and_b32_e32 v0, 0x80000000, v0
	v_lshl_add_u32 v3, v3, 23, v5
	v_or3_b32 v3, v0, v3, v2
.LBB6_1919:                             ;   in Loop: Header=BB6_354 Depth=4
	s_or_b64 exec, exec, s[48:49]
.LBB6_1920:                             ;   in Loop: Header=BB6_354 Depth=4
	s_or_b64 exec, exec, s[38:39]
.LBB6_1921:                             ;   in Loop: Header=BB6_354 Depth=4
	s_or_b64 exec, exec, s[40:41]
	v_max_f32_e32 v0, v3, v3
	v_max_f32_e32 v1, v1, v1
	v_min_f32_e32 v1, v1, v0
.LBB6_1922:                             ;   in Loop: Header=BB6_354 Depth=4
	v_and_b32_e32 v52, 0x7f800000, v1
	v_cmp_ne_u64_e32 vcc, s[76:77], v[52:53]
                                        ; implicit-def: $vgpr35
	s_and_saveexec_b64 s[40:41], vcc
	s_xor_b64 s[38:39], exec, s[40:41]
	s_cbranch_execz .LBB6_1936
; %bb.1923:                             ;   in Loop: Header=BB6_354 Depth=4
	v_and_b32_e32 v52, 0x7fffffff, v1
	v_cmp_gt_u64_e32 vcc, s[78:79], v[52:53]
	v_and_b32_sdwa v3, v1, s82 dst_sel:DWORD dst_unused:UNUSED_PAD src0_sel:BYTE_3 src1_sel:DWORD
                                        ; implicit-def: $vgpr35
	s_and_saveexec_b64 s[40:41], vcc
	s_xor_b64 s[48:49], exec, s[40:41]
	s_cbranch_execz .LBB6_1933
; %bb.1924:                             ;   in Loop: Header=BB6_354 Depth=4
	v_mov_b32_e32 v35, 0
	v_cmp_ne_u32_e32 vcc, 0, v1
	s_and_saveexec_b64 s[50:51], vcc
	s_cbranch_execz .LBB6_1932
; %bb.1925:                             ;   in Loop: Header=BB6_354 Depth=4
	v_bfe_u32 v5, v1, 23, 8
	v_and_b32_e32 v0, 0x7fffff, v1
	v_cmp_gt_u32_e64 s[40:41], s85, v5
	v_sub_u32_e32 v1, 0x79, v5
	v_cmp_eq_u32_e32 vcc, 0, v5
	v_cndmask_b32_e64 v1, 0, v1, s[40:41]
	v_mov_b32_e32 v24, 0x78
	v_or_b32_e32 v2, 0x800000, v0
	v_cndmask_b32_e32 v24, v1, v24, vcc
	v_cndmask_b32_e32 v52, v2, v0, vcc
	v_add_u32_e32 v0, 20, v24
	v_lshlrev_b64 v[0:1], v0, -1
	v_add_u32_e32 v2, 19, v24
	v_lshlrev_b64 v[36:37], v2, 1
	v_bfi_b32 v1, v1, 0, 0
	v_bfi_b32 v0, v0, 0, v52
	v_cmp_eq_u64_e64 s[40:41], v[0:1], v[36:37]
	v_lshrrev_b64 v[0:1], v24, v[52:53]
	v_mov_b32_e32 v2, v1
	v_mov_b32_e32 v1, v0
	s_and_saveexec_b64 s[52:53], s[40:41]
; %bb.1926:                             ;   in Loop: Header=BB6_354 Depth=4
	v_bfe_u32 v1, v0, 20, 1
	v_add_co_u32_e64 v1, s[40:41], v0, v1
	v_add_co_u32_e64 v1, s[40:41], -1, v1
; %bb.1927:                             ;   in Loop: Header=BB6_354 Depth=4
	s_or_b64 exec, exec, s[52:53]
	v_add_u32_e32 v2, 0xffffff81, v5
	v_mov_b32_e32 v5, 0xffffff82
	v_cndmask_b32_e32 v2, v2, v5, vcc
	v_lshrrev_b32_e32 v5, 23, v0
	v_add3_u32 v24, v24, v2, v5
	v_add_u32_e32 v5, 6, v24
	v_and_b32_e32 v1, 0xfffff, v1
	v_add_u32_e32 v52, v1, v0
	v_cmp_ne_u32_e32 vcc, 0, v5
                                        ; implicit-def: $vgpr0_vgpr1
                                        ; implicit-def: $vgpr2
	s_and_saveexec_b64 s[40:41], vcc
	s_xor_b64 s[40:41], exec, s[40:41]
; %bb.1928:                             ;   in Loop: Header=BB6_354 Depth=4
	v_cmp_lt_u64_e32 vcc, s[88:89], v[52:53]
	v_add_u32_e32 v0, 7, v24
	v_cndmask_b32_e32 v2, v5, v0, vcc
	v_cndmask_b32_e64 v0, 0, 1, vcc
	v_lshrrev_b64 v[0:1], v0, v[52:53]
; %bb.1929:                             ;   in Loop: Header=BB6_354 Depth=4
	s_andn2_saveexec_b64 s[40:41], s[40:41]
; %bb.1930:                             ;   in Loop: Header=BB6_354 Depth=4
	v_mov_b32_e32 v0, v52
	v_bfe_u32 v2, v52, 23, 1
	v_mov_b32_e32 v1, v53
; %bb.1931:                             ;   in Loop: Header=BB6_354 Depth=4
	s_or_b64 exec, exec, s[40:41]
	v_lshrrev_b64 v[0:1], 20, v[0:1]
	v_cmp_gt_i32_e32 vcc, 16, v2
	v_cndmask_b32_e32 v1, 0, v1, vcc
	v_cndmask_b32_e32 v0, 7, v0, vcc
	v_cmp_eq_u64_e64 s[40:41], 0, v[0:1]
	v_min_i32_e32 v1, 15, v2
	v_lshlrev_b32_e32 v1, 3, v1
	v_cmp_eq_u32_e32 vcc, 0, v2
	v_and_b32_e32 v1, 0xf8, v1
	v_and_or_b32 v0, v0, 7, v1
	s_and_b64 s[40:41], vcc, s[40:41]
	v_cndmask_b32_e64 v0, v0, 0, s[40:41]
	v_or_b32_e32 v35, v0, v3
.LBB6_1932:                             ;   in Loop: Header=BB6_354 Depth=4
	s_or_b64 exec, exec, s[50:51]
                                        ; implicit-def: $vgpr3
.LBB6_1933:                             ;   in Loop: Header=BB6_354 Depth=4
	s_andn2_saveexec_b64 s[40:41], s[48:49]
; %bb.1934:                             ;   in Loop: Header=BB6_354 Depth=4
	v_or_b32_e32 v35, 0x7e, v3
; %bb.1935:                             ;   in Loop: Header=BB6_354 Depth=4
	s_or_b64 exec, exec, s[40:41]
                                        ; implicit-def: $vgpr1
.LBB6_1936:                             ;   in Loop: Header=BB6_354 Depth=4
	s_andn2_saveexec_b64 s[40:41], s[38:39]
; %bb.1937:                             ;   in Loop: Header=BB6_354 Depth=4
	v_or_b32_sdwa v35, v1, s83 dst_sel:DWORD dst_unused:UNUSED_PAD src0_sel:BYTE_3 src1_sel:DWORD
; %bb.1938:                             ;   in Loop: Header=BB6_354 Depth=4
	s_or_b64 exec, exec, s[40:41]
	v_mov_b32_e32 v52, v21
	v_mov_b32_e32 v2, v17
	;; [unrolled: 1-line block ×3, first 2 shown]
	v_cmp_ne_u16_sdwa s[40:41], v21, v53 src0_sel:BYTE_0 src1_sel:DWORD
	s_and_b64 vcc, exec, s[28:29]
	s_mov_b64 s[38:39], -1
                                        ; implicit-def: $vgpr0
	s_cbranch_vccnz .LBB6_1952
; %bb.1939:                             ;   in Loop: Header=BB6_354 Depth=4
	v_mov_b32_e32 v1, 0
	v_mov_b32_e32 v0, 0
	s_and_saveexec_b64 s[38:39], s[40:41]
	s_cbranch_execz .LBB6_1945
; %bb.1940:                             ;   in Loop: Header=BB6_354 Depth=4
	v_cmp_ne_u16_sdwa vcc, v21, s82 src0_sel:BYTE_0 src1_sel:DWORD
	v_bfrev_b32_e32 v0, 1
	s_and_saveexec_b64 s[48:49], vcc
	s_cbranch_execz .LBB6_1944
; %bb.1941:                             ;   in Loop: Header=BB6_354 Depth=4
	v_and_b32_e32 v5, 0x7f, v21
	v_cmp_ne_u32_e32 vcc, s83, v5
	v_mov_b32_e32 v0, 0x7f800001
	s_and_saveexec_b64 s[50:51], vcc
	s_cbranch_execz .LBB6_1943
; %bb.1942:                             ;   in Loop: Header=BB6_354 Depth=4
	v_and_b32_e32 v0, 7, v21
	v_ffbh_u32_e32 v0, v0
	v_min_u32_e32 v0, 32, v0
	v_lshrrev_b32_e32 v24, 3, v5
	v_cmp_gt_u32_e32 vcc, 8, v5
	v_subrev_u32_e32 v5, 28, v0
	v_sub_u32_e32 v0, 29, v0
	v_cndmask_b32_e32 v5, 0, v5, vcc
	v_cndmask_b32_e32 v0, v24, v0, vcc
	v_lshlrev_b64 v[24:25], v5, v[52:53]
	v_bfrev_b32_e32 v25, 60
	v_lshlrev_b32_e32 v5, 20, v24
	v_lshlrev_b32_e32 v24, 24, v52
	v_and_b32_e32 v5, 0x700000, v5
	v_and_b32_e32 v24, 0x80000000, v24
	v_lshl_add_u32 v0, v0, 23, v25
	v_or3_b32 v0, v24, v0, v5
.LBB6_1943:                             ;   in Loop: Header=BB6_354 Depth=4
	s_or_b64 exec, exec, s[50:51]
.LBB6_1944:                             ;   in Loop: Header=BB6_354 Depth=4
	s_or_b64 exec, exec, s[48:49]
.LBB6_1945:                             ;   in Loop: Header=BB6_354 Depth=4
	s_or_b64 exec, exec, s[38:39]
	v_cmp_ne_u16_sdwa vcc, v17, v53 src0_sel:BYTE_0 src1_sel:DWORD
	s_and_saveexec_b64 s[38:39], vcc
	s_cbranch_execz .LBB6_1951
; %bb.1946:                             ;   in Loop: Header=BB6_354 Depth=4
	v_cmp_ne_u16_sdwa vcc, v17, s82 src0_sel:BYTE_0 src1_sel:DWORD
	v_bfrev_b32_e32 v1, 1
	s_and_saveexec_b64 s[48:49], vcc
	s_cbranch_execz .LBB6_1950
; %bb.1947:                             ;   in Loop: Header=BB6_354 Depth=4
	v_and_b32_e32 v5, 0x7f, v17
	v_cmp_ne_u32_e32 vcc, s83, v5
	v_mov_b32_e32 v1, 0x7f800001
	s_and_saveexec_b64 s[50:51], vcc
	s_cbranch_execz .LBB6_1949
; %bb.1948:                             ;   in Loop: Header=BB6_354 Depth=4
	v_and_b32_e32 v1, 7, v17
	v_ffbh_u32_e32 v1, v1
	v_min_u32_e32 v1, 32, v1
	v_lshrrev_b32_e32 v24, 3, v5
	v_cmp_gt_u32_e32 vcc, 8, v5
	v_subrev_u32_e32 v5, 28, v1
	v_sub_u32_e32 v1, 29, v1
	v_cndmask_b32_e32 v5, 0, v5, vcc
	v_cndmask_b32_e32 v1, v24, v1, vcc
	v_lshlrev_b64 v[24:25], v5, v[2:3]
	v_bfrev_b32_e32 v25, 60
	v_lshlrev_b32_e32 v5, 20, v24
	v_lshlrev_b32_e32 v24, 24, v2
	v_and_b32_e32 v5, 0x700000, v5
	v_and_b32_e32 v24, 0x80000000, v24
	v_lshl_add_u32 v1, v1, 23, v25
	v_or3_b32 v1, v24, v1, v5
.LBB6_1949:                             ;   in Loop: Header=BB6_354 Depth=4
	s_or_b64 exec, exec, s[50:51]
.LBB6_1950:                             ;   in Loop: Header=BB6_354 Depth=4
	s_or_b64 exec, exec, s[48:49]
.LBB6_1951:                             ;   in Loop: Header=BB6_354 Depth=4
	s_or_b64 exec, exec, s[38:39]
	v_max_f32_e32 v1, v1, v1
	v_max_f32_e32 v0, v0, v0
	;; [unrolled: 1-line block ×3, first 2 shown]
	s_mov_b64 s[38:39], 0
.LBB6_1952:                             ;   in Loop: Header=BB6_354 Depth=4
	s_and_b64 vcc, exec, s[38:39]
	s_cbranch_vccz .LBB6_1966
; %bb.1953:                             ;   in Loop: Header=BB6_354 Depth=4
	v_mov_b32_e32 v1, 0
	v_mov_b32_e32 v0, 0
	s_and_saveexec_b64 s[38:39], s[40:41]
	s_cbranch_execz .LBB6_1959
; %bb.1954:                             ;   in Loop: Header=BB6_354 Depth=4
	v_cmp_ne_u16_sdwa vcc, v21, s82 src0_sel:BYTE_0 src1_sel:DWORD
	v_bfrev_b32_e32 v0, 1
	s_and_saveexec_b64 s[40:41], vcc
	s_cbranch_execz .LBB6_1958
; %bb.1955:                             ;   in Loop: Header=BB6_354 Depth=4
	v_and_b32_e32 v5, 0x7f, v21
	v_cmp_ne_u32_e32 vcc, s83, v5
	v_mov_b32_e32 v0, 0x7f800001
	s_and_saveexec_b64 s[48:49], vcc
	s_cbranch_execz .LBB6_1957
; %bb.1956:                             ;   in Loop: Header=BB6_354 Depth=4
	v_and_b32_e32 v0, 7, v21
	v_ffbh_u32_e32 v0, v0
	v_min_u32_e32 v0, 32, v0
	v_lshrrev_b32_e32 v24, 3, v5
	v_cmp_gt_u32_e32 vcc, 8, v5
	v_subrev_u32_e32 v5, 28, v0
	v_sub_u32_e32 v0, 29, v0
	v_cndmask_b32_e32 v5, 0, v5, vcc
	v_cndmask_b32_e32 v0, v24, v0, vcc
	v_lshlrev_b64 v[24:25], v5, v[52:53]
	v_bfrev_b32_e32 v25, 60
	v_lshlrev_b32_e32 v5, 20, v24
	v_lshlrev_b32_e32 v24, 24, v52
	v_and_b32_e32 v5, 0x700000, v5
	v_and_b32_e32 v24, 0x80000000, v24
	v_lshl_add_u32 v0, v0, 23, v25
	v_or3_b32 v0, v24, v0, v5
.LBB6_1957:                             ;   in Loop: Header=BB6_354 Depth=4
	s_or_b64 exec, exec, s[48:49]
.LBB6_1958:                             ;   in Loop: Header=BB6_354 Depth=4
	s_or_b64 exec, exec, s[40:41]
.LBB6_1959:                             ;   in Loop: Header=BB6_354 Depth=4
	s_or_b64 exec, exec, s[38:39]
	v_cmp_ne_u16_sdwa vcc, v17, v53 src0_sel:BYTE_0 src1_sel:DWORD
	s_and_saveexec_b64 s[40:41], vcc
	s_cbranch_execz .LBB6_1965
; %bb.1960:                             ;   in Loop: Header=BB6_354 Depth=4
	v_cmp_ne_u16_sdwa vcc, v17, s82 src0_sel:BYTE_0 src1_sel:DWORD
	v_bfrev_b32_e32 v1, 1
	s_and_saveexec_b64 s[38:39], vcc
	s_cbranch_execz .LBB6_1964
; %bb.1961:                             ;   in Loop: Header=BB6_354 Depth=4
	v_and_b32_e32 v5, 0x7f, v17
	v_cmp_ne_u32_e32 vcc, s83, v5
	v_mov_b32_e32 v1, 0x7f800001
	s_and_saveexec_b64 s[48:49], vcc
	s_cbranch_execz .LBB6_1963
; %bb.1962:                             ;   in Loop: Header=BB6_354 Depth=4
	v_and_b32_e32 v1, 7, v17
	v_ffbh_u32_e32 v1, v1
	v_min_u32_e32 v1, 32, v1
	v_lshrrev_b32_e32 v24, 3, v5
	v_cmp_gt_u32_e32 vcc, 8, v5
	v_subrev_u32_e32 v5, 28, v1
	v_sub_u32_e32 v1, 29, v1
	v_cndmask_b32_e32 v5, 0, v5, vcc
	v_cndmask_b32_e32 v1, v24, v1, vcc
	v_lshlrev_b64 v[24:25], v5, v[2:3]
	v_lshlrev_b32_e32 v5, 24, v2
	v_lshlrev_b32_e32 v3, 20, v24
	v_bfrev_b32_e32 v24, 60
	v_and_b32_e32 v3, 0x700000, v3
	v_and_b32_e32 v5, 0x80000000, v5
	v_lshl_add_u32 v1, v1, 23, v24
	v_or3_b32 v1, v5, v1, v3
.LBB6_1963:                             ;   in Loop: Header=BB6_354 Depth=4
	s_or_b64 exec, exec, s[48:49]
.LBB6_1964:                             ;   in Loop: Header=BB6_354 Depth=4
	s_or_b64 exec, exec, s[38:39]
.LBB6_1965:                             ;   in Loop: Header=BB6_354 Depth=4
	s_or_b64 exec, exec, s[40:41]
	v_max_f32_e32 v1, v1, v1
	v_max_f32_e32 v0, v0, v0
	v_min_f32_e32 v0, v0, v1
.LBB6_1966:                             ;   in Loop: Header=BB6_354 Depth=4
	v_and_b32_e32 v24, 0x7f800000, v0
	v_mov_b32_e32 v25, v53
	v_cmp_ne_u64_e32 vcc, s[76:77], v[24:25]
                                        ; implicit-def: $vgpr24
	s_and_saveexec_b64 s[40:41], vcc
	s_xor_b64 s[38:39], exec, s[40:41]
	s_cbranch_execz .LBB6_1980
; %bb.1967:                             ;   in Loop: Header=BB6_354 Depth=4
	v_and_b32_e32 v24, 0x7fffffff, v0
	v_mov_b32_e32 v25, v53
	v_cmp_gt_u64_e32 vcc, s[78:79], v[24:25]
	v_and_b32_sdwa v3, v0, s82 dst_sel:DWORD dst_unused:UNUSED_PAD src0_sel:BYTE_3 src1_sel:DWORD
                                        ; implicit-def: $vgpr24
	s_and_saveexec_b64 s[40:41], vcc
	s_xor_b64 s[48:49], exec, s[40:41]
	s_cbranch_execz .LBB6_1977
; %bb.1968:                             ;   in Loop: Header=BB6_354 Depth=4
	v_mov_b32_e32 v24, 0
	v_cmp_ne_u32_e32 vcc, 0, v0
	s_and_saveexec_b64 s[50:51], vcc
	s_cbranch_execz .LBB6_1976
; %bb.1969:                             ;   in Loop: Header=BB6_354 Depth=4
	v_bfe_u32 v5, v0, 23, 8
	v_and_b32_e32 v1, 0x7fffff, v0
	v_cmp_gt_u32_e64 s[40:41], s85, v5
	v_sub_u32_e32 v0, 0x79, v5
	v_cmp_eq_u32_e32 vcc, 0, v5
	v_cndmask_b32_e64 v0, 0, v0, s[40:41]
	v_mov_b32_e32 v25, 0x78
	v_or_b32_e32 v24, 0x800000, v1
	v_cndmask_b32_e32 v36, v0, v25, vcc
	v_cndmask_b32_e32 v0, v24, v1, vcc
	v_add_u32_e32 v24, 20, v36
	v_lshlrev_b64 v[24:25], v24, -1
	v_mov_b32_e32 v1, v53
	v_add_u32_e32 v28, 19, v36
	v_bfi_b32 v24, v24, 0, v0
	v_lshlrev_b64 v[37:38], v28, 1
	v_lshrrev_b64 v[0:1], v36, v[0:1]
	v_bfi_b32 v25, v25, 0, 0
	v_cmp_eq_u64_e64 s[40:41], v[24:25], v[37:38]
	v_mov_b32_e32 v25, v1
	v_mov_b32_e32 v24, v0
	s_and_saveexec_b64 s[52:53], s[40:41]
; %bb.1970:                             ;   in Loop: Header=BB6_354 Depth=4
	v_bfe_u32 v1, v0, 20, 1
	v_add_co_u32_e64 v1, s[40:41], v0, v1
	v_add_co_u32_e64 v24, s[40:41], -1, v1
; %bb.1971:                             ;   in Loop: Header=BB6_354 Depth=4
	s_or_b64 exec, exec, s[52:53]
	v_add_u32_e32 v1, 0xffffff81, v5
	v_mov_b32_e32 v5, 0xffffff82
	v_cndmask_b32_e32 v1, v1, v5, vcc
	v_lshrrev_b32_e32 v5, 23, v0
	v_add3_u32 v36, v36, v1, v5
	v_add_u32_e32 v25, 6, v36
	v_and_b32_e32 v1, 0xfffff, v24
	v_add_u32_e32 v0, v1, v0
	v_mov_b32_e32 v1, v53
	v_cmp_ne_u32_e32 vcc, 0, v25
                                        ; implicit-def: $vgpr5
	s_and_saveexec_b64 s[40:41], vcc
	s_xor_b64 s[40:41], exec, s[40:41]
; %bb.1972:                             ;   in Loop: Header=BB6_354 Depth=4
	v_cmp_lt_u64_e32 vcc, s[88:89], v[0:1]
	v_add_u32_e32 v5, 7, v36
	v_cndmask_b32_e64 v24, 0, 1, vcc
	v_lshrrev_b64 v[0:1], v24, v[0:1]
	v_cndmask_b32_e32 v5, v25, v5, vcc
; %bb.1973:                             ;   in Loop: Header=BB6_354 Depth=4
	s_andn2_saveexec_b64 s[40:41], s[40:41]
; %bb.1974:                             ;   in Loop: Header=BB6_354 Depth=4
	v_bfe_u32 v5, v0, 23, 1
; %bb.1975:                             ;   in Loop: Header=BB6_354 Depth=4
	s_or_b64 exec, exec, s[40:41]
	v_lshrrev_b64 v[0:1], 20, v[0:1]
	v_cmp_gt_i32_e32 vcc, 16, v5
	v_cndmask_b32_e32 v1, 0, v1, vcc
	v_cndmask_b32_e32 v0, 7, v0, vcc
	v_cmp_eq_u64_e64 s[40:41], 0, v[0:1]
	v_min_i32_e32 v1, 15, v5
	v_lshlrev_b32_e32 v1, 3, v1
	v_cmp_eq_u32_e32 vcc, 0, v5
	v_and_b32_e32 v1, 0xf8, v1
	v_and_or_b32 v0, v0, 7, v1
	s_and_b64 s[40:41], vcc, s[40:41]
	v_cndmask_b32_e64 v0, v0, 0, s[40:41]
	v_or_b32_e32 v24, v0, v3
.LBB6_1976:                             ;   in Loop: Header=BB6_354 Depth=4
	s_or_b64 exec, exec, s[50:51]
                                        ; implicit-def: $vgpr3
.LBB6_1977:                             ;   in Loop: Header=BB6_354 Depth=4
	s_andn2_saveexec_b64 s[40:41], s[48:49]
; %bb.1978:                             ;   in Loop: Header=BB6_354 Depth=4
	v_or_b32_e32 v24, 0x7e, v3
; %bb.1979:                             ;   in Loop: Header=BB6_354 Depth=4
	s_or_b64 exec, exec, s[40:41]
                                        ; implicit-def: $vgpr0
.LBB6_1980:                             ;   in Loop: Header=BB6_354 Depth=4
	s_andn2_saveexec_b64 s[40:41], s[38:39]
; %bb.1981:                             ;   in Loop: Header=BB6_354 Depth=4
	v_or_b32_sdwa v24, v0, s83 dst_sel:DWORD dst_unused:UNUSED_PAD src0_sel:BYTE_3 src1_sel:DWORD
; %bb.1982:                             ;   in Loop: Header=BB6_354 Depth=4
	s_or_b64 exec, exec, s[40:41]
	v_lshrrev_b16_e32 v5, 8, v52
	v_lshrrev_b16_e32 v3, 8, v2
	v_cmp_ne_u16_e64 s[40:41], 0, v5
	s_and_b64 vcc, exec, s[28:29]
	s_mov_b64 s[38:39], -1
                                        ; implicit-def: $vgpr0
	s_cbranch_vccnz .LBB6_1996
; %bb.1983:                             ;   in Loop: Header=BB6_354 Depth=4
	v_mov_b32_e32 v1, 0
	v_mov_b32_e32 v0, 0
	s_and_saveexec_b64 s[38:39], s[40:41]
	s_cbranch_execz .LBB6_1989
; %bb.1984:                             ;   in Loop: Header=BB6_354 Depth=4
	v_cmp_ne_u16_e32 vcc, s82, v5
	v_bfrev_b32_e32 v0, 1
	s_and_saveexec_b64 s[48:49], vcc
	s_cbranch_execz .LBB6_1988
; %bb.1985:                             ;   in Loop: Header=BB6_354 Depth=4
	v_and_b32_e32 v25, 0x7f, v5
	v_cmp_ne_u32_e32 vcc, s83, v25
	v_mov_b32_e32 v0, 0x7f800001
	s_and_saveexec_b64 s[50:51], vcc
	s_cbranch_execz .LBB6_1987
; %bb.1986:                             ;   in Loop: Header=BB6_354 Depth=4
	v_and_b32_e32 v0, 7, v5
	v_lshrrev_b32_e32 v28, 3, v25
	v_cmp_gt_u32_e32 vcc, 8, v25
	v_ffbh_u32_e32 v25, v0
	v_min_u32_e32 v25, 32, v25
	v_subrev_u32_e32 v29, 28, v25
	v_lshlrev_b64 v[36:37], v29, v[5:6]
	v_sub_u32_e32 v25, 29, v25
	v_and_b32_e32 v29, 7, v36
	v_cndmask_b32_e32 v25, v28, v25, vcc
	v_cndmask_b32_e32 v0, v0, v29, vcc
	v_lshlrev_b32_e32 v28, 16, v52
	v_bfrev_b32_e32 v29, 60
	v_lshlrev_b32_e32 v0, 20, v0
	v_and_b32_e32 v28, 0x80000000, v28
	v_lshl_add_u32 v25, v25, 23, v29
	v_or3_b32 v0, v28, v25, v0
.LBB6_1987:                             ;   in Loop: Header=BB6_354 Depth=4
	s_or_b64 exec, exec, s[50:51]
.LBB6_1988:                             ;   in Loop: Header=BB6_354 Depth=4
	s_or_b64 exec, exec, s[48:49]
.LBB6_1989:                             ;   in Loop: Header=BB6_354 Depth=4
	s_or_b64 exec, exec, s[38:39]
	v_cmp_ne_u16_e32 vcc, 0, v3
	s_and_saveexec_b64 s[38:39], vcc
	s_cbranch_execz .LBB6_1995
; %bb.1990:                             ;   in Loop: Header=BB6_354 Depth=4
	v_cmp_ne_u16_e32 vcc, s82, v3
	v_bfrev_b32_e32 v1, 1
	s_and_saveexec_b64 s[48:49], vcc
	s_cbranch_execz .LBB6_1994
; %bb.1991:                             ;   in Loop: Header=BB6_354 Depth=4
	v_and_b32_e32 v25, 0x7f, v3
	v_cmp_ne_u32_e32 vcc, s83, v25
	v_mov_b32_e32 v1, 0x7f800001
	s_and_saveexec_b64 s[50:51], vcc
	s_cbranch_execz .LBB6_1993
; %bb.1992:                             ;   in Loop: Header=BB6_354 Depth=4
	v_and_b32_e32 v1, 7, v3
	v_lshrrev_b32_e32 v28, 3, v25
	v_cmp_gt_u32_e32 vcc, 8, v25
	v_ffbh_u32_e32 v25, v1
	v_min_u32_e32 v25, 32, v25
	v_subrev_u32_e32 v29, 28, v25
	v_lshlrev_b64 v[36:37], v29, v[3:4]
	v_sub_u32_e32 v25, 29, v25
	v_and_b32_e32 v29, 7, v36
	v_cndmask_b32_e32 v25, v28, v25, vcc
	v_cndmask_b32_e32 v1, v1, v29, vcc
	v_lshlrev_b32_e32 v28, 16, v2
	v_bfrev_b32_e32 v29, 60
	v_lshlrev_b32_e32 v1, 20, v1
	v_and_b32_e32 v28, 0x80000000, v28
	v_lshl_add_u32 v25, v25, 23, v29
	v_or3_b32 v1, v28, v25, v1
.LBB6_1993:                             ;   in Loop: Header=BB6_354 Depth=4
	s_or_b64 exec, exec, s[50:51]
.LBB6_1994:                             ;   in Loop: Header=BB6_354 Depth=4
	s_or_b64 exec, exec, s[48:49]
.LBB6_1995:                             ;   in Loop: Header=BB6_354 Depth=4
	s_or_b64 exec, exec, s[38:39]
	v_max_f32_e32 v1, v1, v1
	v_max_f32_e32 v0, v0, v0
	;; [unrolled: 1-line block ×3, first 2 shown]
	s_mov_b64 s[38:39], 0
.LBB6_1996:                             ;   in Loop: Header=BB6_354 Depth=4
	s_and_b64 vcc, exec, s[38:39]
	s_cbranch_vccz .LBB6_2010
; %bb.1997:                             ;   in Loop: Header=BB6_354 Depth=4
	v_mov_b32_e32 v1, 0
	v_mov_b32_e32 v0, 0
	s_and_saveexec_b64 s[38:39], s[40:41]
	s_cbranch_execz .LBB6_2003
; %bb.1998:                             ;   in Loop: Header=BB6_354 Depth=4
	v_cmp_ne_u16_e32 vcc, s82, v5
	v_bfrev_b32_e32 v0, 1
	s_and_saveexec_b64 s[40:41], vcc
	s_cbranch_execz .LBB6_2002
; %bb.1999:                             ;   in Loop: Header=BB6_354 Depth=4
	v_and_b32_e32 v25, 0x7f, v5
	v_cmp_ne_u32_e32 vcc, s83, v25
	v_mov_b32_e32 v0, 0x7f800001
	s_and_saveexec_b64 s[48:49], vcc
	s_cbranch_execz .LBB6_2001
; %bb.2000:                             ;   in Loop: Header=BB6_354 Depth=4
	v_and_b32_e32 v0, 7, v5
	v_lshrrev_b32_e32 v28, 3, v25
	v_cmp_gt_u32_e32 vcc, 8, v25
	v_ffbh_u32_e32 v25, v0
	v_min_u32_e32 v25, 32, v25
	v_subrev_u32_e32 v29, 28, v25
	v_lshlrev_b64 v[36:37], v29, v[5:6]
	v_sub_u32_e32 v5, 29, v25
	v_and_b32_e32 v25, 7, v36
	v_cndmask_b32_e32 v5, v28, v5, vcc
	v_cndmask_b32_e32 v0, v0, v25, vcc
	v_lshlrev_b32_e32 v25, 16, v52
	v_bfrev_b32_e32 v28, 60
	v_lshlrev_b32_e32 v0, 20, v0
	v_and_b32_e32 v25, 0x80000000, v25
	v_lshl_add_u32 v5, v5, 23, v28
	v_or3_b32 v0, v25, v5, v0
.LBB6_2001:                             ;   in Loop: Header=BB6_354 Depth=4
	s_or_b64 exec, exec, s[48:49]
.LBB6_2002:                             ;   in Loop: Header=BB6_354 Depth=4
	s_or_b64 exec, exec, s[40:41]
.LBB6_2003:                             ;   in Loop: Header=BB6_354 Depth=4
	s_or_b64 exec, exec, s[38:39]
	v_cmp_ne_u16_e32 vcc, 0, v3
	s_and_saveexec_b64 s[40:41], vcc
	s_cbranch_execz .LBB6_2009
; %bb.2004:                             ;   in Loop: Header=BB6_354 Depth=4
	v_cmp_ne_u16_e32 vcc, s82, v3
	v_bfrev_b32_e32 v1, 1
	s_and_saveexec_b64 s[38:39], vcc
	s_cbranch_execz .LBB6_2008
; %bb.2005:                             ;   in Loop: Header=BB6_354 Depth=4
	v_and_b32_e32 v5, 0x7f, v3
	v_cmp_ne_u32_e32 vcc, s83, v5
	v_mov_b32_e32 v1, 0x7f800001
	s_and_saveexec_b64 s[48:49], vcc
	s_cbranch_execz .LBB6_2007
; %bb.2006:                             ;   in Loop: Header=BB6_354 Depth=4
	v_and_b32_e32 v1, 7, v3
	v_lshrrev_b32_e32 v25, 3, v5
	v_cmp_gt_u32_e32 vcc, 8, v5
	v_ffbh_u32_e32 v5, v1
	v_min_u32_e32 v5, 32, v5
	v_subrev_u32_e32 v28, 28, v5
	v_lshlrev_b64 v[36:37], v28, v[3:4]
	v_sub_u32_e32 v3, 29, v5
	v_and_b32_e32 v5, 7, v36
	v_cndmask_b32_e32 v3, v25, v3, vcc
	v_cndmask_b32_e32 v1, v1, v5, vcc
	v_lshlrev_b32_e32 v2, 16, v2
	v_bfrev_b32_e32 v5, 60
	v_lshlrev_b32_e32 v1, 20, v1
	v_and_b32_e32 v2, 0x80000000, v2
	v_lshl_add_u32 v3, v3, 23, v5
	v_or3_b32 v1, v2, v3, v1
.LBB6_2007:                             ;   in Loop: Header=BB6_354 Depth=4
	s_or_b64 exec, exec, s[48:49]
.LBB6_2008:                             ;   in Loop: Header=BB6_354 Depth=4
	s_or_b64 exec, exec, s[38:39]
.LBB6_2009:                             ;   in Loop: Header=BB6_354 Depth=4
	s_or_b64 exec, exec, s[40:41]
	v_max_f32_e32 v1, v1, v1
	v_max_f32_e32 v0, v0, v0
	v_min_f32_e32 v0, v0, v1
.LBB6_2010:                             ;   in Loop: Header=BB6_354 Depth=4
	v_and_b32_e32 v52, 0x7f800000, v0
	v_cmp_ne_u64_e32 vcc, s[76:77], v[52:53]
                                        ; implicit-def: $vgpr25
	s_and_saveexec_b64 s[40:41], vcc
	s_xor_b64 s[38:39], exec, s[40:41]
	s_cbranch_execz .LBB6_2024
; %bb.2011:                             ;   in Loop: Header=BB6_354 Depth=4
	v_and_b32_e32 v52, 0x7fffffff, v0
	v_cmp_gt_u64_e32 vcc, s[78:79], v[52:53]
	v_and_b32_sdwa v3, v0, s82 dst_sel:DWORD dst_unused:UNUSED_PAD src0_sel:BYTE_3 src1_sel:DWORD
                                        ; implicit-def: $vgpr25
	s_and_saveexec_b64 s[40:41], vcc
	s_xor_b64 s[48:49], exec, s[40:41]
	s_cbranch_execz .LBB6_2021
; %bb.2012:                             ;   in Loop: Header=BB6_354 Depth=4
	v_mov_b32_e32 v25, 0
	v_cmp_ne_u32_e32 vcc, 0, v0
	s_and_saveexec_b64 s[50:51], vcc
	s_cbranch_execz .LBB6_2020
; %bb.2013:                             ;   in Loop: Header=BB6_354 Depth=4
	v_bfe_u32 v5, v0, 23, 8
	v_and_b32_e32 v1, 0x7fffff, v0
	v_cmp_gt_u32_e64 s[40:41], s85, v5
	v_sub_u32_e32 v0, 0x79, v5
	v_cmp_eq_u32_e32 vcc, 0, v5
	v_cndmask_b32_e64 v0, 0, v0, s[40:41]
	v_mov_b32_e32 v25, 0x78
	v_cndmask_b32_e32 v25, v0, v25, vcc
	v_or_b32_e32 v2, 0x800000, v1
	v_add_u32_e32 v0, 20, v25
	v_cndmask_b32_e32 v52, v2, v1, vcc
	v_lshlrev_b64 v[0:1], v0, -1
	v_add_u32_e32 v2, 19, v25
	v_lshlrev_b64 v[36:37], v2, 1
	v_bfi_b32 v1, v1, 0, 0
	v_bfi_b32 v0, v0, 0, v52
	v_cmp_eq_u64_e64 s[40:41], v[0:1], v[36:37]
	v_lshrrev_b64 v[0:1], v25, v[52:53]
	v_mov_b32_e32 v2, v1
	v_mov_b32_e32 v1, v0
	s_and_saveexec_b64 s[52:53], s[40:41]
; %bb.2014:                             ;   in Loop: Header=BB6_354 Depth=4
	v_bfe_u32 v1, v0, 20, 1
	v_add_co_u32_e64 v1, s[40:41], v0, v1
	v_add_co_u32_e64 v1, s[40:41], -1, v1
; %bb.2015:                             ;   in Loop: Header=BB6_354 Depth=4
	s_or_b64 exec, exec, s[52:53]
	v_add_u32_e32 v2, 0xffffff81, v5
	v_mov_b32_e32 v5, 0xffffff82
	v_cndmask_b32_e32 v2, v2, v5, vcc
	v_lshrrev_b32_e32 v5, 23, v0
	v_add3_u32 v25, v25, v2, v5
	v_add_u32_e32 v5, 6, v25
	v_and_b32_e32 v1, 0xfffff, v1
	v_add_u32_e32 v52, v1, v0
	v_cmp_ne_u32_e32 vcc, 0, v5
                                        ; implicit-def: $vgpr0_vgpr1
                                        ; implicit-def: $vgpr2
	s_and_saveexec_b64 s[40:41], vcc
	s_xor_b64 s[40:41], exec, s[40:41]
; %bb.2016:                             ;   in Loop: Header=BB6_354 Depth=4
	v_cmp_lt_u64_e32 vcc, s[88:89], v[52:53]
	v_add_u32_e32 v0, 7, v25
	v_cndmask_b32_e32 v2, v5, v0, vcc
	v_cndmask_b32_e64 v0, 0, 1, vcc
	v_lshrrev_b64 v[0:1], v0, v[52:53]
; %bb.2017:                             ;   in Loop: Header=BB6_354 Depth=4
	s_andn2_saveexec_b64 s[40:41], s[40:41]
; %bb.2018:                             ;   in Loop: Header=BB6_354 Depth=4
	v_mov_b32_e32 v0, v52
	v_bfe_u32 v2, v52, 23, 1
	v_mov_b32_e32 v1, v53
; %bb.2019:                             ;   in Loop: Header=BB6_354 Depth=4
	s_or_b64 exec, exec, s[40:41]
	v_lshrrev_b64 v[0:1], 20, v[0:1]
	v_cmp_gt_i32_e32 vcc, 16, v2
	v_cndmask_b32_e32 v1, 0, v1, vcc
	v_cndmask_b32_e32 v0, 7, v0, vcc
	v_cmp_eq_u64_e64 s[40:41], 0, v[0:1]
	v_min_i32_e32 v1, 15, v2
	v_lshlrev_b32_e32 v1, 3, v1
	v_cmp_eq_u32_e32 vcc, 0, v2
	v_and_b32_e32 v1, 0xf8, v1
	v_and_or_b32 v0, v0, 7, v1
	s_and_b64 s[40:41], vcc, s[40:41]
	v_cndmask_b32_e64 v0, v0, 0, s[40:41]
	v_or_b32_e32 v25, v0, v3
.LBB6_2020:                             ;   in Loop: Header=BB6_354 Depth=4
	s_or_b64 exec, exec, s[50:51]
                                        ; implicit-def: $vgpr3
.LBB6_2021:                             ;   in Loop: Header=BB6_354 Depth=4
	s_andn2_saveexec_b64 s[40:41], s[48:49]
; %bb.2022:                             ;   in Loop: Header=BB6_354 Depth=4
	v_or_b32_e32 v25, 0x7e, v3
; %bb.2023:                             ;   in Loop: Header=BB6_354 Depth=4
	s_or_b64 exec, exec, s[40:41]
                                        ; implicit-def: $vgpr0
.LBB6_2024:                             ;   in Loop: Header=BB6_354 Depth=4
	s_andn2_saveexec_b64 s[40:41], s[38:39]
; %bb.2025:                             ;   in Loop: Header=BB6_354 Depth=4
	v_or_b32_sdwa v25, v0, s83 dst_sel:DWORD dst_unused:UNUSED_PAD src0_sel:BYTE_3 src1_sel:DWORD
; %bb.2026:                             ;   in Loop: Header=BB6_354 Depth=4
	s_or_b64 exec, exec, s[40:41]
	v_lshrrev_b32_e32 v2, 16, v21
	v_lshrrev_b32_e32 v0, 16, v17
	v_cmp_ne_u16_sdwa s[40:41], v2, v53 src0_sel:BYTE_0 src1_sel:DWORD
	s_and_b64 vcc, exec, s[28:29]
	s_mov_b64 s[38:39], -1
                                        ; implicit-def: $vgpr1
	s_cbranch_vccnz .LBB6_2040
; %bb.2027:                             ;   in Loop: Header=BB6_354 Depth=4
	v_mov_b32_e32 v3, 0
	v_mov_b32_e32 v1, 0
	s_and_saveexec_b64 s[38:39], s[40:41]
	s_cbranch_execz .LBB6_2033
; %bb.2028:                             ;   in Loop: Header=BB6_354 Depth=4
	v_cmp_ne_u16_sdwa vcc, v2, s82 src0_sel:BYTE_0 src1_sel:DWORD
	v_bfrev_b32_e32 v1, 1
	s_and_saveexec_b64 s[48:49], vcc
	s_cbranch_execz .LBB6_2032
; %bb.2029:                             ;   in Loop: Header=BB6_354 Depth=4
	v_bfe_u32 v5, v21, 16, 7
	v_cmp_ne_u32_e32 vcc, s83, v5
	v_mov_b32_e32 v1, 0x7f800001
	s_and_saveexec_b64 s[50:51], vcc
	s_cbranch_execz .LBB6_2031
; %bb.2030:                             ;   in Loop: Header=BB6_354 Depth=4
	v_and_b32_e32 v1, 7, v2
	v_lshrrev_b32_e32 v28, 3, v5
	v_cmp_gt_u32_e32 vcc, 8, v5
	v_ffbh_u32_e32 v5, v1
	v_min_u32_e32 v5, 32, v5
	v_subrev_u32_e32 v29, 28, v5
	v_lshlrev_b64 v[36:37], v29, v[2:3]
	v_sub_u32_e32 v5, 29, v5
	v_and_b32_e32 v29, 7, v36
	v_cndmask_b32_e32 v5, v28, v5, vcc
	v_cndmask_b32_e32 v1, v1, v29, vcc
	v_lshlrev_b32_e32 v28, 24, v2
	v_bfrev_b32_e32 v29, 60
	v_lshlrev_b32_e32 v1, 20, v1
	v_and_b32_e32 v28, 0x80000000, v28
	v_lshl_add_u32 v5, v5, 23, v29
	v_or3_b32 v1, v28, v5, v1
.LBB6_2031:                             ;   in Loop: Header=BB6_354 Depth=4
	s_or_b64 exec, exec, s[50:51]
.LBB6_2032:                             ;   in Loop: Header=BB6_354 Depth=4
	s_or_b64 exec, exec, s[48:49]
.LBB6_2033:                             ;   in Loop: Header=BB6_354 Depth=4
	s_or_b64 exec, exec, s[38:39]
	v_cmp_ne_u16_sdwa vcc, v0, v53 src0_sel:BYTE_0 src1_sel:DWORD
	s_and_saveexec_b64 s[38:39], vcc
	s_cbranch_execz .LBB6_2039
; %bb.2034:                             ;   in Loop: Header=BB6_354 Depth=4
	v_cmp_ne_u16_sdwa vcc, v0, s82 src0_sel:BYTE_0 src1_sel:DWORD
	v_bfrev_b32_e32 v3, 1
	s_and_saveexec_b64 s[48:49], vcc
	s_cbranch_execz .LBB6_2038
; %bb.2035:                             ;   in Loop: Header=BB6_354 Depth=4
	v_bfe_u32 v5, v17, 16, 7
	v_cmp_ne_u32_e32 vcc, s83, v5
	v_mov_b32_e32 v3, 0x7f800001
	s_and_saveexec_b64 s[50:51], vcc
	s_cbranch_execz .LBB6_2037
; %bb.2036:                             ;   in Loop: Header=BB6_354 Depth=4
	v_and_b32_e32 v3, 7, v0
	v_lshrrev_b32_e32 v28, 3, v5
	v_cmp_gt_u32_e32 vcc, 8, v5
	v_ffbh_u32_e32 v5, v3
	v_min_u32_e32 v5, 32, v5
	v_subrev_u32_e32 v29, 28, v5
	v_lshlrev_b64 v[36:37], v29, v[0:1]
	v_sub_u32_e32 v5, 29, v5
	v_and_b32_e32 v29, 7, v36
	v_cndmask_b32_e32 v5, v28, v5, vcc
	v_cndmask_b32_e32 v3, v3, v29, vcc
	v_lshlrev_b32_e32 v28, 24, v0
	v_bfrev_b32_e32 v29, 60
	v_lshlrev_b32_e32 v3, 20, v3
	v_and_b32_e32 v28, 0x80000000, v28
	v_lshl_add_u32 v5, v5, 23, v29
	v_or3_b32 v3, v28, v5, v3
.LBB6_2037:                             ;   in Loop: Header=BB6_354 Depth=4
	s_or_b64 exec, exec, s[50:51]
.LBB6_2038:                             ;   in Loop: Header=BB6_354 Depth=4
	s_or_b64 exec, exec, s[48:49]
.LBB6_2039:                             ;   in Loop: Header=BB6_354 Depth=4
	s_or_b64 exec, exec, s[38:39]
	v_max_f32_e32 v3, v3, v3
	v_max_f32_e32 v1, v1, v1
	;; [unrolled: 1-line block ×3, first 2 shown]
	s_mov_b64 s[38:39], 0
.LBB6_2040:                             ;   in Loop: Header=BB6_354 Depth=4
	s_and_b64 vcc, exec, s[38:39]
	s_cbranch_vccz .LBB6_2054
; %bb.2041:                             ;   in Loop: Header=BB6_354 Depth=4
	v_mov_b32_e32 v3, 0
	v_mov_b32_e32 v1, 0
	s_and_saveexec_b64 s[38:39], s[40:41]
	s_cbranch_execz .LBB6_2047
; %bb.2042:                             ;   in Loop: Header=BB6_354 Depth=4
	v_cmp_ne_u16_sdwa vcc, v2, s82 src0_sel:BYTE_0 src1_sel:DWORD
	v_bfrev_b32_e32 v1, 1
	s_and_saveexec_b64 s[40:41], vcc
	s_cbranch_execz .LBB6_2046
; %bb.2043:                             ;   in Loop: Header=BB6_354 Depth=4
	v_bfe_u32 v5, v21, 16, 7
	v_cmp_ne_u32_e32 vcc, s83, v5
	v_mov_b32_e32 v1, 0x7f800001
	s_and_saveexec_b64 s[48:49], vcc
	s_cbranch_execz .LBB6_2045
; %bb.2044:                             ;   in Loop: Header=BB6_354 Depth=4
	v_and_b32_e32 v1, 7, v2
	v_lshrrev_b32_e32 v28, 3, v5
	v_cmp_gt_u32_e32 vcc, 8, v5
	v_ffbh_u32_e32 v5, v1
	v_min_u32_e32 v5, 32, v5
	v_subrev_u32_e32 v29, 28, v5
	v_lshlrev_b64 v[36:37], v29, v[2:3]
	v_sub_u32_e32 v5, 29, v5
	v_and_b32_e32 v29, 7, v36
	v_cndmask_b32_e32 v5, v28, v5, vcc
	v_cndmask_b32_e32 v1, v1, v29, vcc
	v_lshlrev_b32_e32 v2, 24, v2
	v_bfrev_b32_e32 v28, 60
	v_lshlrev_b32_e32 v1, 20, v1
	v_and_b32_e32 v2, 0x80000000, v2
	v_lshl_add_u32 v5, v5, 23, v28
	v_or3_b32 v1, v2, v5, v1
.LBB6_2045:                             ;   in Loop: Header=BB6_354 Depth=4
	s_or_b64 exec, exec, s[48:49]
.LBB6_2046:                             ;   in Loop: Header=BB6_354 Depth=4
	s_or_b64 exec, exec, s[40:41]
.LBB6_2047:                             ;   in Loop: Header=BB6_354 Depth=4
	s_or_b64 exec, exec, s[38:39]
	v_cmp_ne_u16_sdwa vcc, v0, v53 src0_sel:BYTE_0 src1_sel:DWORD
	s_and_saveexec_b64 s[40:41], vcc
	s_cbranch_execz .LBB6_2053
; %bb.2048:                             ;   in Loop: Header=BB6_354 Depth=4
	v_cmp_ne_u16_sdwa vcc, v0, s82 src0_sel:BYTE_0 src1_sel:DWORD
	v_bfrev_b32_e32 v3, 1
	s_and_saveexec_b64 s[38:39], vcc
	s_cbranch_execz .LBB6_2052
; %bb.2049:                             ;   in Loop: Header=BB6_354 Depth=4
	v_bfe_u32 v2, v17, 16, 7
	v_cmp_ne_u32_e32 vcc, s83, v2
	v_mov_b32_e32 v3, 0x7f800001
	s_and_saveexec_b64 s[48:49], vcc
	s_cbranch_execz .LBB6_2051
; %bb.2050:                             ;   in Loop: Header=BB6_354 Depth=4
	v_and_b32_e32 v5, 7, v0
	v_lshrrev_b32_e32 v28, 3, v2
	v_cmp_gt_u32_e32 vcc, 8, v2
	v_ffbh_u32_e32 v2, v5
	v_min_u32_e32 v29, 32, v2
	v_subrev_u32_e32 v2, 28, v29
	v_lshlrev_b64 v[2:3], v2, v[0:1]
	v_sub_u32_e32 v3, 29, v29
	v_and_b32_e32 v2, 7, v2
	v_cndmask_b32_e32 v3, v28, v3, vcc
	v_cndmask_b32_e32 v2, v5, v2, vcc
	v_lshlrev_b32_e32 v0, 24, v0
	v_bfrev_b32_e32 v5, 60
	v_lshlrev_b32_e32 v2, 20, v2
	v_and_b32_e32 v0, 0x80000000, v0
	v_lshl_add_u32 v3, v3, 23, v5
	v_or3_b32 v3, v0, v3, v2
.LBB6_2051:                             ;   in Loop: Header=BB6_354 Depth=4
	s_or_b64 exec, exec, s[48:49]
.LBB6_2052:                             ;   in Loop: Header=BB6_354 Depth=4
	s_or_b64 exec, exec, s[38:39]
.LBB6_2053:                             ;   in Loop: Header=BB6_354 Depth=4
	s_or_b64 exec, exec, s[40:41]
	v_max_f32_e32 v0, v3, v3
	v_max_f32_e32 v1, v1, v1
	v_min_f32_e32 v1, v1, v0
.LBB6_2054:                             ;   in Loop: Header=BB6_354 Depth=4
	v_and_b32_e32 v52, 0x7f800000, v1
	v_cmp_ne_u64_e32 vcc, s[76:77], v[52:53]
                                        ; implicit-def: $vgpr29
	s_and_saveexec_b64 s[40:41], vcc
	s_xor_b64 s[38:39], exec, s[40:41]
	s_cbranch_execz .LBB6_2068
; %bb.2055:                             ;   in Loop: Header=BB6_354 Depth=4
	v_and_b32_e32 v52, 0x7fffffff, v1
	v_cmp_gt_u64_e32 vcc, s[78:79], v[52:53]
	v_and_b32_sdwa v3, v1, s82 dst_sel:DWORD dst_unused:UNUSED_PAD src0_sel:BYTE_3 src1_sel:DWORD
                                        ; implicit-def: $vgpr29
	s_and_saveexec_b64 s[40:41], vcc
	s_xor_b64 s[48:49], exec, s[40:41]
	s_cbranch_execz .LBB6_2065
; %bb.2056:                             ;   in Loop: Header=BB6_354 Depth=4
	v_mov_b32_e32 v29, 0
	v_cmp_ne_u32_e32 vcc, 0, v1
	s_and_saveexec_b64 s[50:51], vcc
	s_cbranch_execz .LBB6_2064
; %bb.2057:                             ;   in Loop: Header=BB6_354 Depth=4
	v_bfe_u32 v5, v1, 23, 8
	v_and_b32_e32 v0, 0x7fffff, v1
	v_cmp_gt_u32_e64 s[40:41], s85, v5
	v_sub_u32_e32 v1, 0x79, v5
	v_cmp_eq_u32_e32 vcc, 0, v5
	v_cndmask_b32_e64 v1, 0, v1, s[40:41]
	v_mov_b32_e32 v28, 0x78
	v_or_b32_e32 v2, 0x800000, v0
	v_cndmask_b32_e32 v36, v1, v28, vcc
	v_cndmask_b32_e32 v52, v2, v0, vcc
	v_add_u32_e32 v0, 20, v36
	v_lshlrev_b64 v[0:1], v0, -1
	v_add_u32_e32 v2, 19, v36
	v_lshlrev_b64 v[37:38], v2, 1
	v_bfi_b32 v1, v1, 0, 0
	v_bfi_b32 v0, v0, 0, v52
	v_cmp_eq_u64_e64 s[40:41], v[0:1], v[37:38]
	v_lshrrev_b64 v[0:1], v36, v[52:53]
	v_mov_b32_e32 v2, v1
	v_mov_b32_e32 v1, v0
	s_and_saveexec_b64 s[52:53], s[40:41]
; %bb.2058:                             ;   in Loop: Header=BB6_354 Depth=4
	v_bfe_u32 v1, v0, 20, 1
	v_add_co_u32_e64 v1, s[40:41], v0, v1
	v_add_co_u32_e64 v1, s[40:41], -1, v1
; %bb.2059:                             ;   in Loop: Header=BB6_354 Depth=4
	s_or_b64 exec, exec, s[52:53]
	v_add_u32_e32 v2, 0xffffff81, v5
	v_mov_b32_e32 v5, 0xffffff82
	v_cndmask_b32_e32 v2, v2, v5, vcc
	v_lshrrev_b32_e32 v5, 23, v0
	v_add3_u32 v36, v36, v2, v5
	v_add_u32_e32 v5, 6, v36
	v_and_b32_e32 v1, 0xfffff, v1
	v_add_u32_e32 v52, v1, v0
	v_cmp_ne_u32_e32 vcc, 0, v5
                                        ; implicit-def: $vgpr0_vgpr1
                                        ; implicit-def: $vgpr2
	s_and_saveexec_b64 s[40:41], vcc
	s_xor_b64 s[40:41], exec, s[40:41]
; %bb.2060:                             ;   in Loop: Header=BB6_354 Depth=4
	v_cmp_lt_u64_e32 vcc, s[88:89], v[52:53]
	v_add_u32_e32 v0, 7, v36
	v_cndmask_b32_e32 v2, v5, v0, vcc
	v_cndmask_b32_e64 v0, 0, 1, vcc
	v_lshrrev_b64 v[0:1], v0, v[52:53]
; %bb.2061:                             ;   in Loop: Header=BB6_354 Depth=4
	s_andn2_saveexec_b64 s[40:41], s[40:41]
; %bb.2062:                             ;   in Loop: Header=BB6_354 Depth=4
	v_mov_b32_e32 v0, v52
	v_bfe_u32 v2, v52, 23, 1
	v_mov_b32_e32 v1, v53
; %bb.2063:                             ;   in Loop: Header=BB6_354 Depth=4
	s_or_b64 exec, exec, s[40:41]
	v_lshrrev_b64 v[0:1], 20, v[0:1]
	v_cmp_gt_i32_e32 vcc, 16, v2
	v_cndmask_b32_e32 v1, 0, v1, vcc
	v_cndmask_b32_e32 v0, 7, v0, vcc
	v_cmp_eq_u64_e64 s[40:41], 0, v[0:1]
	v_min_i32_e32 v1, 15, v2
	v_lshlrev_b32_e32 v1, 3, v1
	v_cmp_eq_u32_e32 vcc, 0, v2
	v_and_b32_e32 v1, 0xf8, v1
	v_and_or_b32 v0, v0, 7, v1
	s_and_b64 s[40:41], vcc, s[40:41]
	v_cndmask_b32_e64 v0, v0, 0, s[40:41]
	v_or_b32_e32 v29, v0, v3
.LBB6_2064:                             ;   in Loop: Header=BB6_354 Depth=4
	s_or_b64 exec, exec, s[50:51]
                                        ; implicit-def: $vgpr3
.LBB6_2065:                             ;   in Loop: Header=BB6_354 Depth=4
	s_andn2_saveexec_b64 s[40:41], s[48:49]
; %bb.2066:                             ;   in Loop: Header=BB6_354 Depth=4
	v_or_b32_e32 v29, 0x7e, v3
; %bb.2067:                             ;   in Loop: Header=BB6_354 Depth=4
	s_or_b64 exec, exec, s[40:41]
                                        ; implicit-def: $vgpr1
.LBB6_2068:                             ;   in Loop: Header=BB6_354 Depth=4
	s_andn2_saveexec_b64 s[40:41], s[38:39]
; %bb.2069:                             ;   in Loop: Header=BB6_354 Depth=4
	v_or_b32_sdwa v29, v1, s83 dst_sel:DWORD dst_unused:UNUSED_PAD src0_sel:BYTE_3 src1_sel:DWORD
; %bb.2070:                             ;   in Loop: Header=BB6_354 Depth=4
	s_or_b64 exec, exec, s[40:41]
	v_cmp_lt_u64_e64 s[40:41], s[62:63], v[20:21]
	v_lshrrev_b32_e32 v2, 24, v21
	v_lshrrev_b32_e32 v0, 24, v17
	s_and_b64 vcc, exec, s[28:29]
	s_mov_b64 s[38:39], -1
                                        ; implicit-def: $vgpr1
	s_cbranch_vccnz .LBB6_2084
; %bb.2071:                             ;   in Loop: Header=BB6_354 Depth=4
	v_mov_b32_e32 v3, 0
	v_mov_b32_e32 v1, 0
	s_and_saveexec_b64 s[38:39], s[40:41]
	s_cbranch_execz .LBB6_2077
; %bb.2072:                             ;   in Loop: Header=BB6_354 Depth=4
	v_cmp_ne_u32_e32 vcc, s82, v2
	v_bfrev_b32_e32 v1, 1
	s_and_saveexec_b64 s[48:49], vcc
	s_cbranch_execz .LBB6_2076
; %bb.2073:                             ;   in Loop: Header=BB6_354 Depth=4
	v_bfe_u32 v5, v21, 24, 7
	v_cmp_ne_u32_e32 vcc, s83, v5
	v_mov_b32_e32 v1, 0x7f800001
	s_and_saveexec_b64 s[50:51], vcc
	s_cbranch_execz .LBB6_2075
; %bb.2074:                             ;   in Loop: Header=BB6_354 Depth=4
	v_and_b32_e32 v1, 7, v2
	v_lshrrev_b32_e32 v20, 3, v5
	v_cmp_gt_u32_e32 vcc, 8, v5
	v_ffbh_u32_e32 v5, v1
	v_min_u32_e32 v5, 32, v5
	v_subrev_u32_e32 v28, 28, v5
	v_lshlrev_b64 v[38:39], v28, v[2:3]
	v_sub_u32_e32 v5, 29, v5
	v_and_b32_e32 v28, 7, v38
	v_cndmask_b32_e32 v5, v20, v5, vcc
	v_cndmask_b32_e32 v1, v1, v28, vcc
	v_lshlrev_b32_e32 v20, 24, v2
	v_bfrev_b32_e32 v28, 60
	v_lshlrev_b32_e32 v1, 20, v1
	v_and_b32_e32 v20, 0x80000000, v20
	v_lshl_add_u32 v5, v5, 23, v28
	v_or3_b32 v1, v20, v5, v1
.LBB6_2075:                             ;   in Loop: Header=BB6_354 Depth=4
	s_or_b64 exec, exec, s[50:51]
.LBB6_2076:                             ;   in Loop: Header=BB6_354 Depth=4
	s_or_b64 exec, exec, s[48:49]
.LBB6_2077:                             ;   in Loop: Header=BB6_354 Depth=4
	s_or_b64 exec, exec, s[38:39]
	v_cmp_lt_u64_e32 vcc, s[62:63], v[16:17]
	s_and_saveexec_b64 s[38:39], vcc
	s_cbranch_execz .LBB6_2083
; %bb.2078:                             ;   in Loop: Header=BB6_354 Depth=4
	v_cmp_ne_u32_e32 vcc, s82, v0
	v_bfrev_b32_e32 v3, 1
	s_and_saveexec_b64 s[48:49], vcc
	s_cbranch_execz .LBB6_2082
; %bb.2079:                             ;   in Loop: Header=BB6_354 Depth=4
	v_bfe_u32 v5, v17, 24, 7
	v_cmp_ne_u32_e32 vcc, s83, v5
	v_mov_b32_e32 v3, 0x7f800001
	s_and_saveexec_b64 s[50:51], vcc
	s_cbranch_execz .LBB6_2081
; %bb.2080:                             ;   in Loop: Header=BB6_354 Depth=4
	v_and_b32_e32 v3, 7, v0
	v_lshrrev_b32_e32 v20, 3, v5
	v_cmp_gt_u32_e32 vcc, 8, v5
	v_ffbh_u32_e32 v5, v3
	v_min_u32_e32 v5, 32, v5
	v_subrev_u32_e32 v28, 28, v5
	v_lshlrev_b64 v[38:39], v28, v[0:1]
	v_sub_u32_e32 v5, 29, v5
	v_and_b32_e32 v28, 7, v38
	v_cndmask_b32_e32 v5, v20, v5, vcc
	v_cndmask_b32_e32 v3, v3, v28, vcc
	v_lshlrev_b32_e32 v20, 24, v0
	v_bfrev_b32_e32 v28, 60
	v_lshlrev_b32_e32 v3, 20, v3
	v_and_b32_e32 v20, 0x80000000, v20
	v_lshl_add_u32 v5, v5, 23, v28
	v_or3_b32 v3, v20, v5, v3
.LBB6_2081:                             ;   in Loop: Header=BB6_354 Depth=4
	s_or_b64 exec, exec, s[50:51]
.LBB6_2082:                             ;   in Loop: Header=BB6_354 Depth=4
	s_or_b64 exec, exec, s[48:49]
.LBB6_2083:                             ;   in Loop: Header=BB6_354 Depth=4
	s_or_b64 exec, exec, s[38:39]
	v_max_f32_e32 v3, v3, v3
	v_max_f32_e32 v1, v1, v1
	;; [unrolled: 1-line block ×3, first 2 shown]
	s_mov_b64 s[38:39], 0
.LBB6_2084:                             ;   in Loop: Header=BB6_354 Depth=4
	s_and_b64 vcc, exec, s[38:39]
	s_cbranch_vccz .LBB6_2098
; %bb.2085:                             ;   in Loop: Header=BB6_354 Depth=4
	v_mov_b32_e32 v3, 0
	v_mov_b32_e32 v1, 0
	s_and_saveexec_b64 s[38:39], s[40:41]
	s_cbranch_execz .LBB6_2091
; %bb.2086:                             ;   in Loop: Header=BB6_354 Depth=4
	v_cmp_ne_u32_e32 vcc, s82, v2
	v_bfrev_b32_e32 v1, 1
	s_and_saveexec_b64 s[40:41], vcc
	s_cbranch_execz .LBB6_2090
; %bb.2087:                             ;   in Loop: Header=BB6_354 Depth=4
	v_bfe_u32 v5, v21, 24, 7
	v_cmp_ne_u32_e32 vcc, s83, v5
	v_mov_b32_e32 v1, 0x7f800001
	s_and_saveexec_b64 s[48:49], vcc
	s_cbranch_execz .LBB6_2089
; %bb.2088:                             ;   in Loop: Header=BB6_354 Depth=4
	v_and_b32_e32 v1, 7, v2
	v_lshrrev_b32_e32 v28, 3, v5
	v_cmp_gt_u32_e32 vcc, 8, v5
	v_ffbh_u32_e32 v5, v1
	v_min_u32_e32 v5, 32, v5
	v_subrev_u32_e32 v20, 28, v5
	v_lshlrev_b64 v[20:21], v20, v[2:3]
	v_sub_u32_e32 v5, 29, v5
	v_and_b32_e32 v20, 7, v20
	v_cndmask_b32_e32 v5, v28, v5, vcc
	v_cndmask_b32_e32 v1, v1, v20, vcc
	v_lshlrev_b32_e32 v2, 24, v2
	v_bfrev_b32_e32 v20, 60
	v_lshlrev_b32_e32 v1, 20, v1
	v_and_b32_e32 v2, 0x80000000, v2
	v_lshl_add_u32 v5, v5, 23, v20
	v_or3_b32 v1, v2, v5, v1
.LBB6_2089:                             ;   in Loop: Header=BB6_354 Depth=4
	s_or_b64 exec, exec, s[48:49]
.LBB6_2090:                             ;   in Loop: Header=BB6_354 Depth=4
	s_or_b64 exec, exec, s[40:41]
.LBB6_2091:                             ;   in Loop: Header=BB6_354 Depth=4
	s_or_b64 exec, exec, s[38:39]
	v_cmp_lt_u64_e32 vcc, s[62:63], v[16:17]
	s_and_saveexec_b64 s[40:41], vcc
	s_cbranch_execz .LBB6_2097
; %bb.2092:                             ;   in Loop: Header=BB6_354 Depth=4
	v_cmp_ne_u32_e32 vcc, s82, v0
	v_bfrev_b32_e32 v3, 1
	s_and_saveexec_b64 s[38:39], vcc
	s_cbranch_execz .LBB6_2096
; %bb.2093:                             ;   in Loop: Header=BB6_354 Depth=4
	v_bfe_u32 v2, v17, 24, 7
	v_cmp_ne_u32_e32 vcc, s83, v2
	v_mov_b32_e32 v3, 0x7f800001
	s_and_saveexec_b64 s[48:49], vcc
	s_cbranch_execz .LBB6_2095
; %bb.2094:                             ;   in Loop: Header=BB6_354 Depth=4
	v_and_b32_e32 v5, 7, v0
	v_lshrrev_b32_e32 v16, 3, v2
	v_cmp_gt_u32_e32 vcc, 8, v2
	v_ffbh_u32_e32 v2, v5
	v_min_u32_e32 v17, 32, v2
	v_subrev_u32_e32 v2, 28, v17
	v_lshlrev_b64 v[2:3], v2, v[0:1]
	v_sub_u32_e32 v3, 29, v17
	v_and_b32_e32 v2, 7, v2
	v_cndmask_b32_e32 v3, v16, v3, vcc
	v_cndmask_b32_e32 v2, v5, v2, vcc
	v_lshlrev_b32_e32 v0, 24, v0
	v_bfrev_b32_e32 v5, 60
	v_lshlrev_b32_e32 v2, 20, v2
	v_and_b32_e32 v0, 0x80000000, v0
	v_lshl_add_u32 v3, v3, 23, v5
	v_or3_b32 v3, v0, v3, v2
.LBB6_2095:                             ;   in Loop: Header=BB6_354 Depth=4
	s_or_b64 exec, exec, s[48:49]
.LBB6_2096:                             ;   in Loop: Header=BB6_354 Depth=4
	s_or_b64 exec, exec, s[38:39]
.LBB6_2097:                             ;   in Loop: Header=BB6_354 Depth=4
	s_or_b64 exec, exec, s[40:41]
	v_max_f32_e32 v0, v3, v3
	v_max_f32_e32 v1, v1, v1
	v_min_f32_e32 v1, v1, v0
.LBB6_2098:                             ;   in Loop: Header=BB6_354 Depth=4
	v_and_b32_e32 v52, 0x7f800000, v1
	v_cmp_ne_u64_e32 vcc, s[76:77], v[52:53]
                                        ; implicit-def: $vgpr20
	s_and_saveexec_b64 s[40:41], vcc
	s_xor_b64 s[38:39], exec, s[40:41]
	s_cbranch_execz .LBB6_2112
; %bb.2099:                             ;   in Loop: Header=BB6_354 Depth=4
	v_and_b32_e32 v52, 0x7fffffff, v1
	v_cmp_gt_u64_e32 vcc, s[78:79], v[52:53]
	v_and_b32_sdwa v3, v1, s82 dst_sel:DWORD dst_unused:UNUSED_PAD src0_sel:BYTE_3 src1_sel:DWORD
                                        ; implicit-def: $vgpr20
	s_and_saveexec_b64 s[40:41], vcc
	s_xor_b64 s[48:49], exec, s[40:41]
	s_cbranch_execz .LBB6_2109
; %bb.2100:                             ;   in Loop: Header=BB6_354 Depth=4
	v_mov_b32_e32 v20, 0
	v_cmp_ne_u32_e32 vcc, 0, v1
	s_and_saveexec_b64 s[50:51], vcc
	s_cbranch_execz .LBB6_2108
; %bb.2101:                             ;   in Loop: Header=BB6_354 Depth=4
	v_bfe_u32 v5, v1, 23, 8
	v_and_b32_e32 v0, 0x7fffff, v1
	v_cmp_gt_u32_e64 s[40:41], s85, v5
	v_sub_u32_e32 v1, 0x79, v5
	v_cmp_eq_u32_e32 vcc, 0, v5
	v_cndmask_b32_e64 v1, 0, v1, s[40:41]
	v_mov_b32_e32 v16, 0x78
	v_or_b32_e32 v2, 0x800000, v0
	v_cndmask_b32_e32 v16, v1, v16, vcc
	v_cndmask_b32_e32 v52, v2, v0, vcc
	v_add_u32_e32 v0, 20, v16
	v_lshlrev_b64 v[0:1], v0, -1
	v_add_u32_e32 v2, 19, v16
	v_lshlrev_b64 v[20:21], v2, 1
	v_bfi_b32 v1, v1, 0, 0
	v_bfi_b32 v0, v0, 0, v52
	v_cmp_eq_u64_e64 s[40:41], v[0:1], v[20:21]
	v_lshrrev_b64 v[0:1], v16, v[52:53]
	v_mov_b32_e32 v2, v1
	v_mov_b32_e32 v1, v0
	s_and_saveexec_b64 s[52:53], s[40:41]
; %bb.2102:                             ;   in Loop: Header=BB6_354 Depth=4
	v_bfe_u32 v1, v0, 20, 1
	v_add_co_u32_e64 v1, s[40:41], v0, v1
	v_add_co_u32_e64 v1, s[40:41], -1, v1
; %bb.2103:                             ;   in Loop: Header=BB6_354 Depth=4
	s_or_b64 exec, exec, s[52:53]
	v_add_u32_e32 v2, 0xffffff81, v5
	v_mov_b32_e32 v5, 0xffffff82
	v_cndmask_b32_e32 v2, v2, v5, vcc
	v_lshrrev_b32_e32 v5, 23, v0
	v_add3_u32 v16, v16, v2, v5
	v_add_u32_e32 v5, 6, v16
	v_and_b32_e32 v1, 0xfffff, v1
	v_add_u32_e32 v52, v1, v0
	v_cmp_ne_u32_e32 vcc, 0, v5
                                        ; implicit-def: $vgpr0_vgpr1
                                        ; implicit-def: $vgpr2
	s_and_saveexec_b64 s[40:41], vcc
	s_xor_b64 s[40:41], exec, s[40:41]
; %bb.2104:                             ;   in Loop: Header=BB6_354 Depth=4
	v_cmp_lt_u64_e32 vcc, s[88:89], v[52:53]
	v_add_u32_e32 v0, 7, v16
	v_cndmask_b32_e32 v2, v5, v0, vcc
	v_cndmask_b32_e64 v0, 0, 1, vcc
	v_lshrrev_b64 v[0:1], v0, v[52:53]
; %bb.2105:                             ;   in Loop: Header=BB6_354 Depth=4
	s_andn2_saveexec_b64 s[40:41], s[40:41]
; %bb.2106:                             ;   in Loop: Header=BB6_354 Depth=4
	v_mov_b32_e32 v0, v52
	v_bfe_u32 v2, v52, 23, 1
	v_mov_b32_e32 v1, v53
; %bb.2107:                             ;   in Loop: Header=BB6_354 Depth=4
	s_or_b64 exec, exec, s[40:41]
	v_lshrrev_b64 v[0:1], 20, v[0:1]
	v_cmp_gt_i32_e32 vcc, 16, v2
	v_cndmask_b32_e32 v1, 0, v1, vcc
	v_cndmask_b32_e32 v0, 7, v0, vcc
	v_cmp_eq_u64_e64 s[40:41], 0, v[0:1]
	v_min_i32_e32 v1, 15, v2
	v_lshlrev_b32_e32 v1, 3, v1
	v_cmp_eq_u32_e32 vcc, 0, v2
	v_and_b32_e32 v1, 0xf8, v1
	v_and_or_b32 v0, v0, 7, v1
	s_and_b64 s[40:41], vcc, s[40:41]
	v_cndmask_b32_e64 v0, v0, 0, s[40:41]
	v_or_b32_e32 v20, v0, v3
.LBB6_2108:                             ;   in Loop: Header=BB6_354 Depth=4
	s_or_b64 exec, exec, s[50:51]
                                        ; implicit-def: $vgpr3
.LBB6_2109:                             ;   in Loop: Header=BB6_354 Depth=4
	s_andn2_saveexec_b64 s[40:41], s[48:49]
; %bb.2110:                             ;   in Loop: Header=BB6_354 Depth=4
	v_or_b32_e32 v20, 0x7e, v3
; %bb.2111:                             ;   in Loop: Header=BB6_354 Depth=4
	s_or_b64 exec, exec, s[40:41]
                                        ; implicit-def: $vgpr1
.LBB6_2112:                             ;   in Loop: Header=BB6_354 Depth=4
	s_andn2_saveexec_b64 s[40:41], s[38:39]
; %bb.2113:                             ;   in Loop: Header=BB6_354 Depth=4
	v_or_b32_sdwa v20, v1, s83 dst_sel:DWORD dst_unused:UNUSED_PAD src0_sel:BYTE_3 src1_sel:DWORD
; %bb.2114:                             ;   in Loop: Header=BB6_354 Depth=4
	s_or_b64 exec, exec, s[40:41]
	v_cmp_ne_u16_sdwa s[40:41], v22, v53 src0_sel:BYTE_0 src1_sel:DWORD
	s_and_b64 vcc, exec, s[28:29]
	s_mov_b64 s[38:39], -1
                                        ; implicit-def: $vgpr0
	s_cbranch_vccnz .LBB6_2128
; %bb.2115:                             ;   in Loop: Header=BB6_354 Depth=4
	v_mov_b32_e32 v1, 0
	v_mov_b32_e32 v0, 0
	s_and_saveexec_b64 s[38:39], s[40:41]
	s_cbranch_execz .LBB6_2121
; %bb.2116:                             ;   in Loop: Header=BB6_354 Depth=4
	v_cmp_ne_u16_sdwa vcc, v22, s82 src0_sel:BYTE_0 src1_sel:DWORD
	v_bfrev_b32_e32 v0, 1
	s_and_saveexec_b64 s[48:49], vcc
	s_cbranch_execz .LBB6_2120
; %bb.2117:                             ;   in Loop: Header=BB6_354 Depth=4
	v_and_b32_e32 v2, 0x7f, v22
	v_cmp_ne_u32_e32 vcc, s83, v2
	v_mov_b32_e32 v0, 0x7f800001
	s_and_saveexec_b64 s[50:51], vcc
	s_cbranch_execz .LBB6_2119
; %bb.2118:                             ;   in Loop: Header=BB6_354 Depth=4
	v_and_b32_e32 v0, 7, v22
	v_ffbh_u32_e32 v0, v0
	v_min_u32_e32 v0, 32, v0
	v_lshrrev_b32_e32 v3, 3, v2
	v_cmp_gt_u32_e32 vcc, 8, v2
	v_subrev_u32_e32 v2, 28, v0
	v_sub_u32_e32 v0, 29, v0
	v_cndmask_b32_e32 v2, 0, v2, vcc
	v_cndmask_b32_e32 v0, v3, v0, vcc
	v_lshlrev_b64 v[2:3], v2, v[22:23]
	v_lshlrev_b32_e32 v3, 24, v22
	v_lshlrev_b32_e32 v2, 20, v2
	v_bfrev_b32_e32 v5, 60
	v_and_b32_e32 v2, 0x700000, v2
	v_and_b32_e32 v3, 0x80000000, v3
	v_lshl_add_u32 v0, v0, 23, v5
	v_or3_b32 v0, v3, v0, v2
.LBB6_2119:                             ;   in Loop: Header=BB6_354 Depth=4
	s_or_b64 exec, exec, s[50:51]
.LBB6_2120:                             ;   in Loop: Header=BB6_354 Depth=4
	s_or_b64 exec, exec, s[48:49]
.LBB6_2121:                             ;   in Loop: Header=BB6_354 Depth=4
	s_or_b64 exec, exec, s[38:39]
	v_cmp_ne_u16_sdwa vcc, v18, v53 src0_sel:BYTE_0 src1_sel:DWORD
	s_and_saveexec_b64 s[38:39], vcc
	s_cbranch_execz .LBB6_2127
; %bb.2122:                             ;   in Loop: Header=BB6_354 Depth=4
	v_cmp_ne_u16_sdwa vcc, v18, s82 src0_sel:BYTE_0 src1_sel:DWORD
	v_bfrev_b32_e32 v1, 1
	s_and_saveexec_b64 s[48:49], vcc
	s_cbranch_execz .LBB6_2126
; %bb.2123:                             ;   in Loop: Header=BB6_354 Depth=4
	v_and_b32_e32 v2, 0x7f, v18
	v_cmp_ne_u32_e32 vcc, s83, v2
	v_mov_b32_e32 v1, 0x7f800001
	s_and_saveexec_b64 s[50:51], vcc
	s_cbranch_execz .LBB6_2125
; %bb.2124:                             ;   in Loop: Header=BB6_354 Depth=4
	v_and_b32_e32 v1, 7, v18
	v_ffbh_u32_e32 v1, v1
	v_min_u32_e32 v1, 32, v1
	v_lshrrev_b32_e32 v3, 3, v2
	v_cmp_gt_u32_e32 vcc, 8, v2
	v_subrev_u32_e32 v2, 28, v1
	v_sub_u32_e32 v1, 29, v1
	v_cndmask_b32_e32 v3, v3, v1, vcc
	v_cndmask_b32_e32 v1, 0, v2, vcc
	v_lshlrev_b64 v[1:2], v1, v[18:19]
	v_lshlrev_b32_e32 v2, 24, v18
	v_lshlrev_b32_e32 v1, 20, v1
	v_bfrev_b32_e32 v5, 60
	v_and_b32_e32 v1, 0x700000, v1
	v_and_b32_e32 v2, 0x80000000, v2
	v_lshl_add_u32 v3, v3, 23, v5
	v_or3_b32 v1, v2, v3, v1
.LBB6_2125:                             ;   in Loop: Header=BB6_354 Depth=4
	s_or_b64 exec, exec, s[50:51]
.LBB6_2126:                             ;   in Loop: Header=BB6_354 Depth=4
	s_or_b64 exec, exec, s[48:49]
.LBB6_2127:                             ;   in Loop: Header=BB6_354 Depth=4
	s_or_b64 exec, exec, s[38:39]
	v_max_f32_e32 v1, v1, v1
	v_max_f32_e32 v0, v0, v0
	;; [unrolled: 1-line block ×3, first 2 shown]
	s_mov_b64 s[38:39], 0
.LBB6_2128:                             ;   in Loop: Header=BB6_354 Depth=4
	s_and_b64 vcc, exec, s[38:39]
	s_cbranch_vccz .LBB6_2142
; %bb.2129:                             ;   in Loop: Header=BB6_354 Depth=4
	v_mov_b32_e32 v1, 0
	v_mov_b32_e32 v0, 0
	s_and_saveexec_b64 s[38:39], s[40:41]
	s_cbranch_execz .LBB6_2135
; %bb.2130:                             ;   in Loop: Header=BB6_354 Depth=4
	v_cmp_ne_u16_sdwa vcc, v22, s82 src0_sel:BYTE_0 src1_sel:DWORD
	v_bfrev_b32_e32 v0, 1
	s_and_saveexec_b64 s[40:41], vcc
	s_cbranch_execz .LBB6_2134
; %bb.2131:                             ;   in Loop: Header=BB6_354 Depth=4
	v_and_b32_e32 v2, 0x7f, v22
	v_cmp_ne_u32_e32 vcc, s83, v2
	v_mov_b32_e32 v0, 0x7f800001
	s_and_saveexec_b64 s[48:49], vcc
	s_cbranch_execz .LBB6_2133
; %bb.2132:                             ;   in Loop: Header=BB6_354 Depth=4
	v_and_b32_e32 v0, 7, v22
	v_ffbh_u32_e32 v0, v0
	v_min_u32_e32 v0, 32, v0
	v_lshrrev_b32_e32 v3, 3, v2
	v_cmp_gt_u32_e32 vcc, 8, v2
	v_subrev_u32_e32 v2, 28, v0
	v_sub_u32_e32 v0, 29, v0
	v_cndmask_b32_e32 v2, 0, v2, vcc
	v_cndmask_b32_e32 v0, v3, v0, vcc
	v_lshlrev_b64 v[2:3], v2, v[22:23]
	v_lshlrev_b32_e32 v3, 24, v22
	v_lshlrev_b32_e32 v2, 20, v2
	v_bfrev_b32_e32 v5, 60
	v_and_b32_e32 v2, 0x700000, v2
	v_and_b32_e32 v3, 0x80000000, v3
	v_lshl_add_u32 v0, v0, 23, v5
	v_or3_b32 v0, v3, v0, v2
.LBB6_2133:                             ;   in Loop: Header=BB6_354 Depth=4
	s_or_b64 exec, exec, s[48:49]
.LBB6_2134:                             ;   in Loop: Header=BB6_354 Depth=4
	s_or_b64 exec, exec, s[40:41]
.LBB6_2135:                             ;   in Loop: Header=BB6_354 Depth=4
	s_or_b64 exec, exec, s[38:39]
	v_cmp_ne_u16_sdwa vcc, v18, v53 src0_sel:BYTE_0 src1_sel:DWORD
	s_and_saveexec_b64 s[40:41], vcc
	s_cbranch_execz .LBB6_2141
; %bb.2136:                             ;   in Loop: Header=BB6_354 Depth=4
	v_cmp_ne_u16_sdwa vcc, v18, s82 src0_sel:BYTE_0 src1_sel:DWORD
	v_bfrev_b32_e32 v1, 1
	s_and_saveexec_b64 s[38:39], vcc
	s_cbranch_execz .LBB6_2140
; %bb.2137:                             ;   in Loop: Header=BB6_354 Depth=4
	v_and_b32_e32 v2, 0x7f, v18
	v_cmp_ne_u32_e32 vcc, s83, v2
	v_mov_b32_e32 v1, 0x7f800001
	s_and_saveexec_b64 s[48:49], vcc
	s_cbranch_execz .LBB6_2139
; %bb.2138:                             ;   in Loop: Header=BB6_354 Depth=4
	v_and_b32_e32 v1, 7, v18
	v_ffbh_u32_e32 v1, v1
	v_min_u32_e32 v1, 32, v1
	v_lshrrev_b32_e32 v3, 3, v2
	v_cmp_gt_u32_e32 vcc, 8, v2
	v_subrev_u32_e32 v2, 28, v1
	v_sub_u32_e32 v1, 29, v1
	v_cndmask_b32_e32 v3, v3, v1, vcc
	v_cndmask_b32_e32 v1, 0, v2, vcc
	v_lshlrev_b64 v[1:2], v1, v[18:19]
	v_lshlrev_b32_e32 v2, 24, v18
	v_lshlrev_b32_e32 v1, 20, v1
	v_bfrev_b32_e32 v5, 60
	v_and_b32_e32 v1, 0x700000, v1
	v_and_b32_e32 v2, 0x80000000, v2
	v_lshl_add_u32 v3, v3, 23, v5
	v_or3_b32 v1, v2, v3, v1
.LBB6_2139:                             ;   in Loop: Header=BB6_354 Depth=4
	s_or_b64 exec, exec, s[48:49]
.LBB6_2140:                             ;   in Loop: Header=BB6_354 Depth=4
	s_or_b64 exec, exec, s[38:39]
.LBB6_2141:                             ;   in Loop: Header=BB6_354 Depth=4
	s_or_b64 exec, exec, s[40:41]
	v_max_f32_e32 v1, v1, v1
	v_max_f32_e32 v0, v0, v0
	v_min_f32_e32 v0, v0, v1
.LBB6_2142:                             ;   in Loop: Header=BB6_354 Depth=4
	v_and_b32_e32 v52, 0x7f800000, v0
	v_cmp_ne_u64_e32 vcc, s[76:77], v[52:53]
                                        ; implicit-def: $vgpr21
	s_and_saveexec_b64 s[40:41], vcc
	s_xor_b64 s[38:39], exec, s[40:41]
	s_cbranch_execz .LBB6_2156
; %bb.2143:                             ;   in Loop: Header=BB6_354 Depth=4
	v_and_b32_e32 v52, 0x7fffffff, v0
	v_cmp_gt_u64_e32 vcc, s[78:79], v[52:53]
	v_and_b32_sdwa v3, v0, s82 dst_sel:DWORD dst_unused:UNUSED_PAD src0_sel:BYTE_3 src1_sel:DWORD
                                        ; implicit-def: $vgpr21
	s_and_saveexec_b64 s[40:41], vcc
	s_xor_b64 s[48:49], exec, s[40:41]
	s_cbranch_execz .LBB6_2153
; %bb.2144:                             ;   in Loop: Header=BB6_354 Depth=4
	v_mov_b32_e32 v21, 0
	v_cmp_ne_u32_e32 vcc, 0, v0
	s_and_saveexec_b64 s[50:51], vcc
	s_cbranch_execz .LBB6_2152
; %bb.2145:                             ;   in Loop: Header=BB6_354 Depth=4
	v_bfe_u32 v5, v0, 23, 8
	v_and_b32_e32 v1, 0x7fffff, v0
	v_cmp_gt_u32_e64 s[40:41], s85, v5
	v_sub_u32_e32 v0, 0x79, v5
	v_cmp_eq_u32_e32 vcc, 0, v5
	v_cndmask_b32_e64 v0, 0, v0, s[40:41]
	v_mov_b32_e32 v16, 0x78
	v_cndmask_b32_e32 v16, v0, v16, vcc
	v_or_b32_e32 v2, 0x800000, v1
	v_add_u32_e32 v0, 20, v16
	v_cndmask_b32_e32 v52, v2, v1, vcc
	v_lshlrev_b64 v[0:1], v0, -1
	v_add_u32_e32 v2, 19, v16
	v_lshlrev_b64 v[38:39], v2, 1
	v_bfi_b32 v1, v1, 0, 0
	v_bfi_b32 v0, v0, 0, v52
	v_cmp_eq_u64_e64 s[40:41], v[0:1], v[38:39]
	v_lshrrev_b64 v[0:1], v16, v[52:53]
	v_mov_b32_e32 v2, v1
	v_mov_b32_e32 v1, v0
	s_and_saveexec_b64 s[52:53], s[40:41]
; %bb.2146:                             ;   in Loop: Header=BB6_354 Depth=4
	v_bfe_u32 v1, v0, 20, 1
	v_add_co_u32_e64 v1, s[40:41], v0, v1
	v_add_co_u32_e64 v1, s[40:41], -1, v1
; %bb.2147:                             ;   in Loop: Header=BB6_354 Depth=4
	s_or_b64 exec, exec, s[52:53]
	v_add_u32_e32 v2, 0xffffff81, v5
	v_mov_b32_e32 v5, 0xffffff82
	v_cndmask_b32_e32 v2, v2, v5, vcc
	v_lshrrev_b32_e32 v5, 23, v0
	v_add3_u32 v16, v16, v2, v5
	v_add_u32_e32 v5, 6, v16
	v_and_b32_e32 v1, 0xfffff, v1
	v_add_u32_e32 v52, v1, v0
	v_cmp_ne_u32_e32 vcc, 0, v5
                                        ; implicit-def: $vgpr0_vgpr1
                                        ; implicit-def: $vgpr2
	s_and_saveexec_b64 s[40:41], vcc
	s_xor_b64 s[40:41], exec, s[40:41]
; %bb.2148:                             ;   in Loop: Header=BB6_354 Depth=4
	v_cmp_lt_u64_e32 vcc, s[88:89], v[52:53]
	v_add_u32_e32 v0, 7, v16
	v_cndmask_b32_e32 v2, v5, v0, vcc
	v_cndmask_b32_e64 v0, 0, 1, vcc
	v_lshrrev_b64 v[0:1], v0, v[52:53]
; %bb.2149:                             ;   in Loop: Header=BB6_354 Depth=4
	s_andn2_saveexec_b64 s[40:41], s[40:41]
; %bb.2150:                             ;   in Loop: Header=BB6_354 Depth=4
	v_mov_b32_e32 v0, v52
	v_bfe_u32 v2, v52, 23, 1
	v_mov_b32_e32 v1, v53
; %bb.2151:                             ;   in Loop: Header=BB6_354 Depth=4
	s_or_b64 exec, exec, s[40:41]
	v_lshrrev_b64 v[0:1], 20, v[0:1]
	v_cmp_gt_i32_e32 vcc, 16, v2
	v_cndmask_b32_e32 v1, 0, v1, vcc
	v_cndmask_b32_e32 v0, 7, v0, vcc
	v_cmp_eq_u64_e64 s[40:41], 0, v[0:1]
	v_min_i32_e32 v1, 15, v2
	v_lshlrev_b32_e32 v1, 3, v1
	v_cmp_eq_u32_e32 vcc, 0, v2
	v_and_b32_e32 v1, 0xf8, v1
	v_and_or_b32 v0, v0, 7, v1
	s_and_b64 s[40:41], vcc, s[40:41]
	v_cndmask_b32_e64 v0, v0, 0, s[40:41]
	v_or_b32_e32 v21, v0, v3
.LBB6_2152:                             ;   in Loop: Header=BB6_354 Depth=4
	s_or_b64 exec, exec, s[50:51]
                                        ; implicit-def: $vgpr3
.LBB6_2153:                             ;   in Loop: Header=BB6_354 Depth=4
	s_andn2_saveexec_b64 s[40:41], s[48:49]
; %bb.2154:                             ;   in Loop: Header=BB6_354 Depth=4
	v_or_b32_e32 v21, 0x7e, v3
; %bb.2155:                             ;   in Loop: Header=BB6_354 Depth=4
	s_or_b64 exec, exec, s[40:41]
                                        ; implicit-def: $vgpr0
.LBB6_2156:                             ;   in Loop: Header=BB6_354 Depth=4
	s_andn2_saveexec_b64 s[40:41], s[38:39]
; %bb.2157:                             ;   in Loop: Header=BB6_354 Depth=4
	v_or_b32_sdwa v21, v0, s83 dst_sel:DWORD dst_unused:UNUSED_PAD src0_sel:BYTE_3 src1_sel:DWORD
; %bb.2158:                             ;   in Loop: Header=BB6_354 Depth=4
	s_or_b64 exec, exec, s[40:41]
	v_lshrrev_b16_e32 v2, 8, v22
	v_lshrrev_b16_e32 v0, 8, v18
	v_cmp_ne_u16_e64 s[40:41], 0, v2
	s_and_b64 vcc, exec, s[28:29]
	s_mov_b64 s[38:39], -1
                                        ; implicit-def: $vgpr1
	s_cbranch_vccnz .LBB6_2172
; %bb.2159:                             ;   in Loop: Header=BB6_354 Depth=4
	v_mov_b32_e32 v3, 0
	v_mov_b32_e32 v1, 0
	s_and_saveexec_b64 s[38:39], s[40:41]
	s_cbranch_execz .LBB6_2165
; %bb.2160:                             ;   in Loop: Header=BB6_354 Depth=4
	v_cmp_ne_u16_e32 vcc, s82, v2
	v_bfrev_b32_e32 v1, 1
	s_and_saveexec_b64 s[48:49], vcc
	s_cbranch_execz .LBB6_2164
; %bb.2161:                             ;   in Loop: Header=BB6_354 Depth=4
	v_and_b32_e32 v5, 0x7f, v2
	v_cmp_ne_u32_e32 vcc, s83, v5
	v_mov_b32_e32 v1, 0x7f800001
	s_and_saveexec_b64 s[50:51], vcc
	s_cbranch_execz .LBB6_2163
; %bb.2162:                             ;   in Loop: Header=BB6_354 Depth=4
	v_and_b32_e32 v1, 7, v2
	v_lshrrev_b32_e32 v28, 3, v5
	v_cmp_gt_u32_e32 vcc, 8, v5
	v_ffbh_u32_e32 v5, v1
	v_min_u32_e32 v5, 32, v5
	v_subrev_u32_e32 v16, 28, v5
	v_lshlrev_b64 v[16:17], v16, v[2:3]
	v_sub_u32_e32 v5, 29, v5
	v_and_b32_e32 v16, 7, v16
	v_cndmask_b32_e32 v5, v28, v5, vcc
	v_cndmask_b32_e32 v1, v1, v16, vcc
	v_lshlrev_b32_e32 v16, 16, v22
	v_bfrev_b32_e32 v17, 60
	v_lshlrev_b32_e32 v1, 20, v1
	v_and_b32_e32 v16, 0x80000000, v16
	v_lshl_add_u32 v5, v5, 23, v17
	v_or3_b32 v1, v16, v5, v1
.LBB6_2163:                             ;   in Loop: Header=BB6_354 Depth=4
	s_or_b64 exec, exec, s[50:51]
.LBB6_2164:                             ;   in Loop: Header=BB6_354 Depth=4
	s_or_b64 exec, exec, s[48:49]
.LBB6_2165:                             ;   in Loop: Header=BB6_354 Depth=4
	s_or_b64 exec, exec, s[38:39]
	v_cmp_ne_u16_e32 vcc, 0, v0
	s_and_saveexec_b64 s[38:39], vcc
	s_cbranch_execz .LBB6_2171
; %bb.2166:                             ;   in Loop: Header=BB6_354 Depth=4
	v_cmp_ne_u16_e32 vcc, s82, v0
	v_bfrev_b32_e32 v3, 1
	s_and_saveexec_b64 s[48:49], vcc
	s_cbranch_execz .LBB6_2170
; %bb.2167:                             ;   in Loop: Header=BB6_354 Depth=4
	v_and_b32_e32 v5, 0x7f, v0
	v_cmp_ne_u32_e32 vcc, s83, v5
	v_mov_b32_e32 v3, 0x7f800001
	s_and_saveexec_b64 s[50:51], vcc
	s_cbranch_execz .LBB6_2169
; %bb.2168:                             ;   in Loop: Header=BB6_354 Depth=4
	v_and_b32_e32 v3, 7, v0
	v_lshrrev_b32_e32 v28, 3, v5
	v_cmp_gt_u32_e32 vcc, 8, v5
	v_ffbh_u32_e32 v5, v3
	v_min_u32_e32 v5, 32, v5
	v_subrev_u32_e32 v16, 28, v5
	v_lshlrev_b64 v[16:17], v16, v[0:1]
	v_sub_u32_e32 v5, 29, v5
	v_and_b32_e32 v16, 7, v16
	v_cndmask_b32_e32 v5, v28, v5, vcc
	v_cndmask_b32_e32 v3, v3, v16, vcc
	v_lshlrev_b32_e32 v16, 16, v18
	v_bfrev_b32_e32 v17, 60
	v_lshlrev_b32_e32 v3, 20, v3
	v_and_b32_e32 v16, 0x80000000, v16
	v_lshl_add_u32 v5, v5, 23, v17
	v_or3_b32 v3, v16, v5, v3
.LBB6_2169:                             ;   in Loop: Header=BB6_354 Depth=4
	s_or_b64 exec, exec, s[50:51]
.LBB6_2170:                             ;   in Loop: Header=BB6_354 Depth=4
	s_or_b64 exec, exec, s[48:49]
.LBB6_2171:                             ;   in Loop: Header=BB6_354 Depth=4
	s_or_b64 exec, exec, s[38:39]
	v_max_f32_e32 v3, v3, v3
	v_max_f32_e32 v1, v1, v1
	;; [unrolled: 1-line block ×3, first 2 shown]
	s_mov_b64 s[38:39], 0
.LBB6_2172:                             ;   in Loop: Header=BB6_354 Depth=4
	s_and_b64 vcc, exec, s[38:39]
	s_cbranch_vccz .LBB6_2186
; %bb.2173:                             ;   in Loop: Header=BB6_354 Depth=4
	v_mov_b32_e32 v3, 0
	v_mov_b32_e32 v1, 0
	s_and_saveexec_b64 s[38:39], s[40:41]
	s_cbranch_execz .LBB6_2179
; %bb.2174:                             ;   in Loop: Header=BB6_354 Depth=4
	v_cmp_ne_u16_e32 vcc, s82, v2
	v_bfrev_b32_e32 v1, 1
	s_and_saveexec_b64 s[40:41], vcc
	s_cbranch_execz .LBB6_2178
; %bb.2175:                             ;   in Loop: Header=BB6_354 Depth=4
	v_and_b32_e32 v5, 0x7f, v2
	v_cmp_ne_u32_e32 vcc, s83, v5
	v_mov_b32_e32 v1, 0x7f800001
	s_and_saveexec_b64 s[48:49], vcc
	s_cbranch_execz .LBB6_2177
; %bb.2176:                             ;   in Loop: Header=BB6_354 Depth=4
	v_and_b32_e32 v16, 7, v2
	v_ffbh_u32_e32 v1, v16
	v_lshrrev_b32_e32 v17, 3, v5
	v_cmp_gt_u32_e32 vcc, 8, v5
	v_min_u32_e32 v5, 32, v1
	v_subrev_u32_e32 v1, 28, v5
	v_lshlrev_b64 v[1:2], v1, v[2:3]
	v_sub_u32_e32 v2, 29, v5
	v_and_b32_e32 v1, 7, v1
	v_cndmask_b32_e32 v2, v17, v2, vcc
	v_cndmask_b32_e32 v1, v16, v1, vcc
	v_lshlrev_b32_e32 v5, 16, v22
	v_bfrev_b32_e32 v16, 60
	v_lshlrev_b32_e32 v1, 20, v1
	v_and_b32_e32 v5, 0x80000000, v5
	v_lshl_add_u32 v2, v2, 23, v16
	v_or3_b32 v1, v5, v2, v1
.LBB6_2177:                             ;   in Loop: Header=BB6_354 Depth=4
	s_or_b64 exec, exec, s[48:49]
.LBB6_2178:                             ;   in Loop: Header=BB6_354 Depth=4
	s_or_b64 exec, exec, s[40:41]
.LBB6_2179:                             ;   in Loop: Header=BB6_354 Depth=4
	s_or_b64 exec, exec, s[38:39]
	v_cmp_ne_u16_e32 vcc, 0, v0
	s_and_saveexec_b64 s[40:41], vcc
	s_cbranch_execz .LBB6_2185
; %bb.2180:                             ;   in Loop: Header=BB6_354 Depth=4
	v_cmp_ne_u16_e32 vcc, s82, v0
	v_bfrev_b32_e32 v3, 1
	s_and_saveexec_b64 s[38:39], vcc
	s_cbranch_execz .LBB6_2184
; %bb.2181:                             ;   in Loop: Header=BB6_354 Depth=4
	v_and_b32_e32 v2, 0x7f, v0
	v_cmp_ne_u32_e32 vcc, s83, v2
	v_mov_b32_e32 v3, 0x7f800001
	s_and_saveexec_b64 s[48:49], vcc
	s_cbranch_execz .LBB6_2183
; %bb.2182:                             ;   in Loop: Header=BB6_354 Depth=4
	v_and_b32_e32 v5, 7, v0
	v_lshrrev_b32_e32 v16, 3, v2
	v_cmp_gt_u32_e32 vcc, 8, v2
	v_ffbh_u32_e32 v2, v5
	v_min_u32_e32 v17, 32, v2
	v_subrev_u32_e32 v2, 28, v17
	v_lshlrev_b64 v[2:3], v2, v[0:1]
	v_sub_u32_e32 v0, 29, v17
	v_and_b32_e32 v2, 7, v2
	v_cndmask_b32_e32 v0, v16, v0, vcc
	v_cndmask_b32_e32 v2, v5, v2, vcc
	v_lshlrev_b32_e32 v3, 16, v18
	v_bfrev_b32_e32 v5, 60
	v_lshlrev_b32_e32 v2, 20, v2
	v_and_b32_e32 v3, 0x80000000, v3
	v_lshl_add_u32 v0, v0, 23, v5
	v_or3_b32 v3, v3, v0, v2
.LBB6_2183:                             ;   in Loop: Header=BB6_354 Depth=4
	s_or_b64 exec, exec, s[48:49]
.LBB6_2184:                             ;   in Loop: Header=BB6_354 Depth=4
	s_or_b64 exec, exec, s[38:39]
.LBB6_2185:                             ;   in Loop: Header=BB6_354 Depth=4
	s_or_b64 exec, exec, s[40:41]
	v_max_f32_e32 v0, v3, v3
	v_max_f32_e32 v1, v1, v1
	v_min_f32_e32 v1, v1, v0
.LBB6_2186:                             ;   in Loop: Header=BB6_354 Depth=4
	v_and_b32_e32 v52, 0x7f800000, v1
	v_cmp_ne_u64_e32 vcc, s[76:77], v[52:53]
	v_mov_b32_e32 v37, v25
	v_mov_b32_e32 v25, v24
	v_mov_b32_e32 v24, v35
	v_mov_b32_e32 v35, v34
	v_mov_b32_e32 v34, v26
	v_mov_b32_e32 v26, v49
	v_mov_b32_e32 v49, v4
	v_mov_b32_e32 v4, v48
	v_mov_b32_e32 v48, v32
	buffer_store_dword v40, off, s[0:3], s33 offset:180 ; 4-byte Folded Spill
                                        ; implicit-def: $vgpr40
	s_and_saveexec_b64 s[40:41], vcc
	s_xor_b64 s[38:39], exec, s[40:41]
	s_cbranch_execz .LBB6_2200
; %bb.2187:                             ;   in Loop: Header=BB6_354 Depth=4
	v_and_b32_e32 v52, 0x7fffffff, v1
	v_cmp_gt_u64_e32 vcc, s[78:79], v[52:53]
	v_and_b32_sdwa v3, v1, s82 dst_sel:DWORD dst_unused:UNUSED_PAD src0_sel:BYTE_3 src1_sel:DWORD
                                        ; implicit-def: $vgpr40
	s_and_saveexec_b64 s[40:41], vcc
	s_xor_b64 s[48:49], exec, s[40:41]
	s_cbranch_execz .LBB6_2197
; %bb.2188:                             ;   in Loop: Header=BB6_354 Depth=4
	v_mov_b32_e32 v40, 0
	v_cmp_ne_u32_e32 vcc, 0, v1
	s_and_saveexec_b64 s[50:51], vcc
	s_cbranch_execz .LBB6_2196
; %bb.2189:                             ;   in Loop: Header=BB6_354 Depth=4
	v_bfe_u32 v5, v1, 23, 8
	v_and_b32_e32 v0, 0x7fffff, v1
	v_cmp_gt_u32_e64 s[40:41], s85, v5
	v_sub_u32_e32 v1, 0x79, v5
	v_cmp_eq_u32_e32 vcc, 0, v5
	v_cndmask_b32_e64 v1, 0, v1, s[40:41]
	v_mov_b32_e32 v16, 0x78
	v_or_b32_e32 v2, 0x800000, v0
	v_cndmask_b32_e32 v16, v1, v16, vcc
	v_cndmask_b32_e32 v52, v2, v0, vcc
	v_add_u32_e32 v0, 20, v16
	v_lshlrev_b64 v[0:1], v0, -1
	v_add_u32_e32 v2, 19, v16
	v_lshlrev_b64 v[38:39], v2, 1
	v_bfi_b32 v1, v1, 0, 0
	v_bfi_b32 v0, v0, 0, v52
	v_cmp_eq_u64_e64 s[40:41], v[0:1], v[38:39]
	v_lshrrev_b64 v[0:1], v16, v[52:53]
	v_mov_b32_e32 v2, v1
	v_mov_b32_e32 v1, v0
	s_and_saveexec_b64 s[52:53], s[40:41]
; %bb.2190:                             ;   in Loop: Header=BB6_354 Depth=4
	v_bfe_u32 v1, v0, 20, 1
	v_add_co_u32_e64 v1, s[40:41], v0, v1
	v_add_co_u32_e64 v1, s[40:41], -1, v1
; %bb.2191:                             ;   in Loop: Header=BB6_354 Depth=4
	s_or_b64 exec, exec, s[52:53]
	v_add_u32_e32 v2, 0xffffff81, v5
	v_mov_b32_e32 v5, 0xffffff82
	v_cndmask_b32_e32 v2, v2, v5, vcc
	v_lshrrev_b32_e32 v5, 23, v0
	v_add3_u32 v16, v16, v2, v5
	v_add_u32_e32 v5, 6, v16
	v_and_b32_e32 v1, 0xfffff, v1
	v_add_u32_e32 v52, v1, v0
	v_cmp_ne_u32_e32 vcc, 0, v5
                                        ; implicit-def: $vgpr0_vgpr1
                                        ; implicit-def: $vgpr2
	s_and_saveexec_b64 s[40:41], vcc
	s_xor_b64 s[40:41], exec, s[40:41]
; %bb.2192:                             ;   in Loop: Header=BB6_354 Depth=4
	v_cmp_lt_u64_e32 vcc, s[88:89], v[52:53]
	v_add_u32_e32 v0, 7, v16
	v_cndmask_b32_e32 v2, v5, v0, vcc
	v_cndmask_b32_e64 v0, 0, 1, vcc
	v_lshrrev_b64 v[0:1], v0, v[52:53]
; %bb.2193:                             ;   in Loop: Header=BB6_354 Depth=4
	s_andn2_saveexec_b64 s[40:41], s[40:41]
; %bb.2194:                             ;   in Loop: Header=BB6_354 Depth=4
	v_mov_b32_e32 v0, v52
	v_bfe_u32 v2, v52, 23, 1
	v_mov_b32_e32 v1, v53
; %bb.2195:                             ;   in Loop: Header=BB6_354 Depth=4
	s_or_b64 exec, exec, s[40:41]
	v_lshrrev_b64 v[0:1], 20, v[0:1]
	v_cmp_gt_i32_e32 vcc, 16, v2
	v_cndmask_b32_e32 v1, 0, v1, vcc
	v_cndmask_b32_e32 v0, 7, v0, vcc
	v_cmp_eq_u64_e64 s[40:41], 0, v[0:1]
	v_min_i32_e32 v1, 15, v2
	v_lshlrev_b32_e32 v1, 3, v1
	v_cmp_eq_u32_e32 vcc, 0, v2
	v_and_b32_e32 v1, 0xf8, v1
	v_and_or_b32 v0, v0, 7, v1
	s_and_b64 s[40:41], vcc, s[40:41]
	v_cndmask_b32_e64 v0, v0, 0, s[40:41]
	v_or_b32_e32 v40, v0, v3
.LBB6_2196:                             ;   in Loop: Header=BB6_354 Depth=4
	s_or_b64 exec, exec, s[50:51]
                                        ; implicit-def: $vgpr3
.LBB6_2197:                             ;   in Loop: Header=BB6_354 Depth=4
	s_andn2_saveexec_b64 s[40:41], s[48:49]
; %bb.2198:                             ;   in Loop: Header=BB6_354 Depth=4
	v_or_b32_e32 v40, 0x7e, v3
; %bb.2199:                             ;   in Loop: Header=BB6_354 Depth=4
	s_or_b64 exec, exec, s[40:41]
                                        ; implicit-def: $vgpr1
.LBB6_2200:                             ;   in Loop: Header=BB6_354 Depth=4
	s_andn2_saveexec_b64 s[40:41], s[38:39]
; %bb.2201:                             ;   in Loop: Header=BB6_354 Depth=4
	v_or_b32_sdwa v40, v1, s83 dst_sel:DWORD dst_unused:UNUSED_PAD src0_sel:BYTE_3 src1_sel:DWORD
; %bb.2202:                             ;   in Loop: Header=BB6_354 Depth=4
	s_or_b64 exec, exec, s[40:41]
	v_lshrrev_b32_e32 v2, 16, v22
	v_lshrrev_b32_e32 v0, 16, v18
	v_cmp_ne_u16_sdwa s[40:41], v2, v53 src0_sel:BYTE_0 src1_sel:DWORD
	s_and_b64 vcc, exec, s[28:29]
	s_mov_b64 s[38:39], -1
                                        ; implicit-def: $vgpr1
	s_cbranch_vccnz .LBB6_2216
; %bb.2203:                             ;   in Loop: Header=BB6_354 Depth=4
	v_mov_b32_e32 v3, 0
	v_mov_b32_e32 v1, 0
	s_and_saveexec_b64 s[38:39], s[40:41]
	s_cbranch_execz .LBB6_2209
; %bb.2204:                             ;   in Loop: Header=BB6_354 Depth=4
	v_cmp_ne_u16_sdwa vcc, v2, s82 src0_sel:BYTE_0 src1_sel:DWORD
	v_bfrev_b32_e32 v1, 1
	s_and_saveexec_b64 s[48:49], vcc
	s_cbranch_execz .LBB6_2208
; %bb.2205:                             ;   in Loop: Header=BB6_354 Depth=4
	v_bfe_u32 v5, v22, 16, 7
	v_cmp_ne_u32_e32 vcc, s83, v5
	v_mov_b32_e32 v1, 0x7f800001
	s_and_saveexec_b64 s[50:51], vcc
	s_cbranch_execz .LBB6_2207
; %bb.2206:                             ;   in Loop: Header=BB6_354 Depth=4
	v_and_b32_e32 v1, 7, v2
	v_lshrrev_b32_e32 v28, 3, v5
	v_cmp_gt_u32_e32 vcc, 8, v5
	v_ffbh_u32_e32 v5, v1
	v_min_u32_e32 v5, 32, v5
	v_subrev_u32_e32 v16, 28, v5
	v_lshlrev_b64 v[16:17], v16, v[2:3]
	v_sub_u32_e32 v5, 29, v5
	v_and_b32_e32 v16, 7, v16
	v_cndmask_b32_e32 v5, v28, v5, vcc
	v_cndmask_b32_e32 v1, v1, v16, vcc
	v_lshlrev_b32_e32 v16, 24, v2
	v_bfrev_b32_e32 v17, 60
	v_lshlrev_b32_e32 v1, 20, v1
	v_and_b32_e32 v16, 0x80000000, v16
	v_lshl_add_u32 v5, v5, 23, v17
	v_or3_b32 v1, v16, v5, v1
.LBB6_2207:                             ;   in Loop: Header=BB6_354 Depth=4
	s_or_b64 exec, exec, s[50:51]
.LBB6_2208:                             ;   in Loop: Header=BB6_354 Depth=4
	s_or_b64 exec, exec, s[48:49]
.LBB6_2209:                             ;   in Loop: Header=BB6_354 Depth=4
	s_or_b64 exec, exec, s[38:39]
	v_cmp_ne_u16_sdwa vcc, v0, v53 src0_sel:BYTE_0 src1_sel:DWORD
	s_and_saveexec_b64 s[38:39], vcc
	s_cbranch_execz .LBB6_2215
; %bb.2210:                             ;   in Loop: Header=BB6_354 Depth=4
	v_cmp_ne_u16_sdwa vcc, v0, s82 src0_sel:BYTE_0 src1_sel:DWORD
	v_bfrev_b32_e32 v3, 1
	s_and_saveexec_b64 s[48:49], vcc
	s_cbranch_execz .LBB6_2214
; %bb.2211:                             ;   in Loop: Header=BB6_354 Depth=4
	v_bfe_u32 v5, v18, 16, 7
	v_cmp_ne_u32_e32 vcc, s83, v5
	v_mov_b32_e32 v3, 0x7f800001
	s_and_saveexec_b64 s[50:51], vcc
	s_cbranch_execz .LBB6_2213
; %bb.2212:                             ;   in Loop: Header=BB6_354 Depth=4
	v_and_b32_e32 v3, 7, v0
	v_lshrrev_b32_e32 v28, 3, v5
	v_cmp_gt_u32_e32 vcc, 8, v5
	v_ffbh_u32_e32 v5, v3
	v_min_u32_e32 v5, 32, v5
	v_subrev_u32_e32 v16, 28, v5
	v_lshlrev_b64 v[16:17], v16, v[0:1]
	v_sub_u32_e32 v5, 29, v5
	v_and_b32_e32 v16, 7, v16
	v_cndmask_b32_e32 v5, v28, v5, vcc
	v_cndmask_b32_e32 v3, v3, v16, vcc
	v_lshlrev_b32_e32 v16, 24, v0
	v_bfrev_b32_e32 v17, 60
	v_lshlrev_b32_e32 v3, 20, v3
	v_and_b32_e32 v16, 0x80000000, v16
	v_lshl_add_u32 v5, v5, 23, v17
	v_or3_b32 v3, v16, v5, v3
.LBB6_2213:                             ;   in Loop: Header=BB6_354 Depth=4
	s_or_b64 exec, exec, s[50:51]
.LBB6_2214:                             ;   in Loop: Header=BB6_354 Depth=4
	s_or_b64 exec, exec, s[48:49]
.LBB6_2215:                             ;   in Loop: Header=BB6_354 Depth=4
	s_or_b64 exec, exec, s[38:39]
	v_max_f32_e32 v3, v3, v3
	v_max_f32_e32 v1, v1, v1
	;; [unrolled: 1-line block ×3, first 2 shown]
	s_mov_b64 s[38:39], 0
.LBB6_2216:                             ;   in Loop: Header=BB6_354 Depth=4
	s_and_b64 vcc, exec, s[38:39]
	s_cbranch_vccz .LBB6_2230
; %bb.2217:                             ;   in Loop: Header=BB6_354 Depth=4
	v_mov_b32_e32 v3, 0
	v_mov_b32_e32 v1, 0
	s_and_saveexec_b64 s[38:39], s[40:41]
	s_cbranch_execz .LBB6_2223
; %bb.2218:                             ;   in Loop: Header=BB6_354 Depth=4
	v_cmp_ne_u16_sdwa vcc, v2, s82 src0_sel:BYTE_0 src1_sel:DWORD
	v_bfrev_b32_e32 v1, 1
	s_and_saveexec_b64 s[40:41], vcc
	s_cbranch_execz .LBB6_2222
; %bb.2219:                             ;   in Loop: Header=BB6_354 Depth=4
	v_bfe_u32 v5, v22, 16, 7
	v_cmp_ne_u32_e32 vcc, s83, v5
	v_mov_b32_e32 v1, 0x7f800001
	s_and_saveexec_b64 s[48:49], vcc
	s_cbranch_execz .LBB6_2221
; %bb.2220:                             ;   in Loop: Header=BB6_354 Depth=4
	v_and_b32_e32 v1, 7, v2
	v_lshrrev_b32_e32 v28, 3, v5
	v_cmp_gt_u32_e32 vcc, 8, v5
	v_ffbh_u32_e32 v5, v1
	v_min_u32_e32 v5, 32, v5
	v_subrev_u32_e32 v16, 28, v5
	v_lshlrev_b64 v[16:17], v16, v[2:3]
	v_sub_u32_e32 v5, 29, v5
	v_and_b32_e32 v16, 7, v16
	v_cndmask_b32_e32 v5, v28, v5, vcc
	v_cndmask_b32_e32 v1, v1, v16, vcc
	v_lshlrev_b32_e32 v2, 24, v2
	v_bfrev_b32_e32 v16, 60
	v_lshlrev_b32_e32 v1, 20, v1
	v_and_b32_e32 v2, 0x80000000, v2
	v_lshl_add_u32 v5, v5, 23, v16
	v_or3_b32 v1, v2, v5, v1
.LBB6_2221:                             ;   in Loop: Header=BB6_354 Depth=4
	s_or_b64 exec, exec, s[48:49]
.LBB6_2222:                             ;   in Loop: Header=BB6_354 Depth=4
	s_or_b64 exec, exec, s[40:41]
.LBB6_2223:                             ;   in Loop: Header=BB6_354 Depth=4
	s_or_b64 exec, exec, s[38:39]
	v_cmp_ne_u16_sdwa vcc, v0, v53 src0_sel:BYTE_0 src1_sel:DWORD
	s_and_saveexec_b64 s[40:41], vcc
	s_cbranch_execz .LBB6_2229
; %bb.2224:                             ;   in Loop: Header=BB6_354 Depth=4
	v_cmp_ne_u16_sdwa vcc, v0, s82 src0_sel:BYTE_0 src1_sel:DWORD
	v_bfrev_b32_e32 v3, 1
	s_and_saveexec_b64 s[38:39], vcc
	s_cbranch_execz .LBB6_2228
; %bb.2225:                             ;   in Loop: Header=BB6_354 Depth=4
	v_bfe_u32 v2, v18, 16, 7
	v_cmp_ne_u32_e32 vcc, s83, v2
	v_mov_b32_e32 v3, 0x7f800001
	s_and_saveexec_b64 s[48:49], vcc
	s_cbranch_execz .LBB6_2227
; %bb.2226:                             ;   in Loop: Header=BB6_354 Depth=4
	v_and_b32_e32 v5, 7, v0
	v_lshrrev_b32_e32 v16, 3, v2
	v_cmp_gt_u32_e32 vcc, 8, v2
	v_ffbh_u32_e32 v2, v5
	v_min_u32_e32 v17, 32, v2
	v_subrev_u32_e32 v2, 28, v17
	v_lshlrev_b64 v[2:3], v2, v[0:1]
	v_sub_u32_e32 v3, 29, v17
	v_and_b32_e32 v2, 7, v2
	v_cndmask_b32_e32 v3, v16, v3, vcc
	v_cndmask_b32_e32 v2, v5, v2, vcc
	v_lshlrev_b32_e32 v0, 24, v0
	v_bfrev_b32_e32 v5, 60
	v_lshlrev_b32_e32 v2, 20, v2
	v_and_b32_e32 v0, 0x80000000, v0
	v_lshl_add_u32 v3, v3, 23, v5
	v_or3_b32 v3, v0, v3, v2
.LBB6_2227:                             ;   in Loop: Header=BB6_354 Depth=4
	s_or_b64 exec, exec, s[48:49]
.LBB6_2228:                             ;   in Loop: Header=BB6_354 Depth=4
	s_or_b64 exec, exec, s[38:39]
.LBB6_2229:                             ;   in Loop: Header=BB6_354 Depth=4
	s_or_b64 exec, exec, s[40:41]
	v_max_f32_e32 v0, v3, v3
	v_max_f32_e32 v1, v1, v1
	v_min_f32_e32 v1, v1, v0
.LBB6_2230:                             ;   in Loop: Header=BB6_354 Depth=4
	v_and_b32_e32 v52, 0x7f800000, v1
	v_cmp_ne_u64_e32 vcc, s[76:77], v[52:53]
                                        ; implicit-def: $vgpr41
	s_and_saveexec_b64 s[40:41], vcc
	s_xor_b64 s[38:39], exec, s[40:41]
	s_cbranch_execz .LBB6_2244
; %bb.2231:                             ;   in Loop: Header=BB6_354 Depth=4
	v_and_b32_e32 v52, 0x7fffffff, v1
	v_cmp_gt_u64_e32 vcc, s[78:79], v[52:53]
	v_and_b32_sdwa v3, v1, s82 dst_sel:DWORD dst_unused:UNUSED_PAD src0_sel:BYTE_3 src1_sel:DWORD
                                        ; implicit-def: $vgpr41
	s_and_saveexec_b64 s[40:41], vcc
	s_xor_b64 s[48:49], exec, s[40:41]
	s_cbranch_execz .LBB6_2241
; %bb.2232:                             ;   in Loop: Header=BB6_354 Depth=4
	v_mov_b32_e32 v41, 0
	v_cmp_ne_u32_e32 vcc, 0, v1
	s_and_saveexec_b64 s[50:51], vcc
	s_cbranch_execz .LBB6_2240
; %bb.2233:                             ;   in Loop: Header=BB6_354 Depth=4
	v_bfe_u32 v5, v1, 23, 8
	v_and_b32_e32 v0, 0x7fffff, v1
	v_cmp_gt_u32_e64 s[40:41], s85, v5
	v_sub_u32_e32 v1, 0x79, v5
	v_cmp_eq_u32_e32 vcc, 0, v5
	v_cndmask_b32_e64 v1, 0, v1, s[40:41]
	v_mov_b32_e32 v16, 0x78
	v_or_b32_e32 v2, 0x800000, v0
	v_cndmask_b32_e32 v16, v1, v16, vcc
	v_cndmask_b32_e32 v52, v2, v0, vcc
	v_add_u32_e32 v0, 20, v16
	v_lshlrev_b64 v[0:1], v0, -1
	v_add_u32_e32 v2, 19, v16
	v_lshlrev_b64 v[38:39], v2, 1
	v_bfi_b32 v1, v1, 0, 0
	v_bfi_b32 v0, v0, 0, v52
	v_cmp_eq_u64_e64 s[40:41], v[0:1], v[38:39]
	v_lshrrev_b64 v[0:1], v16, v[52:53]
	v_mov_b32_e32 v2, v1
	v_mov_b32_e32 v1, v0
	s_and_saveexec_b64 s[52:53], s[40:41]
; %bb.2234:                             ;   in Loop: Header=BB6_354 Depth=4
	v_bfe_u32 v1, v0, 20, 1
	v_add_co_u32_e64 v1, s[40:41], v0, v1
	v_add_co_u32_e64 v1, s[40:41], -1, v1
; %bb.2235:                             ;   in Loop: Header=BB6_354 Depth=4
	s_or_b64 exec, exec, s[52:53]
	v_add_u32_e32 v2, 0xffffff81, v5
	v_mov_b32_e32 v5, 0xffffff82
	v_cndmask_b32_e32 v2, v2, v5, vcc
	v_lshrrev_b32_e32 v5, 23, v0
	v_add3_u32 v16, v16, v2, v5
	v_add_u32_e32 v5, 6, v16
	v_and_b32_e32 v1, 0xfffff, v1
	v_add_u32_e32 v52, v1, v0
	v_cmp_ne_u32_e32 vcc, 0, v5
                                        ; implicit-def: $vgpr0_vgpr1
                                        ; implicit-def: $vgpr2
	s_and_saveexec_b64 s[40:41], vcc
	s_xor_b64 s[40:41], exec, s[40:41]
; %bb.2236:                             ;   in Loop: Header=BB6_354 Depth=4
	v_cmp_lt_u64_e32 vcc, s[88:89], v[52:53]
	v_add_u32_e32 v0, 7, v16
	v_cndmask_b32_e32 v2, v5, v0, vcc
	v_cndmask_b32_e64 v0, 0, 1, vcc
	v_lshrrev_b64 v[0:1], v0, v[52:53]
; %bb.2237:                             ;   in Loop: Header=BB6_354 Depth=4
	s_andn2_saveexec_b64 s[40:41], s[40:41]
; %bb.2238:                             ;   in Loop: Header=BB6_354 Depth=4
	v_mov_b32_e32 v0, v52
	v_bfe_u32 v2, v52, 23, 1
	v_mov_b32_e32 v1, v53
; %bb.2239:                             ;   in Loop: Header=BB6_354 Depth=4
	s_or_b64 exec, exec, s[40:41]
	v_lshrrev_b64 v[0:1], 20, v[0:1]
	v_cmp_gt_i32_e32 vcc, 16, v2
	v_cndmask_b32_e32 v1, 0, v1, vcc
	v_cndmask_b32_e32 v0, 7, v0, vcc
	v_cmp_eq_u64_e64 s[40:41], 0, v[0:1]
	v_min_i32_e32 v1, 15, v2
	v_lshlrev_b32_e32 v1, 3, v1
	v_cmp_eq_u32_e32 vcc, 0, v2
	v_and_b32_e32 v1, 0xf8, v1
	v_and_or_b32 v0, v0, 7, v1
	s_and_b64 s[40:41], vcc, s[40:41]
	v_cndmask_b32_e64 v0, v0, 0, s[40:41]
	v_or_b32_e32 v41, v0, v3
.LBB6_2240:                             ;   in Loop: Header=BB6_354 Depth=4
	s_or_b64 exec, exec, s[50:51]
                                        ; implicit-def: $vgpr3
.LBB6_2241:                             ;   in Loop: Header=BB6_354 Depth=4
	s_andn2_saveexec_b64 s[40:41], s[48:49]
; %bb.2242:                             ;   in Loop: Header=BB6_354 Depth=4
	v_or_b32_e32 v41, 0x7e, v3
; %bb.2243:                             ;   in Loop: Header=BB6_354 Depth=4
	s_or_b64 exec, exec, s[40:41]
                                        ; implicit-def: $vgpr1
.LBB6_2244:                             ;   in Loop: Header=BB6_354 Depth=4
	s_andn2_saveexec_b64 s[40:41], s[38:39]
; %bb.2245:                             ;   in Loop: Header=BB6_354 Depth=4
	v_or_b32_sdwa v41, v1, s83 dst_sel:DWORD dst_unused:UNUSED_PAD src0_sel:BYTE_3 src1_sel:DWORD
; %bb.2246:                             ;   in Loop: Header=BB6_354 Depth=4
	s_or_b64 exec, exec, s[40:41]
	v_lshrrev_b32_e32 v2, 24, v22
	v_lshrrev_b32_e32 v0, 24, v18
	v_cmp_lt_u32_e64 s[40:41], s63, v22
	s_and_b64 vcc, exec, s[28:29]
	s_mov_b64 s[38:39], -1
                                        ; implicit-def: $vgpr1
	s_cbranch_vccnz .LBB6_2260
; %bb.2247:                             ;   in Loop: Header=BB6_354 Depth=4
	v_mov_b32_e32 v3, 0
	v_mov_b32_e32 v1, 0
	s_and_saveexec_b64 s[38:39], s[40:41]
	s_cbranch_execz .LBB6_2253
; %bb.2248:                             ;   in Loop: Header=BB6_354 Depth=4
	v_cmp_ne_u32_e32 vcc, s82, v2
	v_bfrev_b32_e32 v1, 1
	s_and_saveexec_b64 s[48:49], vcc
	s_cbranch_execz .LBB6_2252
; %bb.2249:                             ;   in Loop: Header=BB6_354 Depth=4
	v_bfe_u32 v5, v22, 24, 7
	v_cmp_ne_u32_e32 vcc, s83, v5
	v_mov_b32_e32 v1, 0x7f800001
	s_and_saveexec_b64 s[50:51], vcc
	s_cbranch_execz .LBB6_2251
; %bb.2250:                             ;   in Loop: Header=BB6_354 Depth=4
	v_and_b32_e32 v1, 7, v2
	v_lshrrev_b32_e32 v28, 3, v5
	v_cmp_gt_u32_e32 vcc, 8, v5
	v_ffbh_u32_e32 v5, v1
	v_min_u32_e32 v5, 32, v5
	v_subrev_u32_e32 v16, 28, v5
	v_lshlrev_b64 v[16:17], v16, v[2:3]
	v_sub_u32_e32 v5, 29, v5
	v_and_b32_e32 v16, 7, v16
	v_cndmask_b32_e32 v5, v28, v5, vcc
	v_cndmask_b32_e32 v1, v1, v16, vcc
	v_lshlrev_b32_e32 v16, 24, v2
	v_bfrev_b32_e32 v17, 60
	v_lshlrev_b32_e32 v1, 20, v1
	v_and_b32_e32 v16, 0x80000000, v16
	v_lshl_add_u32 v5, v5, 23, v17
	v_or3_b32 v1, v16, v5, v1
.LBB6_2251:                             ;   in Loop: Header=BB6_354 Depth=4
	s_or_b64 exec, exec, s[50:51]
.LBB6_2252:                             ;   in Loop: Header=BB6_354 Depth=4
	s_or_b64 exec, exec, s[48:49]
.LBB6_2253:                             ;   in Loop: Header=BB6_354 Depth=4
	s_or_b64 exec, exec, s[38:39]
	v_cmp_lt_u32_e32 vcc, s63, v18
	s_and_saveexec_b64 s[38:39], vcc
	s_cbranch_execz .LBB6_2259
; %bb.2254:                             ;   in Loop: Header=BB6_354 Depth=4
	v_cmp_ne_u32_e32 vcc, s82, v0
	v_bfrev_b32_e32 v3, 1
	s_and_saveexec_b64 s[48:49], vcc
	s_cbranch_execz .LBB6_2258
; %bb.2255:                             ;   in Loop: Header=BB6_354 Depth=4
	v_bfe_u32 v5, v18, 24, 7
	v_cmp_ne_u32_e32 vcc, s83, v5
	v_mov_b32_e32 v3, 0x7f800001
	s_and_saveexec_b64 s[50:51], vcc
	s_cbranch_execz .LBB6_2257
; %bb.2256:                             ;   in Loop: Header=BB6_354 Depth=4
	v_and_b32_e32 v3, 7, v0
	v_lshrrev_b32_e32 v28, 3, v5
	v_cmp_gt_u32_e32 vcc, 8, v5
	v_ffbh_u32_e32 v5, v3
	v_min_u32_e32 v5, 32, v5
	v_subrev_u32_e32 v16, 28, v5
	v_lshlrev_b64 v[16:17], v16, v[0:1]
	v_sub_u32_e32 v5, 29, v5
	v_and_b32_e32 v16, 7, v16
	v_cndmask_b32_e32 v5, v28, v5, vcc
	v_cndmask_b32_e32 v3, v3, v16, vcc
	v_lshlrev_b32_e32 v16, 24, v0
	v_bfrev_b32_e32 v17, 60
	v_lshlrev_b32_e32 v3, 20, v3
	v_and_b32_e32 v16, 0x80000000, v16
	v_lshl_add_u32 v5, v5, 23, v17
	v_or3_b32 v3, v16, v5, v3
.LBB6_2257:                             ;   in Loop: Header=BB6_354 Depth=4
	s_or_b64 exec, exec, s[50:51]
.LBB6_2258:                             ;   in Loop: Header=BB6_354 Depth=4
	s_or_b64 exec, exec, s[48:49]
.LBB6_2259:                             ;   in Loop: Header=BB6_354 Depth=4
	s_or_b64 exec, exec, s[38:39]
	v_max_f32_e32 v3, v3, v3
	v_max_f32_e32 v1, v1, v1
	;; [unrolled: 1-line block ×3, first 2 shown]
	s_mov_b64 s[38:39], 0
.LBB6_2260:                             ;   in Loop: Header=BB6_354 Depth=4
	s_and_b64 vcc, exec, s[38:39]
	s_cbranch_vccz .LBB6_2274
; %bb.2261:                             ;   in Loop: Header=BB6_354 Depth=4
	v_mov_b32_e32 v3, 0
	v_mov_b32_e32 v1, 0
	s_and_saveexec_b64 s[38:39], s[40:41]
	s_cbranch_execz .LBB6_2267
; %bb.2262:                             ;   in Loop: Header=BB6_354 Depth=4
	v_cmp_ne_u32_e32 vcc, s82, v2
	v_bfrev_b32_e32 v1, 1
	s_and_saveexec_b64 s[40:41], vcc
	s_cbranch_execz .LBB6_2266
; %bb.2263:                             ;   in Loop: Header=BB6_354 Depth=4
	v_bfe_u32 v5, v22, 24, 7
	v_cmp_ne_u32_e32 vcc, s83, v5
	v_mov_b32_e32 v1, 0x7f800001
	s_and_saveexec_b64 s[48:49], vcc
	s_cbranch_execz .LBB6_2265
; %bb.2264:                             ;   in Loop: Header=BB6_354 Depth=4
	v_and_b32_e32 v1, 7, v2
	v_lshrrev_b32_e32 v28, 3, v5
	v_cmp_gt_u32_e32 vcc, 8, v5
	v_ffbh_u32_e32 v5, v1
	v_min_u32_e32 v5, 32, v5
	v_subrev_u32_e32 v16, 28, v5
	v_lshlrev_b64 v[16:17], v16, v[2:3]
	v_sub_u32_e32 v5, 29, v5
	v_and_b32_e32 v16, 7, v16
	v_cndmask_b32_e32 v5, v28, v5, vcc
	v_cndmask_b32_e32 v1, v1, v16, vcc
	v_lshlrev_b32_e32 v2, 24, v2
	v_bfrev_b32_e32 v16, 60
	v_lshlrev_b32_e32 v1, 20, v1
	v_and_b32_e32 v2, 0x80000000, v2
	v_lshl_add_u32 v5, v5, 23, v16
	v_or3_b32 v1, v2, v5, v1
.LBB6_2265:                             ;   in Loop: Header=BB6_354 Depth=4
	s_or_b64 exec, exec, s[48:49]
.LBB6_2266:                             ;   in Loop: Header=BB6_354 Depth=4
	s_or_b64 exec, exec, s[40:41]
.LBB6_2267:                             ;   in Loop: Header=BB6_354 Depth=4
	s_or_b64 exec, exec, s[38:39]
	v_cmp_lt_u32_e32 vcc, s63, v18
	s_and_saveexec_b64 s[40:41], vcc
	s_cbranch_execz .LBB6_2273
; %bb.2268:                             ;   in Loop: Header=BB6_354 Depth=4
	v_cmp_ne_u32_e32 vcc, s82, v0
	v_bfrev_b32_e32 v3, 1
	s_and_saveexec_b64 s[38:39], vcc
	s_cbranch_execz .LBB6_2272
; %bb.2269:                             ;   in Loop: Header=BB6_354 Depth=4
	v_bfe_u32 v2, v18, 24, 7
	v_cmp_ne_u32_e32 vcc, s83, v2
	v_mov_b32_e32 v3, 0x7f800001
	s_and_saveexec_b64 s[48:49], vcc
	s_cbranch_execz .LBB6_2271
; %bb.2270:                             ;   in Loop: Header=BB6_354 Depth=4
	v_and_b32_e32 v5, 7, v0
	v_lshrrev_b32_e32 v16, 3, v2
	v_cmp_gt_u32_e32 vcc, 8, v2
	v_ffbh_u32_e32 v2, v5
	v_min_u32_e32 v17, 32, v2
	v_subrev_u32_e32 v2, 28, v17
	v_lshlrev_b64 v[2:3], v2, v[0:1]
	v_sub_u32_e32 v3, 29, v17
	v_and_b32_e32 v2, 7, v2
	v_cndmask_b32_e32 v3, v16, v3, vcc
	v_cndmask_b32_e32 v2, v5, v2, vcc
	v_lshlrev_b32_e32 v0, 24, v0
	v_bfrev_b32_e32 v5, 60
	v_lshlrev_b32_e32 v2, 20, v2
	v_and_b32_e32 v0, 0x80000000, v0
	v_lshl_add_u32 v3, v3, 23, v5
	v_or3_b32 v3, v0, v3, v2
.LBB6_2271:                             ;   in Loop: Header=BB6_354 Depth=4
	s_or_b64 exec, exec, s[48:49]
.LBB6_2272:                             ;   in Loop: Header=BB6_354 Depth=4
	s_or_b64 exec, exec, s[38:39]
.LBB6_2273:                             ;   in Loop: Header=BB6_354 Depth=4
	s_or_b64 exec, exec, s[40:41]
	v_max_f32_e32 v0, v3, v3
	v_max_f32_e32 v1, v1, v1
	v_min_f32_e32 v1, v1, v0
.LBB6_2274:                             ;   in Loop: Header=BB6_354 Depth=4
	v_and_b32_e32 v52, 0x7f800000, v1
	v_cmp_ne_u64_e32 vcc, s[76:77], v[52:53]
	v_mov_b32_e32 v32, v20
	v_mov_b32_e32 v20, v29
                                        ; implicit-def: $vgpr36
	s_and_saveexec_b64 s[40:41], vcc
	s_xor_b64 s[38:39], exec, s[40:41]
	s_cbranch_execz .LBB6_2288
; %bb.2275:                             ;   in Loop: Header=BB6_354 Depth=4
	v_and_b32_e32 v52, 0x7fffffff, v1
	v_cmp_gt_u64_e32 vcc, s[78:79], v[52:53]
	v_and_b32_sdwa v3, v1, s82 dst_sel:DWORD dst_unused:UNUSED_PAD src0_sel:BYTE_3 src1_sel:DWORD
                                        ; implicit-def: $vgpr36
	s_and_saveexec_b64 s[40:41], vcc
	s_xor_b64 s[48:49], exec, s[40:41]
	s_cbranch_execz .LBB6_2285
; %bb.2276:                             ;   in Loop: Header=BB6_354 Depth=4
	v_mov_b32_e32 v36, 0
	v_cmp_ne_u32_e32 vcc, 0, v1
	s_and_saveexec_b64 s[50:51], vcc
	s_cbranch_execz .LBB6_2284
; %bb.2277:                             ;   in Loop: Header=BB6_354 Depth=4
	v_bfe_u32 v5, v1, 23, 8
	v_and_b32_e32 v0, 0x7fffff, v1
	v_cmp_gt_u32_e64 s[40:41], s85, v5
	v_sub_u32_e32 v1, 0x79, v5
	v_cmp_eq_u32_e32 vcc, 0, v5
	v_cndmask_b32_e64 v1, 0, v1, s[40:41]
	v_mov_b32_e32 v16, 0x78
	v_or_b32_e32 v2, 0x800000, v0
	v_cndmask_b32_e32 v16, v1, v16, vcc
	v_cndmask_b32_e32 v52, v2, v0, vcc
	v_add_u32_e32 v0, 20, v16
	v_lshlrev_b64 v[0:1], v0, -1
	v_add_u32_e32 v2, 19, v16
	v_lshlrev_b64 v[38:39], v2, 1
	v_bfi_b32 v1, v1, 0, 0
	v_bfi_b32 v0, v0, 0, v52
	v_cmp_eq_u64_e64 s[40:41], v[0:1], v[38:39]
	v_lshrrev_b64 v[0:1], v16, v[52:53]
	v_mov_b32_e32 v2, v1
	v_mov_b32_e32 v1, v0
	s_and_saveexec_b64 s[52:53], s[40:41]
; %bb.2278:                             ;   in Loop: Header=BB6_354 Depth=4
	v_bfe_u32 v1, v0, 20, 1
	v_add_co_u32_e64 v1, s[40:41], v0, v1
	v_add_co_u32_e64 v1, s[40:41], -1, v1
; %bb.2279:                             ;   in Loop: Header=BB6_354 Depth=4
	s_or_b64 exec, exec, s[52:53]
	v_add_u32_e32 v2, 0xffffff81, v5
	v_mov_b32_e32 v5, 0xffffff82
	v_cndmask_b32_e32 v2, v2, v5, vcc
	v_lshrrev_b32_e32 v5, 23, v0
	v_add3_u32 v16, v16, v2, v5
	v_add_u32_e32 v5, 6, v16
	v_and_b32_e32 v1, 0xfffff, v1
	v_add_u32_e32 v52, v1, v0
	v_cmp_ne_u32_e32 vcc, 0, v5
                                        ; implicit-def: $vgpr0_vgpr1
                                        ; implicit-def: $vgpr2
	s_and_saveexec_b64 s[40:41], vcc
	s_xor_b64 s[40:41], exec, s[40:41]
; %bb.2280:                             ;   in Loop: Header=BB6_354 Depth=4
	v_cmp_lt_u64_e32 vcc, s[88:89], v[52:53]
	v_add_u32_e32 v0, 7, v16
	v_cndmask_b32_e32 v2, v5, v0, vcc
	v_cndmask_b32_e64 v0, 0, 1, vcc
	v_lshrrev_b64 v[0:1], v0, v[52:53]
; %bb.2281:                             ;   in Loop: Header=BB6_354 Depth=4
	s_andn2_saveexec_b64 s[40:41], s[40:41]
; %bb.2282:                             ;   in Loop: Header=BB6_354 Depth=4
	v_mov_b32_e32 v0, v52
	v_bfe_u32 v2, v52, 23, 1
	v_mov_b32_e32 v1, v53
; %bb.2283:                             ;   in Loop: Header=BB6_354 Depth=4
	s_or_b64 exec, exec, s[40:41]
	v_lshrrev_b64 v[0:1], 20, v[0:1]
	v_cmp_gt_i32_e32 vcc, 16, v2
	v_cndmask_b32_e32 v1, 0, v1, vcc
	v_cndmask_b32_e32 v0, 7, v0, vcc
	v_cmp_eq_u64_e64 s[40:41], 0, v[0:1]
	v_min_i32_e32 v1, 15, v2
	v_lshlrev_b32_e32 v1, 3, v1
	v_cmp_eq_u32_e32 vcc, 0, v2
	v_and_b32_e32 v1, 0xf8, v1
	v_and_or_b32 v0, v0, 7, v1
	s_and_b64 s[40:41], vcc, s[40:41]
	v_cndmask_b32_e64 v0, v0, 0, s[40:41]
	v_or_b32_e32 v36, v0, v3
.LBB6_2284:                             ;   in Loop: Header=BB6_354 Depth=4
	s_or_b64 exec, exec, s[50:51]
                                        ; implicit-def: $vgpr3
.LBB6_2285:                             ;   in Loop: Header=BB6_354 Depth=4
	s_andn2_saveexec_b64 s[40:41], s[48:49]
; %bb.2286:                             ;   in Loop: Header=BB6_354 Depth=4
	v_or_b32_e32 v36, 0x7e, v3
; %bb.2287:                             ;   in Loop: Header=BB6_354 Depth=4
	s_or_b64 exec, exec, s[40:41]
                                        ; implicit-def: $vgpr1
.LBB6_2288:                             ;   in Loop: Header=BB6_354 Depth=4
	s_andn2_saveexec_b64 s[40:41], s[38:39]
; %bb.2289:                             ;   in Loop: Header=BB6_354 Depth=4
	v_or_b32_sdwa v36, v1, s83 dst_sel:DWORD dst_unused:UNUSED_PAD src0_sel:BYTE_3 src1_sel:DWORD
; %bb.2290:                             ;   in Loop: Header=BB6_354 Depth=4
	s_or_b64 exec, exec, s[40:41]
	v_mov_b32_e32 v52, v23
	v_mov_b32_e32 v2, v19
	;; [unrolled: 1-line block ×3, first 2 shown]
	v_cmp_ne_u16_sdwa s[40:41], v23, v53 src0_sel:BYTE_0 src1_sel:DWORD
	s_and_b64 vcc, exec, s[28:29]
	s_mov_b64 s[38:39], -1
                                        ; implicit-def: $vgpr0
	s_cbranch_vccnz .LBB6_2304
; %bb.2291:                             ;   in Loop: Header=BB6_354 Depth=4
	v_mov_b32_e32 v1, 0
	v_mov_b32_e32 v0, 0
	s_and_saveexec_b64 s[38:39], s[40:41]
	s_cbranch_execz .LBB6_2297
; %bb.2292:                             ;   in Loop: Header=BB6_354 Depth=4
	v_cmp_ne_u16_sdwa vcc, v23, s82 src0_sel:BYTE_0 src1_sel:DWORD
	v_bfrev_b32_e32 v0, 1
	s_and_saveexec_b64 s[48:49], vcc
	s_cbranch_execz .LBB6_2296
; %bb.2293:                             ;   in Loop: Header=BB6_354 Depth=4
	v_and_b32_e32 v5, 0x7f, v23
	v_cmp_ne_u32_e32 vcc, s83, v5
	v_mov_b32_e32 v0, 0x7f800001
	s_and_saveexec_b64 s[50:51], vcc
	s_cbranch_execz .LBB6_2295
; %bb.2294:                             ;   in Loop: Header=BB6_354 Depth=4
	v_and_b32_e32 v0, 7, v23
	v_ffbh_u32_e32 v0, v0
	v_min_u32_e32 v0, 32, v0
	v_lshrrev_b32_e32 v16, 3, v5
	v_cmp_gt_u32_e32 vcc, 8, v5
	v_subrev_u32_e32 v5, 28, v0
	v_sub_u32_e32 v0, 29, v0
	v_cndmask_b32_e32 v5, 0, v5, vcc
	v_cndmask_b32_e32 v0, v16, v0, vcc
	v_lshlrev_b64 v[16:17], v5, v[52:53]
	v_bfrev_b32_e32 v17, 60
	v_lshlrev_b32_e32 v5, 20, v16
	v_lshlrev_b32_e32 v16, 24, v52
	v_and_b32_e32 v5, 0x700000, v5
	v_and_b32_e32 v16, 0x80000000, v16
	v_lshl_add_u32 v0, v0, 23, v17
	v_or3_b32 v0, v16, v0, v5
.LBB6_2295:                             ;   in Loop: Header=BB6_354 Depth=4
	s_or_b64 exec, exec, s[50:51]
.LBB6_2296:                             ;   in Loop: Header=BB6_354 Depth=4
	s_or_b64 exec, exec, s[48:49]
.LBB6_2297:                             ;   in Loop: Header=BB6_354 Depth=4
	s_or_b64 exec, exec, s[38:39]
	v_cmp_ne_u16_sdwa vcc, v19, v53 src0_sel:BYTE_0 src1_sel:DWORD
	s_and_saveexec_b64 s[38:39], vcc
	s_cbranch_execz .LBB6_2303
; %bb.2298:                             ;   in Loop: Header=BB6_354 Depth=4
	v_cmp_ne_u16_sdwa vcc, v19, s82 src0_sel:BYTE_0 src1_sel:DWORD
	v_bfrev_b32_e32 v1, 1
	s_and_saveexec_b64 s[48:49], vcc
	s_cbranch_execz .LBB6_2302
; %bb.2299:                             ;   in Loop: Header=BB6_354 Depth=4
	v_and_b32_e32 v5, 0x7f, v19
	v_cmp_ne_u32_e32 vcc, s83, v5
	v_mov_b32_e32 v1, 0x7f800001
	s_and_saveexec_b64 s[50:51], vcc
	s_cbranch_execz .LBB6_2301
; %bb.2300:                             ;   in Loop: Header=BB6_354 Depth=4
	v_and_b32_e32 v1, 7, v19
	v_ffbh_u32_e32 v1, v1
	v_min_u32_e32 v1, 32, v1
	v_lshrrev_b32_e32 v16, 3, v5
	v_cmp_gt_u32_e32 vcc, 8, v5
	v_subrev_u32_e32 v5, 28, v1
	v_sub_u32_e32 v1, 29, v1
	v_cndmask_b32_e32 v5, 0, v5, vcc
	v_cndmask_b32_e32 v1, v16, v1, vcc
	v_lshlrev_b64 v[16:17], v5, v[2:3]
	v_bfrev_b32_e32 v17, 60
	v_lshlrev_b32_e32 v5, 20, v16
	v_lshlrev_b32_e32 v16, 24, v2
	v_and_b32_e32 v5, 0x700000, v5
	v_and_b32_e32 v16, 0x80000000, v16
	v_lshl_add_u32 v1, v1, 23, v17
	v_or3_b32 v1, v16, v1, v5
.LBB6_2301:                             ;   in Loop: Header=BB6_354 Depth=4
	s_or_b64 exec, exec, s[50:51]
.LBB6_2302:                             ;   in Loop: Header=BB6_354 Depth=4
	s_or_b64 exec, exec, s[48:49]
.LBB6_2303:                             ;   in Loop: Header=BB6_354 Depth=4
	s_or_b64 exec, exec, s[38:39]
	v_max_f32_e32 v1, v1, v1
	v_max_f32_e32 v0, v0, v0
	;; [unrolled: 1-line block ×3, first 2 shown]
	s_mov_b64 s[38:39], 0
.LBB6_2304:                             ;   in Loop: Header=BB6_354 Depth=4
	s_and_b64 vcc, exec, s[38:39]
	s_cbranch_vccz .LBB6_2318
; %bb.2305:                             ;   in Loop: Header=BB6_354 Depth=4
	v_mov_b32_e32 v1, 0
	v_mov_b32_e32 v0, 0
	s_and_saveexec_b64 s[38:39], s[40:41]
	s_cbranch_execz .LBB6_2311
; %bb.2306:                             ;   in Loop: Header=BB6_354 Depth=4
	v_cmp_ne_u16_sdwa vcc, v23, s82 src0_sel:BYTE_0 src1_sel:DWORD
	v_bfrev_b32_e32 v0, 1
	s_and_saveexec_b64 s[40:41], vcc
	s_cbranch_execz .LBB6_2310
; %bb.2307:                             ;   in Loop: Header=BB6_354 Depth=4
	v_and_b32_e32 v5, 0x7f, v23
	v_cmp_ne_u32_e32 vcc, s83, v5
	v_mov_b32_e32 v0, 0x7f800001
	s_and_saveexec_b64 s[48:49], vcc
	s_cbranch_execz .LBB6_2309
; %bb.2308:                             ;   in Loop: Header=BB6_354 Depth=4
	v_and_b32_e32 v0, 7, v23
	v_ffbh_u32_e32 v0, v0
	v_min_u32_e32 v0, 32, v0
	v_lshrrev_b32_e32 v16, 3, v5
	v_cmp_gt_u32_e32 vcc, 8, v5
	v_subrev_u32_e32 v5, 28, v0
	v_sub_u32_e32 v0, 29, v0
	v_cndmask_b32_e32 v5, 0, v5, vcc
	v_cndmask_b32_e32 v0, v16, v0, vcc
	v_lshlrev_b64 v[16:17], v5, v[52:53]
	v_bfrev_b32_e32 v17, 60
	v_lshlrev_b32_e32 v5, 20, v16
	v_lshlrev_b32_e32 v16, 24, v52
	v_and_b32_e32 v5, 0x700000, v5
	v_and_b32_e32 v16, 0x80000000, v16
	v_lshl_add_u32 v0, v0, 23, v17
	v_or3_b32 v0, v16, v0, v5
.LBB6_2309:                             ;   in Loop: Header=BB6_354 Depth=4
	s_or_b64 exec, exec, s[48:49]
.LBB6_2310:                             ;   in Loop: Header=BB6_354 Depth=4
	s_or_b64 exec, exec, s[40:41]
.LBB6_2311:                             ;   in Loop: Header=BB6_354 Depth=4
	s_or_b64 exec, exec, s[38:39]
	v_cmp_ne_u16_sdwa vcc, v19, v53 src0_sel:BYTE_0 src1_sel:DWORD
	s_and_saveexec_b64 s[40:41], vcc
	s_cbranch_execz .LBB6_2317
; %bb.2312:                             ;   in Loop: Header=BB6_354 Depth=4
	v_cmp_ne_u16_sdwa vcc, v19, s82 src0_sel:BYTE_0 src1_sel:DWORD
	v_bfrev_b32_e32 v1, 1
	s_and_saveexec_b64 s[38:39], vcc
	s_cbranch_execz .LBB6_2316
; %bb.2313:                             ;   in Loop: Header=BB6_354 Depth=4
	v_and_b32_e32 v5, 0x7f, v19
	v_cmp_ne_u32_e32 vcc, s83, v5
	v_mov_b32_e32 v1, 0x7f800001
	s_and_saveexec_b64 s[48:49], vcc
	s_cbranch_execz .LBB6_2315
; %bb.2314:                             ;   in Loop: Header=BB6_354 Depth=4
	v_and_b32_e32 v1, 7, v19
	v_ffbh_u32_e32 v1, v1
	v_min_u32_e32 v1, 32, v1
	v_lshrrev_b32_e32 v16, 3, v5
	v_cmp_gt_u32_e32 vcc, 8, v5
	v_subrev_u32_e32 v5, 28, v1
	v_sub_u32_e32 v1, 29, v1
	v_cndmask_b32_e32 v5, 0, v5, vcc
	v_cndmask_b32_e32 v1, v16, v1, vcc
	v_lshlrev_b64 v[16:17], v5, v[2:3]
	v_lshlrev_b32_e32 v5, 24, v2
	v_lshlrev_b32_e32 v3, 20, v16
	v_bfrev_b32_e32 v16, 60
	v_and_b32_e32 v3, 0x700000, v3
	v_and_b32_e32 v5, 0x80000000, v5
	v_lshl_add_u32 v1, v1, 23, v16
	v_or3_b32 v1, v5, v1, v3
.LBB6_2315:                             ;   in Loop: Header=BB6_354 Depth=4
	s_or_b64 exec, exec, s[48:49]
.LBB6_2316:                             ;   in Loop: Header=BB6_354 Depth=4
	s_or_b64 exec, exec, s[38:39]
.LBB6_2317:                             ;   in Loop: Header=BB6_354 Depth=4
	s_or_b64 exec, exec, s[40:41]
	v_max_f32_e32 v1, v1, v1
	v_max_f32_e32 v0, v0, v0
	v_min_f32_e32 v0, v0, v1
.LBB6_2318:                             ;   in Loop: Header=BB6_354 Depth=4
	v_and_b32_e32 v16, 0x7f800000, v0
	v_mov_b32_e32 v17, v53
	v_cmp_ne_u64_e32 vcc, s[76:77], v[16:17]
	v_mov_b32_e32 v55, v54
                                        ; implicit-def: $vgpr54
	s_and_saveexec_b64 s[40:41], vcc
	s_xor_b64 s[38:39], exec, s[40:41]
	s_cbranch_execz .LBB6_2332
; %bb.2319:                             ;   in Loop: Header=BB6_354 Depth=4
	v_and_b32_e32 v16, 0x7fffffff, v0
	v_mov_b32_e32 v17, v53
	v_cmp_gt_u64_e32 vcc, s[78:79], v[16:17]
	v_and_b32_sdwa v3, v0, s82 dst_sel:DWORD dst_unused:UNUSED_PAD src0_sel:BYTE_3 src1_sel:DWORD
                                        ; implicit-def: $vgpr54
	s_and_saveexec_b64 s[40:41], vcc
	s_xor_b64 s[48:49], exec, s[40:41]
	s_cbranch_execz .LBB6_2329
; %bb.2320:                             ;   in Loop: Header=BB6_354 Depth=4
	v_mov_b32_e32 v54, 0
	v_cmp_ne_u32_e32 vcc, 0, v0
	s_and_saveexec_b64 s[50:51], vcc
	s_cbranch_execz .LBB6_2328
; %bb.2321:                             ;   in Loop: Header=BB6_354 Depth=4
	v_bfe_u32 v5, v0, 23, 8
	v_and_b32_e32 v1, 0x7fffff, v0
	v_cmp_gt_u32_e64 s[40:41], s85, v5
	v_sub_u32_e32 v0, 0x79, v5
	v_cmp_eq_u32_e32 vcc, 0, v5
	v_cndmask_b32_e64 v0, 0, v0, s[40:41]
	v_mov_b32_e32 v17, 0x78
	v_or_b32_e32 v16, 0x800000, v1
	v_cndmask_b32_e32 v38, v0, v17, vcc
	v_cndmask_b32_e32 v0, v16, v1, vcc
	v_add_u32_e32 v16, 20, v38
	v_lshlrev_b64 v[16:17], v16, -1
	v_mov_b32_e32 v1, v53
	v_add_u32_e32 v28, 19, v38
	v_bfi_b32 v16, v16, 0, v0
	v_lshlrev_b64 v[50:51], v28, 1
	v_lshrrev_b64 v[0:1], v38, v[0:1]
	v_bfi_b32 v17, v17, 0, 0
	v_cmp_eq_u64_e64 s[40:41], v[16:17], v[50:51]
	v_mov_b32_e32 v17, v1
	v_mov_b32_e32 v16, v0
	s_and_saveexec_b64 s[52:53], s[40:41]
; %bb.2322:                             ;   in Loop: Header=BB6_354 Depth=4
	v_bfe_u32 v1, v0, 20, 1
	v_add_co_u32_e64 v1, s[40:41], v0, v1
	v_add_co_u32_e64 v16, s[40:41], -1, v1
; %bb.2323:                             ;   in Loop: Header=BB6_354 Depth=4
	s_or_b64 exec, exec, s[52:53]
	v_add_u32_e32 v1, 0xffffff81, v5
	v_mov_b32_e32 v5, 0xffffff82
	v_cndmask_b32_e32 v1, v1, v5, vcc
	v_lshrrev_b32_e32 v5, 23, v0
	v_add3_u32 v38, v38, v1, v5
	v_add_u32_e32 v17, 6, v38
	v_and_b32_e32 v1, 0xfffff, v16
	v_add_u32_e32 v0, v1, v0
	v_mov_b32_e32 v1, v53
	v_cmp_ne_u32_e32 vcc, 0, v17
                                        ; implicit-def: $vgpr5
	s_and_saveexec_b64 s[40:41], vcc
	s_xor_b64 s[40:41], exec, s[40:41]
; %bb.2324:                             ;   in Loop: Header=BB6_354 Depth=4
	v_cmp_lt_u64_e32 vcc, s[88:89], v[0:1]
	v_add_u32_e32 v5, 7, v38
	v_cndmask_b32_e64 v16, 0, 1, vcc
	v_lshrrev_b64 v[0:1], v16, v[0:1]
	v_cndmask_b32_e32 v5, v17, v5, vcc
; %bb.2325:                             ;   in Loop: Header=BB6_354 Depth=4
	s_andn2_saveexec_b64 s[40:41], s[40:41]
; %bb.2326:                             ;   in Loop: Header=BB6_354 Depth=4
	v_bfe_u32 v5, v0, 23, 1
; %bb.2327:                             ;   in Loop: Header=BB6_354 Depth=4
	s_or_b64 exec, exec, s[40:41]
	v_lshrrev_b64 v[0:1], 20, v[0:1]
	v_cmp_gt_i32_e32 vcc, 16, v5
	v_cndmask_b32_e32 v1, 0, v1, vcc
	v_cndmask_b32_e32 v0, 7, v0, vcc
	v_cmp_eq_u64_e64 s[40:41], 0, v[0:1]
	v_min_i32_e32 v1, 15, v5
	v_lshlrev_b32_e32 v1, 3, v1
	v_cmp_eq_u32_e32 vcc, 0, v5
	v_and_b32_e32 v1, 0xf8, v1
	v_and_or_b32 v0, v0, 7, v1
	s_and_b64 s[40:41], vcc, s[40:41]
	v_cndmask_b32_e64 v0, v0, 0, s[40:41]
	v_or_b32_e32 v54, v0, v3
.LBB6_2328:                             ;   in Loop: Header=BB6_354 Depth=4
	s_or_b64 exec, exec, s[50:51]
                                        ; implicit-def: $vgpr3
.LBB6_2329:                             ;   in Loop: Header=BB6_354 Depth=4
	s_andn2_saveexec_b64 s[40:41], s[48:49]
; %bb.2330:                             ;   in Loop: Header=BB6_354 Depth=4
	v_or_b32_e32 v54, 0x7e, v3
; %bb.2331:                             ;   in Loop: Header=BB6_354 Depth=4
	s_or_b64 exec, exec, s[40:41]
                                        ; implicit-def: $vgpr0
.LBB6_2332:                             ;   in Loop: Header=BB6_354 Depth=4
	s_andn2_saveexec_b64 s[40:41], s[38:39]
; %bb.2333:                             ;   in Loop: Header=BB6_354 Depth=4
	v_or_b32_sdwa v54, v0, s83 dst_sel:DWORD dst_unused:UNUSED_PAD src0_sel:BYTE_3 src1_sel:DWORD
; %bb.2334:                             ;   in Loop: Header=BB6_354 Depth=4
	s_or_b64 exec, exec, s[40:41]
	v_lshrrev_b16_e32 v5, 8, v52
	v_lshrrev_b16_e32 v3, 8, v2
	v_cmp_ne_u16_e64 s[40:41], 0, v5
	s_and_b64 vcc, exec, s[28:29]
	s_mov_b64 s[38:39], -1
                                        ; implicit-def: $vgpr0
	s_cbranch_vccnz .LBB6_2348
; %bb.2335:                             ;   in Loop: Header=BB6_354 Depth=4
	v_mov_b32_e32 v1, 0
	v_mov_b32_e32 v0, 0
	s_and_saveexec_b64 s[38:39], s[40:41]
	s_cbranch_execz .LBB6_2341
; %bb.2336:                             ;   in Loop: Header=BB6_354 Depth=4
	v_cmp_ne_u16_e32 vcc, s82, v5
	v_bfrev_b32_e32 v0, 1
	s_and_saveexec_b64 s[48:49], vcc
	s_cbranch_execz .LBB6_2340
; %bb.2337:                             ;   in Loop: Header=BB6_354 Depth=4
	v_and_b32_e32 v16, 0x7f, v5
	v_cmp_ne_u32_e32 vcc, s83, v16
	v_mov_b32_e32 v0, 0x7f800001
	s_and_saveexec_b64 s[50:51], vcc
	s_cbranch_execz .LBB6_2339
; %bb.2338:                             ;   in Loop: Header=BB6_354 Depth=4
	v_and_b32_e32 v0, 7, v5
	v_lshrrev_b32_e32 v28, 3, v16
	v_cmp_gt_u32_e32 vcc, 8, v16
	v_ffbh_u32_e32 v16, v0
	v_min_u32_e32 v29, 32, v16
	v_subrev_u32_e32 v16, 28, v29
	v_lshlrev_b64 v[16:17], v16, v[5:6]
	v_sub_u32_e32 v17, 29, v29
	v_and_b32_e32 v16, 7, v16
	v_cndmask_b32_e32 v17, v28, v17, vcc
	v_cndmask_b32_e32 v0, v0, v16, vcc
	v_lshlrev_b32_e32 v16, 16, v52
	v_bfrev_b32_e32 v28, 60
	v_lshlrev_b32_e32 v0, 20, v0
	v_and_b32_e32 v16, 0x80000000, v16
	v_lshl_add_u32 v17, v17, 23, v28
	v_or3_b32 v0, v16, v17, v0
.LBB6_2339:                             ;   in Loop: Header=BB6_354 Depth=4
	s_or_b64 exec, exec, s[50:51]
.LBB6_2340:                             ;   in Loop: Header=BB6_354 Depth=4
	s_or_b64 exec, exec, s[48:49]
.LBB6_2341:                             ;   in Loop: Header=BB6_354 Depth=4
	s_or_b64 exec, exec, s[38:39]
	v_cmp_ne_u16_e32 vcc, 0, v3
	s_and_saveexec_b64 s[38:39], vcc
	s_cbranch_execz .LBB6_2347
; %bb.2342:                             ;   in Loop: Header=BB6_354 Depth=4
	v_cmp_ne_u16_e32 vcc, s82, v3
	v_bfrev_b32_e32 v1, 1
	s_and_saveexec_b64 s[48:49], vcc
	s_cbranch_execz .LBB6_2346
; %bb.2343:                             ;   in Loop: Header=BB6_354 Depth=4
	v_and_b32_e32 v16, 0x7f, v3
	v_cmp_ne_u32_e32 vcc, s83, v16
	v_mov_b32_e32 v1, 0x7f800001
	s_and_saveexec_b64 s[50:51], vcc
	s_cbranch_execz .LBB6_2345
; %bb.2344:                             ;   in Loop: Header=BB6_354 Depth=4
	v_and_b32_e32 v1, 7, v3
	v_lshrrev_b32_e32 v28, 3, v16
	v_cmp_gt_u32_e32 vcc, 8, v16
	v_ffbh_u32_e32 v16, v1
	v_min_u32_e32 v29, 32, v16
	v_subrev_u32_e32 v16, 28, v29
	v_lshlrev_b64 v[16:17], v16, v[3:4]
	v_sub_u32_e32 v17, 29, v29
	v_and_b32_e32 v16, 7, v16
	v_cndmask_b32_e32 v17, v28, v17, vcc
	v_cndmask_b32_e32 v1, v1, v16, vcc
	v_lshlrev_b32_e32 v16, 16, v2
	v_bfrev_b32_e32 v28, 60
	v_lshlrev_b32_e32 v1, 20, v1
	v_and_b32_e32 v16, 0x80000000, v16
	v_lshl_add_u32 v17, v17, 23, v28
	v_or3_b32 v1, v16, v17, v1
.LBB6_2345:                             ;   in Loop: Header=BB6_354 Depth=4
	s_or_b64 exec, exec, s[50:51]
.LBB6_2346:                             ;   in Loop: Header=BB6_354 Depth=4
	s_or_b64 exec, exec, s[48:49]
.LBB6_2347:                             ;   in Loop: Header=BB6_354 Depth=4
	s_or_b64 exec, exec, s[38:39]
	v_max_f32_e32 v1, v1, v1
	v_max_f32_e32 v0, v0, v0
	;; [unrolled: 1-line block ×3, first 2 shown]
	s_mov_b64 s[38:39], 0
.LBB6_2348:                             ;   in Loop: Header=BB6_354 Depth=4
	s_and_b64 vcc, exec, s[38:39]
	s_cbranch_vccz .LBB6_2362
; %bb.2349:                             ;   in Loop: Header=BB6_354 Depth=4
	v_mov_b32_e32 v1, 0
	v_mov_b32_e32 v0, 0
	s_and_saveexec_b64 s[38:39], s[40:41]
	s_cbranch_execz .LBB6_2355
; %bb.2350:                             ;   in Loop: Header=BB6_354 Depth=4
	v_cmp_ne_u16_e32 vcc, s82, v5
	v_bfrev_b32_e32 v0, 1
	s_and_saveexec_b64 s[40:41], vcc
	s_cbranch_execz .LBB6_2354
; %bb.2351:                             ;   in Loop: Header=BB6_354 Depth=4
	v_and_b32_e32 v16, 0x7f, v5
	v_cmp_ne_u32_e32 vcc, s83, v16
	v_mov_b32_e32 v0, 0x7f800001
	s_and_saveexec_b64 s[48:49], vcc
	s_cbranch_execz .LBB6_2353
; %bb.2352:                             ;   in Loop: Header=BB6_354 Depth=4
	v_and_b32_e32 v0, 7, v5
	v_lshrrev_b32_e32 v28, 3, v16
	v_cmp_gt_u32_e32 vcc, 8, v16
	v_ffbh_u32_e32 v16, v0
	v_min_u32_e32 v29, 32, v16
	v_subrev_u32_e32 v16, 28, v29
	v_lshlrev_b64 v[16:17], v16, v[5:6]
	v_sub_u32_e32 v5, 29, v29
	v_and_b32_e32 v16, 7, v16
	v_cndmask_b32_e32 v5, v28, v5, vcc
	v_cndmask_b32_e32 v0, v0, v16, vcc
	v_lshlrev_b32_e32 v16, 16, v52
	v_bfrev_b32_e32 v17, 60
	v_lshlrev_b32_e32 v0, 20, v0
	v_and_b32_e32 v16, 0x80000000, v16
	v_lshl_add_u32 v5, v5, 23, v17
	v_or3_b32 v0, v16, v5, v0
.LBB6_2353:                             ;   in Loop: Header=BB6_354 Depth=4
	s_or_b64 exec, exec, s[48:49]
.LBB6_2354:                             ;   in Loop: Header=BB6_354 Depth=4
	s_or_b64 exec, exec, s[40:41]
.LBB6_2355:                             ;   in Loop: Header=BB6_354 Depth=4
	s_or_b64 exec, exec, s[38:39]
	v_cmp_ne_u16_e32 vcc, 0, v3
	s_and_saveexec_b64 s[40:41], vcc
	s_cbranch_execz .LBB6_2361
; %bb.2356:                             ;   in Loop: Header=BB6_354 Depth=4
	v_cmp_ne_u16_e32 vcc, s82, v3
	v_bfrev_b32_e32 v1, 1
	s_and_saveexec_b64 s[38:39], vcc
	s_cbranch_execz .LBB6_2360
; %bb.2357:                             ;   in Loop: Header=BB6_354 Depth=4
	v_and_b32_e32 v5, 0x7f, v3
	v_cmp_ne_u32_e32 vcc, s83, v5
	v_mov_b32_e32 v1, 0x7f800001
	s_and_saveexec_b64 s[48:49], vcc
	s_cbranch_execz .LBB6_2359
; %bb.2358:                             ;   in Loop: Header=BB6_354 Depth=4
	v_and_b32_e32 v1, 7, v3
	v_lshrrev_b32_e32 v28, 3, v5
	v_cmp_gt_u32_e32 vcc, 8, v5
	v_ffbh_u32_e32 v5, v1
	v_min_u32_e32 v5, 32, v5
	v_subrev_u32_e32 v16, 28, v5
	v_lshlrev_b64 v[16:17], v16, v[3:4]
	v_sub_u32_e32 v3, 29, v5
	v_and_b32_e32 v5, 7, v16
	v_cndmask_b32_e32 v3, v28, v3, vcc
	v_cndmask_b32_e32 v1, v1, v5, vcc
	v_lshlrev_b32_e32 v2, 16, v2
	v_bfrev_b32_e32 v5, 60
	v_lshlrev_b32_e32 v1, 20, v1
	v_and_b32_e32 v2, 0x80000000, v2
	v_lshl_add_u32 v3, v3, 23, v5
	v_or3_b32 v1, v2, v3, v1
.LBB6_2359:                             ;   in Loop: Header=BB6_354 Depth=4
	s_or_b64 exec, exec, s[48:49]
.LBB6_2360:                             ;   in Loop: Header=BB6_354 Depth=4
	s_or_b64 exec, exec, s[38:39]
.LBB6_2361:                             ;   in Loop: Header=BB6_354 Depth=4
	s_or_b64 exec, exec, s[40:41]
	v_max_f32_e32 v1, v1, v1
	v_max_f32_e32 v0, v0, v0
	v_min_f32_e32 v0, v0, v1
.LBB6_2362:                             ;   in Loop: Header=BB6_354 Depth=4
	v_and_b32_e32 v52, 0x7f800000, v0
	v_cmp_ne_u64_e32 vcc, s[76:77], v[52:53]
                                        ; implicit-def: $vgpr38
	s_and_saveexec_b64 s[40:41], vcc
	s_xor_b64 s[38:39], exec, s[40:41]
	s_cbranch_execz .LBB6_2376
; %bb.2363:                             ;   in Loop: Header=BB6_354 Depth=4
	v_and_b32_e32 v52, 0x7fffffff, v0
	v_cmp_gt_u64_e32 vcc, s[78:79], v[52:53]
	v_and_b32_sdwa v3, v0, s82 dst_sel:DWORD dst_unused:UNUSED_PAD src0_sel:BYTE_3 src1_sel:DWORD
                                        ; implicit-def: $vgpr38
	s_and_saveexec_b64 s[40:41], vcc
	s_xor_b64 s[48:49], exec, s[40:41]
	s_cbranch_execz .LBB6_2373
; %bb.2364:                             ;   in Loop: Header=BB6_354 Depth=4
	v_mov_b32_e32 v38, 0
	v_cmp_ne_u32_e32 vcc, 0, v0
	s_and_saveexec_b64 s[50:51], vcc
	s_cbranch_execz .LBB6_2372
; %bb.2365:                             ;   in Loop: Header=BB6_354 Depth=4
	v_bfe_u32 v5, v0, 23, 8
	v_and_b32_e32 v1, 0x7fffff, v0
	v_cmp_gt_u32_e64 s[40:41], s85, v5
	v_sub_u32_e32 v0, 0x79, v5
	v_cmp_eq_u32_e32 vcc, 0, v5
	v_cndmask_b32_e64 v0, 0, v0, s[40:41]
	v_mov_b32_e32 v16, 0x78
	v_cndmask_b32_e32 v16, v0, v16, vcc
	v_or_b32_e32 v2, 0x800000, v1
	v_add_u32_e32 v0, 20, v16
	v_cndmask_b32_e32 v52, v2, v1, vcc
	v_lshlrev_b64 v[0:1], v0, -1
	v_add_u32_e32 v2, 19, v16
	v_lshlrev_b64 v[38:39], v2, 1
	v_bfi_b32 v1, v1, 0, 0
	v_bfi_b32 v0, v0, 0, v52
	v_cmp_eq_u64_e64 s[40:41], v[0:1], v[38:39]
	v_lshrrev_b64 v[0:1], v16, v[52:53]
	v_mov_b32_e32 v2, v1
	v_mov_b32_e32 v1, v0
	s_and_saveexec_b64 s[52:53], s[40:41]
; %bb.2366:                             ;   in Loop: Header=BB6_354 Depth=4
	v_bfe_u32 v1, v0, 20, 1
	v_add_co_u32_e64 v1, s[40:41], v0, v1
	v_add_co_u32_e64 v1, s[40:41], -1, v1
; %bb.2367:                             ;   in Loop: Header=BB6_354 Depth=4
	s_or_b64 exec, exec, s[52:53]
	v_add_u32_e32 v2, 0xffffff81, v5
	v_mov_b32_e32 v5, 0xffffff82
	v_cndmask_b32_e32 v2, v2, v5, vcc
	v_lshrrev_b32_e32 v5, 23, v0
	v_add3_u32 v16, v16, v2, v5
	v_add_u32_e32 v5, 6, v16
	v_and_b32_e32 v1, 0xfffff, v1
	v_add_u32_e32 v52, v1, v0
	v_cmp_ne_u32_e32 vcc, 0, v5
                                        ; implicit-def: $vgpr0_vgpr1
                                        ; implicit-def: $vgpr2
	s_and_saveexec_b64 s[40:41], vcc
	s_xor_b64 s[40:41], exec, s[40:41]
; %bb.2368:                             ;   in Loop: Header=BB6_354 Depth=4
	v_cmp_lt_u64_e32 vcc, s[88:89], v[52:53]
	v_add_u32_e32 v0, 7, v16
	v_cndmask_b32_e32 v2, v5, v0, vcc
	v_cndmask_b32_e64 v0, 0, 1, vcc
	v_lshrrev_b64 v[0:1], v0, v[52:53]
; %bb.2369:                             ;   in Loop: Header=BB6_354 Depth=4
	s_andn2_saveexec_b64 s[40:41], s[40:41]
; %bb.2370:                             ;   in Loop: Header=BB6_354 Depth=4
	v_mov_b32_e32 v0, v52
	v_bfe_u32 v2, v52, 23, 1
	v_mov_b32_e32 v1, v53
; %bb.2371:                             ;   in Loop: Header=BB6_354 Depth=4
	s_or_b64 exec, exec, s[40:41]
	v_lshrrev_b64 v[0:1], 20, v[0:1]
	v_cmp_gt_i32_e32 vcc, 16, v2
	v_cndmask_b32_e32 v1, 0, v1, vcc
	v_cndmask_b32_e32 v0, 7, v0, vcc
	v_cmp_eq_u64_e64 s[40:41], 0, v[0:1]
	v_min_i32_e32 v1, 15, v2
	v_lshlrev_b32_e32 v1, 3, v1
	v_cmp_eq_u32_e32 vcc, 0, v2
	v_and_b32_e32 v1, 0xf8, v1
	v_and_or_b32 v0, v0, 7, v1
	s_and_b64 s[40:41], vcc, s[40:41]
	v_cndmask_b32_e64 v0, v0, 0, s[40:41]
	v_or_b32_e32 v38, v0, v3
.LBB6_2372:                             ;   in Loop: Header=BB6_354 Depth=4
	s_or_b64 exec, exec, s[50:51]
                                        ; implicit-def: $vgpr3
.LBB6_2373:                             ;   in Loop: Header=BB6_354 Depth=4
	s_andn2_saveexec_b64 s[40:41], s[48:49]
; %bb.2374:                             ;   in Loop: Header=BB6_354 Depth=4
	v_or_b32_e32 v38, 0x7e, v3
; %bb.2375:                             ;   in Loop: Header=BB6_354 Depth=4
	s_or_b64 exec, exec, s[40:41]
                                        ; implicit-def: $vgpr0
.LBB6_2376:                             ;   in Loop: Header=BB6_354 Depth=4
	s_andn2_saveexec_b64 s[40:41], s[38:39]
; %bb.2377:                             ;   in Loop: Header=BB6_354 Depth=4
	v_or_b32_sdwa v38, v0, s83 dst_sel:DWORD dst_unused:UNUSED_PAD src0_sel:BYTE_3 src1_sel:DWORD
; %bb.2378:                             ;   in Loop: Header=BB6_354 Depth=4
	s_or_b64 exec, exec, s[40:41]
	v_lshrrev_b32_e32 v2, 16, v23
	v_lshrrev_b32_e32 v0, 16, v19
	v_cmp_ne_u16_sdwa s[40:41], v2, v53 src0_sel:BYTE_0 src1_sel:DWORD
	s_and_b64 vcc, exec, s[28:29]
	s_mov_b64 s[38:39], -1
                                        ; implicit-def: $vgpr1
	s_cbranch_vccnz .LBB6_2392
; %bb.2379:                             ;   in Loop: Header=BB6_354 Depth=4
	v_mov_b32_e32 v3, 0
	v_mov_b32_e32 v1, 0
	s_and_saveexec_b64 s[38:39], s[40:41]
	s_cbranch_execz .LBB6_2385
; %bb.2380:                             ;   in Loop: Header=BB6_354 Depth=4
	v_cmp_ne_u16_sdwa vcc, v2, s82 src0_sel:BYTE_0 src1_sel:DWORD
	v_bfrev_b32_e32 v1, 1
	s_and_saveexec_b64 s[48:49], vcc
	s_cbranch_execz .LBB6_2384
; %bb.2381:                             ;   in Loop: Header=BB6_354 Depth=4
	v_bfe_u32 v5, v23, 16, 7
	v_cmp_ne_u32_e32 vcc, s83, v5
	v_mov_b32_e32 v1, 0x7f800001
	s_and_saveexec_b64 s[50:51], vcc
	s_cbranch_execz .LBB6_2383
; %bb.2382:                             ;   in Loop: Header=BB6_354 Depth=4
	v_and_b32_e32 v1, 7, v2
	v_lshrrev_b32_e32 v28, 3, v5
	v_cmp_gt_u32_e32 vcc, 8, v5
	v_ffbh_u32_e32 v5, v1
	v_min_u32_e32 v5, 32, v5
	v_subrev_u32_e32 v16, 28, v5
	v_lshlrev_b64 v[16:17], v16, v[2:3]
	v_sub_u32_e32 v5, 29, v5
	v_and_b32_e32 v16, 7, v16
	v_cndmask_b32_e32 v5, v28, v5, vcc
	v_cndmask_b32_e32 v1, v1, v16, vcc
	v_lshlrev_b32_e32 v16, 24, v2
	v_bfrev_b32_e32 v17, 60
	v_lshlrev_b32_e32 v1, 20, v1
	v_and_b32_e32 v16, 0x80000000, v16
	v_lshl_add_u32 v5, v5, 23, v17
	v_or3_b32 v1, v16, v5, v1
.LBB6_2383:                             ;   in Loop: Header=BB6_354 Depth=4
	s_or_b64 exec, exec, s[50:51]
.LBB6_2384:                             ;   in Loop: Header=BB6_354 Depth=4
	s_or_b64 exec, exec, s[48:49]
.LBB6_2385:                             ;   in Loop: Header=BB6_354 Depth=4
	s_or_b64 exec, exec, s[38:39]
	v_cmp_ne_u16_sdwa vcc, v0, v53 src0_sel:BYTE_0 src1_sel:DWORD
	s_and_saveexec_b64 s[38:39], vcc
	s_cbranch_execz .LBB6_2391
; %bb.2386:                             ;   in Loop: Header=BB6_354 Depth=4
	v_cmp_ne_u16_sdwa vcc, v0, s82 src0_sel:BYTE_0 src1_sel:DWORD
	v_bfrev_b32_e32 v3, 1
	s_and_saveexec_b64 s[48:49], vcc
	s_cbranch_execz .LBB6_2390
; %bb.2387:                             ;   in Loop: Header=BB6_354 Depth=4
	v_bfe_u32 v5, v19, 16, 7
	v_cmp_ne_u32_e32 vcc, s83, v5
	v_mov_b32_e32 v3, 0x7f800001
	s_and_saveexec_b64 s[50:51], vcc
	s_cbranch_execz .LBB6_2389
; %bb.2388:                             ;   in Loop: Header=BB6_354 Depth=4
	v_and_b32_e32 v3, 7, v0
	v_lshrrev_b32_e32 v28, 3, v5
	v_cmp_gt_u32_e32 vcc, 8, v5
	v_ffbh_u32_e32 v5, v3
	v_min_u32_e32 v5, 32, v5
	v_subrev_u32_e32 v16, 28, v5
	v_lshlrev_b64 v[16:17], v16, v[0:1]
	v_sub_u32_e32 v5, 29, v5
	v_and_b32_e32 v16, 7, v16
	v_cndmask_b32_e32 v5, v28, v5, vcc
	v_cndmask_b32_e32 v3, v3, v16, vcc
	v_lshlrev_b32_e32 v16, 24, v0
	v_bfrev_b32_e32 v17, 60
	v_lshlrev_b32_e32 v3, 20, v3
	v_and_b32_e32 v16, 0x80000000, v16
	v_lshl_add_u32 v5, v5, 23, v17
	v_or3_b32 v3, v16, v5, v3
.LBB6_2389:                             ;   in Loop: Header=BB6_354 Depth=4
	s_or_b64 exec, exec, s[50:51]
.LBB6_2390:                             ;   in Loop: Header=BB6_354 Depth=4
	s_or_b64 exec, exec, s[48:49]
.LBB6_2391:                             ;   in Loop: Header=BB6_354 Depth=4
	s_or_b64 exec, exec, s[38:39]
	v_max_f32_e32 v3, v3, v3
	v_max_f32_e32 v1, v1, v1
	;; [unrolled: 1-line block ×3, first 2 shown]
	s_mov_b64 s[38:39], 0
.LBB6_2392:                             ;   in Loop: Header=BB6_354 Depth=4
	s_and_b64 vcc, exec, s[38:39]
	s_cbranch_vccz .LBB6_2406
; %bb.2393:                             ;   in Loop: Header=BB6_354 Depth=4
	v_mov_b32_e32 v3, 0
	v_mov_b32_e32 v1, 0
	s_and_saveexec_b64 s[38:39], s[40:41]
	s_cbranch_execz .LBB6_2399
; %bb.2394:                             ;   in Loop: Header=BB6_354 Depth=4
	v_cmp_ne_u16_sdwa vcc, v2, s82 src0_sel:BYTE_0 src1_sel:DWORD
	v_bfrev_b32_e32 v1, 1
	s_and_saveexec_b64 s[40:41], vcc
	s_cbranch_execz .LBB6_2398
; %bb.2395:                             ;   in Loop: Header=BB6_354 Depth=4
	v_bfe_u32 v5, v23, 16, 7
	v_cmp_ne_u32_e32 vcc, s83, v5
	v_mov_b32_e32 v1, 0x7f800001
	s_and_saveexec_b64 s[48:49], vcc
	s_cbranch_execz .LBB6_2397
; %bb.2396:                             ;   in Loop: Header=BB6_354 Depth=4
	v_and_b32_e32 v1, 7, v2
	v_lshrrev_b32_e32 v28, 3, v5
	v_cmp_gt_u32_e32 vcc, 8, v5
	v_ffbh_u32_e32 v5, v1
	v_min_u32_e32 v5, 32, v5
	v_subrev_u32_e32 v16, 28, v5
	v_lshlrev_b64 v[16:17], v16, v[2:3]
	v_sub_u32_e32 v5, 29, v5
	v_and_b32_e32 v16, 7, v16
	v_cndmask_b32_e32 v5, v28, v5, vcc
	v_cndmask_b32_e32 v1, v1, v16, vcc
	v_lshlrev_b32_e32 v2, 24, v2
	v_bfrev_b32_e32 v16, 60
	v_lshlrev_b32_e32 v1, 20, v1
	v_and_b32_e32 v2, 0x80000000, v2
	v_lshl_add_u32 v5, v5, 23, v16
	v_or3_b32 v1, v2, v5, v1
.LBB6_2397:                             ;   in Loop: Header=BB6_354 Depth=4
	s_or_b64 exec, exec, s[48:49]
.LBB6_2398:                             ;   in Loop: Header=BB6_354 Depth=4
	s_or_b64 exec, exec, s[40:41]
.LBB6_2399:                             ;   in Loop: Header=BB6_354 Depth=4
	s_or_b64 exec, exec, s[38:39]
	v_cmp_ne_u16_sdwa vcc, v0, v53 src0_sel:BYTE_0 src1_sel:DWORD
	s_and_saveexec_b64 s[40:41], vcc
	s_cbranch_execz .LBB6_2405
; %bb.2400:                             ;   in Loop: Header=BB6_354 Depth=4
	v_cmp_ne_u16_sdwa vcc, v0, s82 src0_sel:BYTE_0 src1_sel:DWORD
	v_bfrev_b32_e32 v3, 1
	s_and_saveexec_b64 s[38:39], vcc
	s_cbranch_execz .LBB6_2404
; %bb.2401:                             ;   in Loop: Header=BB6_354 Depth=4
	v_bfe_u32 v2, v19, 16, 7
	v_cmp_ne_u32_e32 vcc, s83, v2
	v_mov_b32_e32 v3, 0x7f800001
	s_and_saveexec_b64 s[48:49], vcc
	s_cbranch_execz .LBB6_2403
; %bb.2402:                             ;   in Loop: Header=BB6_354 Depth=4
	v_and_b32_e32 v5, 7, v0
	v_lshrrev_b32_e32 v16, 3, v2
	v_cmp_gt_u32_e32 vcc, 8, v2
	v_ffbh_u32_e32 v2, v5
	v_min_u32_e32 v17, 32, v2
	v_subrev_u32_e32 v2, 28, v17
	v_lshlrev_b64 v[2:3], v2, v[0:1]
	v_sub_u32_e32 v3, 29, v17
	v_and_b32_e32 v2, 7, v2
	v_cndmask_b32_e32 v3, v16, v3, vcc
	v_cndmask_b32_e32 v2, v5, v2, vcc
	v_lshlrev_b32_e32 v0, 24, v0
	v_bfrev_b32_e32 v5, 60
	v_lshlrev_b32_e32 v2, 20, v2
	v_and_b32_e32 v0, 0x80000000, v0
	v_lshl_add_u32 v3, v3, 23, v5
	v_or3_b32 v3, v0, v3, v2
.LBB6_2403:                             ;   in Loop: Header=BB6_354 Depth=4
	s_or_b64 exec, exec, s[48:49]
.LBB6_2404:                             ;   in Loop: Header=BB6_354 Depth=4
	s_or_b64 exec, exec, s[38:39]
.LBB6_2405:                             ;   in Loop: Header=BB6_354 Depth=4
	s_or_b64 exec, exec, s[40:41]
	v_max_f32_e32 v0, v3, v3
	v_max_f32_e32 v1, v1, v1
	v_min_f32_e32 v1, v1, v0
.LBB6_2406:                             ;   in Loop: Header=BB6_354 Depth=4
	v_and_b32_e32 v52, 0x7f800000, v1
	v_cmp_ne_u64_e32 vcc, s[76:77], v[52:53]
                                        ; implicit-def: $vgpr58
	s_and_saveexec_b64 s[40:41], vcc
	s_xor_b64 s[38:39], exec, s[40:41]
	s_cbranch_execz .LBB6_2420
; %bb.2407:                             ;   in Loop: Header=BB6_354 Depth=4
	v_and_b32_e32 v52, 0x7fffffff, v1
	v_cmp_gt_u64_e32 vcc, s[78:79], v[52:53]
	v_and_b32_sdwa v3, v1, s82 dst_sel:DWORD dst_unused:UNUSED_PAD src0_sel:BYTE_3 src1_sel:DWORD
                                        ; implicit-def: $vgpr58
	s_and_saveexec_b64 s[40:41], vcc
	s_xor_b64 s[48:49], exec, s[40:41]
	s_cbranch_execz .LBB6_2417
; %bb.2408:                             ;   in Loop: Header=BB6_354 Depth=4
	v_mov_b32_e32 v58, 0
	v_cmp_ne_u32_e32 vcc, 0, v1
	s_and_saveexec_b64 s[50:51], vcc
	s_cbranch_execz .LBB6_2416
; %bb.2409:                             ;   in Loop: Header=BB6_354 Depth=4
	v_bfe_u32 v5, v1, 23, 8
	v_and_b32_e32 v0, 0x7fffff, v1
	v_cmp_gt_u32_e64 s[40:41], s85, v5
	v_sub_u32_e32 v1, 0x79, v5
	v_cmp_eq_u32_e32 vcc, 0, v5
	v_cndmask_b32_e64 v1, 0, v1, s[40:41]
	v_mov_b32_e32 v16, 0x78
	v_or_b32_e32 v2, 0x800000, v0
	v_cndmask_b32_e32 v16, v1, v16, vcc
	v_cndmask_b32_e32 v52, v2, v0, vcc
	v_add_u32_e32 v0, 20, v16
	v_lshlrev_b64 v[0:1], v0, -1
	v_add_u32_e32 v2, 19, v16
	v_lshlrev_b64 v[50:51], v2, 1
	v_bfi_b32 v1, v1, 0, 0
	v_bfi_b32 v0, v0, 0, v52
	v_cmp_eq_u64_e64 s[40:41], v[0:1], v[50:51]
	v_lshrrev_b64 v[0:1], v16, v[52:53]
	v_mov_b32_e32 v2, v1
	v_mov_b32_e32 v1, v0
	s_and_saveexec_b64 s[52:53], s[40:41]
; %bb.2410:                             ;   in Loop: Header=BB6_354 Depth=4
	v_bfe_u32 v1, v0, 20, 1
	v_add_co_u32_e64 v1, s[40:41], v0, v1
	v_add_co_u32_e64 v1, s[40:41], -1, v1
; %bb.2411:                             ;   in Loop: Header=BB6_354 Depth=4
	s_or_b64 exec, exec, s[52:53]
	v_add_u32_e32 v2, 0xffffff81, v5
	v_mov_b32_e32 v5, 0xffffff82
	v_cndmask_b32_e32 v2, v2, v5, vcc
	v_lshrrev_b32_e32 v5, 23, v0
	v_add3_u32 v16, v16, v2, v5
	v_add_u32_e32 v5, 6, v16
	v_and_b32_e32 v1, 0xfffff, v1
	v_add_u32_e32 v52, v1, v0
	v_cmp_ne_u32_e32 vcc, 0, v5
                                        ; implicit-def: $vgpr0_vgpr1
                                        ; implicit-def: $vgpr2
	s_and_saveexec_b64 s[40:41], vcc
	s_xor_b64 s[40:41], exec, s[40:41]
; %bb.2412:                             ;   in Loop: Header=BB6_354 Depth=4
	v_cmp_lt_u64_e32 vcc, s[88:89], v[52:53]
	v_add_u32_e32 v0, 7, v16
	v_cndmask_b32_e32 v2, v5, v0, vcc
	v_cndmask_b32_e64 v0, 0, 1, vcc
	v_lshrrev_b64 v[0:1], v0, v[52:53]
; %bb.2413:                             ;   in Loop: Header=BB6_354 Depth=4
	s_andn2_saveexec_b64 s[40:41], s[40:41]
; %bb.2414:                             ;   in Loop: Header=BB6_354 Depth=4
	v_mov_b32_e32 v0, v52
	v_bfe_u32 v2, v52, 23, 1
	v_mov_b32_e32 v1, v53
; %bb.2415:                             ;   in Loop: Header=BB6_354 Depth=4
	s_or_b64 exec, exec, s[40:41]
	v_lshrrev_b64 v[0:1], 20, v[0:1]
	v_cmp_gt_i32_e32 vcc, 16, v2
	v_cndmask_b32_e32 v1, 0, v1, vcc
	v_cndmask_b32_e32 v0, 7, v0, vcc
	v_cmp_eq_u64_e64 s[40:41], 0, v[0:1]
	v_min_i32_e32 v1, 15, v2
	v_lshlrev_b32_e32 v1, 3, v1
	v_cmp_eq_u32_e32 vcc, 0, v2
	v_and_b32_e32 v1, 0xf8, v1
	v_and_or_b32 v0, v0, 7, v1
	s_and_b64 s[40:41], vcc, s[40:41]
	v_cndmask_b32_e64 v0, v0, 0, s[40:41]
	v_or_b32_e32 v58, v0, v3
.LBB6_2416:                             ;   in Loop: Header=BB6_354 Depth=4
	s_or_b64 exec, exec, s[50:51]
                                        ; implicit-def: $vgpr3
.LBB6_2417:                             ;   in Loop: Header=BB6_354 Depth=4
	s_andn2_saveexec_b64 s[40:41], s[48:49]
; %bb.2418:                             ;   in Loop: Header=BB6_354 Depth=4
	v_or_b32_e32 v58, 0x7e, v3
; %bb.2419:                             ;   in Loop: Header=BB6_354 Depth=4
	s_or_b64 exec, exec, s[40:41]
                                        ; implicit-def: $vgpr1
.LBB6_2420:                             ;   in Loop: Header=BB6_354 Depth=4
	s_andn2_saveexec_b64 s[40:41], s[38:39]
; %bb.2421:                             ;   in Loop: Header=BB6_354 Depth=4
	v_or_b32_sdwa v58, v1, s83 dst_sel:DWORD dst_unused:UNUSED_PAD src0_sel:BYTE_3 src1_sel:DWORD
; %bb.2422:                             ;   in Loop: Header=BB6_354 Depth=4
	s_or_b64 exec, exec, s[40:41]
	v_cmp_lt_u64_e64 s[40:41], s[62:63], v[22:23]
	v_lshrrev_b32_e32 v2, 24, v23
	v_lshrrev_b32_e32 v0, 24, v19
	s_and_b64 vcc, exec, s[28:29]
	s_mov_b64 s[38:39], -1
                                        ; implicit-def: $vgpr1
	s_cbranch_vccnz .LBB6_2436
; %bb.2423:                             ;   in Loop: Header=BB6_354 Depth=4
	v_mov_b32_e32 v3, 0
	v_mov_b32_e32 v1, 0
	s_and_saveexec_b64 s[38:39], s[40:41]
	s_cbranch_execz .LBB6_2429
; %bb.2424:                             ;   in Loop: Header=BB6_354 Depth=4
	v_cmp_ne_u32_e32 vcc, s82, v2
	v_bfrev_b32_e32 v1, 1
	s_and_saveexec_b64 s[48:49], vcc
	s_cbranch_execz .LBB6_2428
; %bb.2425:                             ;   in Loop: Header=BB6_354 Depth=4
	v_bfe_u32 v5, v23, 24, 7
	v_cmp_ne_u32_e32 vcc, s83, v5
	v_mov_b32_e32 v1, 0x7f800001
	s_and_saveexec_b64 s[50:51], vcc
	s_cbranch_execz .LBB6_2427
; %bb.2426:                             ;   in Loop: Header=BB6_354 Depth=4
	v_and_b32_e32 v1, 7, v2
	v_lshrrev_b32_e32 v22, 3, v5
	v_cmp_gt_u32_e32 vcc, 8, v5
	v_ffbh_u32_e32 v5, v1
	v_min_u32_e32 v5, 32, v5
	v_subrev_u32_e32 v16, 28, v5
	v_lshlrev_b64 v[16:17], v16, v[2:3]
	v_sub_u32_e32 v5, 29, v5
	v_and_b32_e32 v16, 7, v16
	v_cndmask_b32_e32 v5, v22, v5, vcc
	v_cndmask_b32_e32 v1, v1, v16, vcc
	v_lshlrev_b32_e32 v16, 24, v2
	v_bfrev_b32_e32 v17, 60
	v_lshlrev_b32_e32 v1, 20, v1
	v_and_b32_e32 v16, 0x80000000, v16
	v_lshl_add_u32 v5, v5, 23, v17
	v_or3_b32 v1, v16, v5, v1
.LBB6_2427:                             ;   in Loop: Header=BB6_354 Depth=4
	s_or_b64 exec, exec, s[50:51]
.LBB6_2428:                             ;   in Loop: Header=BB6_354 Depth=4
	s_or_b64 exec, exec, s[48:49]
.LBB6_2429:                             ;   in Loop: Header=BB6_354 Depth=4
	s_or_b64 exec, exec, s[38:39]
	v_cmp_lt_u64_e32 vcc, s[62:63], v[18:19]
	s_and_saveexec_b64 s[38:39], vcc
	s_cbranch_execz .LBB6_2435
; %bb.2430:                             ;   in Loop: Header=BB6_354 Depth=4
	v_cmp_ne_u32_e32 vcc, s82, v0
	v_bfrev_b32_e32 v3, 1
	s_and_saveexec_b64 s[48:49], vcc
	s_cbranch_execz .LBB6_2434
; %bb.2431:                             ;   in Loop: Header=BB6_354 Depth=4
	v_bfe_u32 v5, v19, 24, 7
	v_cmp_ne_u32_e32 vcc, s83, v5
	v_mov_b32_e32 v3, 0x7f800001
	s_and_saveexec_b64 s[50:51], vcc
	s_cbranch_execz .LBB6_2433
; %bb.2432:                             ;   in Loop: Header=BB6_354 Depth=4
	v_and_b32_e32 v3, 7, v0
	v_lshrrev_b32_e32 v22, 3, v5
	v_cmp_gt_u32_e32 vcc, 8, v5
	v_ffbh_u32_e32 v5, v3
	v_min_u32_e32 v5, 32, v5
	v_subrev_u32_e32 v16, 28, v5
	v_lshlrev_b64 v[16:17], v16, v[0:1]
	v_sub_u32_e32 v5, 29, v5
	v_and_b32_e32 v16, 7, v16
	v_cndmask_b32_e32 v5, v22, v5, vcc
	v_cndmask_b32_e32 v3, v3, v16, vcc
	v_lshlrev_b32_e32 v16, 24, v0
	v_bfrev_b32_e32 v17, 60
	v_lshlrev_b32_e32 v3, 20, v3
	v_and_b32_e32 v16, 0x80000000, v16
	v_lshl_add_u32 v5, v5, 23, v17
	v_or3_b32 v3, v16, v5, v3
.LBB6_2433:                             ;   in Loop: Header=BB6_354 Depth=4
	s_or_b64 exec, exec, s[50:51]
.LBB6_2434:                             ;   in Loop: Header=BB6_354 Depth=4
	s_or_b64 exec, exec, s[48:49]
.LBB6_2435:                             ;   in Loop: Header=BB6_354 Depth=4
	s_or_b64 exec, exec, s[38:39]
	v_max_f32_e32 v3, v3, v3
	v_max_f32_e32 v1, v1, v1
	v_max_f32_e32 v1, v1, v3
	s_mov_b64 s[38:39], 0
.LBB6_2436:                             ;   in Loop: Header=BB6_354 Depth=4
	s_and_b64 vcc, exec, s[38:39]
	s_cbranch_vccz .LBB6_2450
; %bb.2437:                             ;   in Loop: Header=BB6_354 Depth=4
	v_mov_b32_e32 v3, 0
	v_mov_b32_e32 v1, 0
	s_and_saveexec_b64 s[38:39], s[40:41]
	s_cbranch_execz .LBB6_2443
; %bb.2438:                             ;   in Loop: Header=BB6_354 Depth=4
	v_cmp_ne_u32_e32 vcc, s82, v2
	v_bfrev_b32_e32 v1, 1
	s_and_saveexec_b64 s[40:41], vcc
	s_cbranch_execz .LBB6_2442
; %bb.2439:                             ;   in Loop: Header=BB6_354 Depth=4
	v_bfe_u32 v5, v23, 24, 7
	v_cmp_ne_u32_e32 vcc, s83, v5
	v_mov_b32_e32 v1, 0x7f800001
	s_and_saveexec_b64 s[48:49], vcc
	s_cbranch_execz .LBB6_2441
; %bb.2440:                             ;   in Loop: Header=BB6_354 Depth=4
	v_and_b32_e32 v1, 7, v2
	v_lshrrev_b32_e32 v22, 3, v5
	v_cmp_gt_u32_e32 vcc, 8, v5
	v_ffbh_u32_e32 v5, v1
	v_min_u32_e32 v5, 32, v5
	v_subrev_u32_e32 v16, 28, v5
	v_lshlrev_b64 v[16:17], v16, v[2:3]
	v_sub_u32_e32 v5, 29, v5
	v_and_b32_e32 v16, 7, v16
	v_cndmask_b32_e32 v5, v22, v5, vcc
	v_cndmask_b32_e32 v1, v1, v16, vcc
	v_lshlrev_b32_e32 v2, 24, v2
	v_bfrev_b32_e32 v16, 60
	v_lshlrev_b32_e32 v1, 20, v1
	v_and_b32_e32 v2, 0x80000000, v2
	v_lshl_add_u32 v5, v5, 23, v16
	v_or3_b32 v1, v2, v5, v1
.LBB6_2441:                             ;   in Loop: Header=BB6_354 Depth=4
	s_or_b64 exec, exec, s[48:49]
.LBB6_2442:                             ;   in Loop: Header=BB6_354 Depth=4
	s_or_b64 exec, exec, s[40:41]
.LBB6_2443:                             ;   in Loop: Header=BB6_354 Depth=4
	s_or_b64 exec, exec, s[38:39]
	v_cmp_lt_u64_e32 vcc, s[62:63], v[18:19]
	s_and_saveexec_b64 s[40:41], vcc
	s_cbranch_execz .LBB6_2449
; %bb.2444:                             ;   in Loop: Header=BB6_354 Depth=4
	v_cmp_ne_u32_e32 vcc, s82, v0
	v_bfrev_b32_e32 v3, 1
	s_and_saveexec_b64 s[38:39], vcc
	s_cbranch_execz .LBB6_2448
; %bb.2445:                             ;   in Loop: Header=BB6_354 Depth=4
	v_bfe_u32 v2, v19, 24, 7
	v_cmp_ne_u32_e32 vcc, s83, v2
	v_mov_b32_e32 v3, 0x7f800001
	s_and_saveexec_b64 s[48:49], vcc
	s_cbranch_execz .LBB6_2447
; %bb.2446:                             ;   in Loop: Header=BB6_354 Depth=4
	v_and_b32_e32 v5, 7, v0
	v_lshrrev_b32_e32 v16, 3, v2
	v_cmp_gt_u32_e32 vcc, 8, v2
	v_ffbh_u32_e32 v2, v5
	v_min_u32_e32 v17, 32, v2
	v_subrev_u32_e32 v2, 28, v17
	v_lshlrev_b64 v[2:3], v2, v[0:1]
	v_sub_u32_e32 v3, 29, v17
	v_and_b32_e32 v2, 7, v2
	v_cndmask_b32_e32 v3, v16, v3, vcc
	v_cndmask_b32_e32 v2, v5, v2, vcc
	v_lshlrev_b32_e32 v0, 24, v0
	v_bfrev_b32_e32 v5, 60
	v_lshlrev_b32_e32 v2, 20, v2
	v_and_b32_e32 v0, 0x80000000, v0
	v_lshl_add_u32 v3, v3, 23, v5
	v_or3_b32 v3, v0, v3, v2
.LBB6_2447:                             ;   in Loop: Header=BB6_354 Depth=4
	s_or_b64 exec, exec, s[48:49]
.LBB6_2448:                             ;   in Loop: Header=BB6_354 Depth=4
	s_or_b64 exec, exec, s[38:39]
.LBB6_2449:                             ;   in Loop: Header=BB6_354 Depth=4
	s_or_b64 exec, exec, s[40:41]
	v_max_f32_e32 v0, v3, v3
	v_max_f32_e32 v1, v1, v1
	v_min_f32_e32 v1, v1, v0
.LBB6_2450:                             ;   in Loop: Header=BB6_354 Depth=4
	v_and_b32_e32 v52, 0x7f800000, v1
	v_cmp_ne_u64_e32 vcc, s[76:77], v[52:53]
                                        ; implicit-def: $vgpr18
	s_and_saveexec_b64 s[40:41], vcc
	s_xor_b64 s[38:39], exec, s[40:41]
	s_cbranch_execz .LBB6_2464
; %bb.2451:                             ;   in Loop: Header=BB6_354 Depth=4
	v_and_b32_e32 v52, 0x7fffffff, v1
	v_cmp_gt_u64_e32 vcc, s[78:79], v[52:53]
	v_and_b32_sdwa v3, v1, s82 dst_sel:DWORD dst_unused:UNUSED_PAD src0_sel:BYTE_3 src1_sel:DWORD
                                        ; implicit-def: $vgpr18
	s_and_saveexec_b64 s[40:41], vcc
	s_xor_b64 s[48:49], exec, s[40:41]
	s_cbranch_execz .LBB6_2461
; %bb.2452:                             ;   in Loop: Header=BB6_354 Depth=4
	v_mov_b32_e32 v18, 0
	v_cmp_ne_u32_e32 vcc, 0, v1
	s_and_saveexec_b64 s[50:51], vcc
	s_cbranch_execz .LBB6_2460
; %bb.2453:                             ;   in Loop: Header=BB6_354 Depth=4
	v_bfe_u32 v5, v1, 23, 8
	v_and_b32_e32 v0, 0x7fffff, v1
	v_cmp_gt_u32_e64 s[40:41], s85, v5
	v_sub_u32_e32 v1, 0x79, v5
	v_cmp_eq_u32_e32 vcc, 0, v5
	v_cndmask_b32_e64 v1, 0, v1, s[40:41]
	v_mov_b32_e32 v16, 0x78
	v_or_b32_e32 v2, 0x800000, v0
	v_cndmask_b32_e32 v16, v1, v16, vcc
	v_cndmask_b32_e32 v52, v2, v0, vcc
	v_add_u32_e32 v0, 20, v16
	v_lshlrev_b64 v[0:1], v0, -1
	v_add_u32_e32 v2, 19, v16
	v_lshlrev_b64 v[17:18], v2, 1
	v_bfi_b32 v1, v1, 0, 0
	v_bfi_b32 v0, v0, 0, v52
	v_cmp_eq_u64_e64 s[40:41], v[0:1], v[17:18]
	v_lshrrev_b64 v[0:1], v16, v[52:53]
	v_mov_b32_e32 v2, v1
	v_mov_b32_e32 v1, v0
	s_and_saveexec_b64 s[52:53], s[40:41]
; %bb.2454:                             ;   in Loop: Header=BB6_354 Depth=4
	v_bfe_u32 v1, v0, 20, 1
	v_add_co_u32_e64 v1, s[40:41], v0, v1
	v_add_co_u32_e64 v1, s[40:41], -1, v1
; %bb.2455:                             ;   in Loop: Header=BB6_354 Depth=4
	s_or_b64 exec, exec, s[52:53]
	v_add_u32_e32 v2, 0xffffff81, v5
	v_mov_b32_e32 v5, 0xffffff82
	v_cndmask_b32_e32 v2, v2, v5, vcc
	v_lshrrev_b32_e32 v5, 23, v0
	v_add3_u32 v16, v16, v2, v5
	v_add_u32_e32 v5, 6, v16
	v_and_b32_e32 v1, 0xfffff, v1
	v_add_u32_e32 v52, v1, v0
	v_cmp_ne_u32_e32 vcc, 0, v5
                                        ; implicit-def: $vgpr0_vgpr1
                                        ; implicit-def: $vgpr2
	s_and_saveexec_b64 s[40:41], vcc
	s_xor_b64 s[40:41], exec, s[40:41]
; %bb.2456:                             ;   in Loop: Header=BB6_354 Depth=4
	v_cmp_lt_u64_e32 vcc, s[88:89], v[52:53]
	v_add_u32_e32 v0, 7, v16
	v_cndmask_b32_e32 v2, v5, v0, vcc
	v_cndmask_b32_e64 v0, 0, 1, vcc
	v_lshrrev_b64 v[0:1], v0, v[52:53]
; %bb.2457:                             ;   in Loop: Header=BB6_354 Depth=4
	s_andn2_saveexec_b64 s[40:41], s[40:41]
; %bb.2458:                             ;   in Loop: Header=BB6_354 Depth=4
	v_mov_b32_e32 v0, v52
	v_bfe_u32 v2, v52, 23, 1
	v_mov_b32_e32 v1, v53
; %bb.2459:                             ;   in Loop: Header=BB6_354 Depth=4
	s_or_b64 exec, exec, s[40:41]
	v_lshrrev_b64 v[0:1], 20, v[0:1]
	v_cmp_gt_i32_e32 vcc, 16, v2
	v_cndmask_b32_e32 v1, 0, v1, vcc
	v_cndmask_b32_e32 v0, 7, v0, vcc
	v_cmp_eq_u64_e64 s[40:41], 0, v[0:1]
	v_min_i32_e32 v1, 15, v2
	v_lshlrev_b32_e32 v1, 3, v1
	v_cmp_eq_u32_e32 vcc, 0, v2
	v_and_b32_e32 v1, 0xf8, v1
	v_and_or_b32 v0, v0, 7, v1
	s_and_b64 s[40:41], vcc, s[40:41]
	v_cndmask_b32_e64 v0, v0, 0, s[40:41]
	v_or_b32_e32 v18, v0, v3
.LBB6_2460:                             ;   in Loop: Header=BB6_354 Depth=4
	s_or_b64 exec, exec, s[50:51]
                                        ; implicit-def: $vgpr3
.LBB6_2461:                             ;   in Loop: Header=BB6_354 Depth=4
	s_andn2_saveexec_b64 s[40:41], s[48:49]
; %bb.2462:                             ;   in Loop: Header=BB6_354 Depth=4
	v_or_b32_e32 v18, 0x7e, v3
; %bb.2463:                             ;   in Loop: Header=BB6_354 Depth=4
	s_or_b64 exec, exec, s[40:41]
                                        ; implicit-def: $vgpr1
.LBB6_2464:                             ;   in Loop: Header=BB6_354 Depth=4
	s_andn2_saveexec_b64 s[40:41], s[38:39]
; %bb.2465:                             ;   in Loop: Header=BB6_354 Depth=4
	v_or_b32_sdwa v18, v1, s83 dst_sel:DWORD dst_unused:UNUSED_PAD src0_sel:BYTE_3 src1_sel:DWORD
; %bb.2466:                             ;   in Loop: Header=BB6_354 Depth=4
	s_or_b64 exec, exec, s[40:41]
	v_cmp_ne_u16_sdwa s[40:41], v12, v53 src0_sel:BYTE_0 src1_sel:DWORD
	s_and_b64 vcc, exec, s[28:29]
	s_mov_b64 s[38:39], -1
                                        ; implicit-def: $vgpr0
	s_cbranch_vccnz .LBB6_2480
; %bb.2467:                             ;   in Loop: Header=BB6_354 Depth=4
	v_mov_b32_e32 v1, 0
	v_mov_b32_e32 v0, 0
	s_and_saveexec_b64 s[38:39], s[40:41]
	s_cbranch_execz .LBB6_2473
; %bb.2468:                             ;   in Loop: Header=BB6_354 Depth=4
	v_cmp_ne_u16_sdwa vcc, v12, s82 src0_sel:BYTE_0 src1_sel:DWORD
	v_bfrev_b32_e32 v0, 1
	s_and_saveexec_b64 s[48:49], vcc
	s_cbranch_execz .LBB6_2472
; %bb.2469:                             ;   in Loop: Header=BB6_354 Depth=4
	v_and_b32_e32 v2, 0x7f, v12
	v_cmp_ne_u32_e32 vcc, s83, v2
	v_mov_b32_e32 v0, 0x7f800001
	s_and_saveexec_b64 s[50:51], vcc
	s_cbranch_execz .LBB6_2471
; %bb.2470:                             ;   in Loop: Header=BB6_354 Depth=4
	v_and_b32_e32 v0, 7, v12
	v_ffbh_u32_e32 v0, v0
	v_min_u32_e32 v0, 32, v0
	v_lshrrev_b32_e32 v3, 3, v2
	v_cmp_gt_u32_e32 vcc, 8, v2
	v_subrev_u32_e32 v2, 28, v0
	v_sub_u32_e32 v0, 29, v0
	v_cndmask_b32_e32 v2, 0, v2, vcc
	v_cndmask_b32_e32 v0, v3, v0, vcc
	v_lshlrev_b64 v[2:3], v2, v[12:13]
	v_lshlrev_b32_e32 v3, 24, v12
	v_lshlrev_b32_e32 v2, 20, v2
	v_bfrev_b32_e32 v5, 60
	v_and_b32_e32 v2, 0x700000, v2
	v_and_b32_e32 v3, 0x80000000, v3
	v_lshl_add_u32 v0, v0, 23, v5
	v_or3_b32 v0, v3, v0, v2
.LBB6_2471:                             ;   in Loop: Header=BB6_354 Depth=4
	s_or_b64 exec, exec, s[50:51]
.LBB6_2472:                             ;   in Loop: Header=BB6_354 Depth=4
	s_or_b64 exec, exec, s[48:49]
.LBB6_2473:                             ;   in Loop: Header=BB6_354 Depth=4
	s_or_b64 exec, exec, s[38:39]
	s_waitcnt vmcnt(21)
	v_cmp_ne_u16_sdwa vcc, v8, v53 src0_sel:BYTE_0 src1_sel:DWORD
	s_and_saveexec_b64 s[38:39], vcc
	s_cbranch_execz .LBB6_2479
; %bb.2474:                             ;   in Loop: Header=BB6_354 Depth=4
	v_cmp_ne_u16_sdwa vcc, v8, s82 src0_sel:BYTE_0 src1_sel:DWORD
	v_bfrev_b32_e32 v1, 1
	s_and_saveexec_b64 s[48:49], vcc
	s_cbranch_execz .LBB6_2478
; %bb.2475:                             ;   in Loop: Header=BB6_354 Depth=4
	v_and_b32_e32 v2, 0x7f, v8
	v_cmp_ne_u32_e32 vcc, s83, v2
	v_mov_b32_e32 v1, 0x7f800001
	s_and_saveexec_b64 s[50:51], vcc
	s_cbranch_execz .LBB6_2477
; %bb.2476:                             ;   in Loop: Header=BB6_354 Depth=4
	v_and_b32_e32 v1, 7, v8
	v_ffbh_u32_e32 v1, v1
	v_min_u32_e32 v1, 32, v1
	v_lshrrev_b32_e32 v3, 3, v2
	v_cmp_gt_u32_e32 vcc, 8, v2
	v_subrev_u32_e32 v2, 28, v1
	v_sub_u32_e32 v1, 29, v1
	v_cndmask_b32_e32 v3, v3, v1, vcc
	v_cndmask_b32_e32 v1, 0, v2, vcc
	v_lshlrev_b64 v[1:2], v1, v[8:9]
	v_lshlrev_b32_e32 v2, 24, v8
	v_lshlrev_b32_e32 v1, 20, v1
	v_bfrev_b32_e32 v5, 60
	v_and_b32_e32 v1, 0x700000, v1
	v_and_b32_e32 v2, 0x80000000, v2
	v_lshl_add_u32 v3, v3, 23, v5
	v_or3_b32 v1, v2, v3, v1
.LBB6_2477:                             ;   in Loop: Header=BB6_354 Depth=4
	s_or_b64 exec, exec, s[50:51]
.LBB6_2478:                             ;   in Loop: Header=BB6_354 Depth=4
	s_or_b64 exec, exec, s[48:49]
.LBB6_2479:                             ;   in Loop: Header=BB6_354 Depth=4
	s_or_b64 exec, exec, s[38:39]
	v_max_f32_e32 v1, v1, v1
	v_max_f32_e32 v0, v0, v0
	;; [unrolled: 1-line block ×3, first 2 shown]
	s_mov_b64 s[38:39], 0
.LBB6_2480:                             ;   in Loop: Header=BB6_354 Depth=4
	s_and_b64 vcc, exec, s[38:39]
	s_cbranch_vccz .LBB6_2494
; %bb.2481:                             ;   in Loop: Header=BB6_354 Depth=4
	v_mov_b32_e32 v1, 0
	v_mov_b32_e32 v0, 0
	s_and_saveexec_b64 s[38:39], s[40:41]
	s_cbranch_execz .LBB6_2487
; %bb.2482:                             ;   in Loop: Header=BB6_354 Depth=4
	v_cmp_ne_u16_sdwa vcc, v12, s82 src0_sel:BYTE_0 src1_sel:DWORD
	v_bfrev_b32_e32 v0, 1
	s_and_saveexec_b64 s[40:41], vcc
	s_cbranch_execz .LBB6_2486
; %bb.2483:                             ;   in Loop: Header=BB6_354 Depth=4
	v_and_b32_e32 v2, 0x7f, v12
	v_cmp_ne_u32_e32 vcc, s83, v2
	v_mov_b32_e32 v0, 0x7f800001
	s_and_saveexec_b64 s[48:49], vcc
	s_cbranch_execz .LBB6_2485
; %bb.2484:                             ;   in Loop: Header=BB6_354 Depth=4
	v_and_b32_e32 v0, 7, v12
	v_ffbh_u32_e32 v0, v0
	v_min_u32_e32 v0, 32, v0
	v_lshrrev_b32_e32 v3, 3, v2
	v_cmp_gt_u32_e32 vcc, 8, v2
	v_subrev_u32_e32 v2, 28, v0
	v_sub_u32_e32 v0, 29, v0
	v_cndmask_b32_e32 v2, 0, v2, vcc
	v_cndmask_b32_e32 v0, v3, v0, vcc
	v_lshlrev_b64 v[2:3], v2, v[12:13]
	v_lshlrev_b32_e32 v3, 24, v12
	v_lshlrev_b32_e32 v2, 20, v2
	v_bfrev_b32_e32 v5, 60
	v_and_b32_e32 v2, 0x700000, v2
	v_and_b32_e32 v3, 0x80000000, v3
	v_lshl_add_u32 v0, v0, 23, v5
	v_or3_b32 v0, v3, v0, v2
.LBB6_2485:                             ;   in Loop: Header=BB6_354 Depth=4
	s_or_b64 exec, exec, s[48:49]
.LBB6_2486:                             ;   in Loop: Header=BB6_354 Depth=4
	s_or_b64 exec, exec, s[40:41]
.LBB6_2487:                             ;   in Loop: Header=BB6_354 Depth=4
	s_or_b64 exec, exec, s[38:39]
	s_waitcnt vmcnt(21)
	v_cmp_ne_u16_sdwa vcc, v8, v53 src0_sel:BYTE_0 src1_sel:DWORD
	s_and_saveexec_b64 s[40:41], vcc
	s_cbranch_execz .LBB6_2493
; %bb.2488:                             ;   in Loop: Header=BB6_354 Depth=4
	v_cmp_ne_u16_sdwa vcc, v8, s82 src0_sel:BYTE_0 src1_sel:DWORD
	v_bfrev_b32_e32 v1, 1
	s_and_saveexec_b64 s[38:39], vcc
	s_cbranch_execz .LBB6_2492
; %bb.2489:                             ;   in Loop: Header=BB6_354 Depth=4
	v_and_b32_e32 v2, 0x7f, v8
	v_cmp_ne_u32_e32 vcc, s83, v2
	v_mov_b32_e32 v1, 0x7f800001
	s_and_saveexec_b64 s[48:49], vcc
	s_cbranch_execz .LBB6_2491
; %bb.2490:                             ;   in Loop: Header=BB6_354 Depth=4
	v_and_b32_e32 v1, 7, v8
	v_ffbh_u32_e32 v1, v1
	v_min_u32_e32 v1, 32, v1
	v_lshrrev_b32_e32 v3, 3, v2
	v_cmp_gt_u32_e32 vcc, 8, v2
	v_subrev_u32_e32 v2, 28, v1
	v_sub_u32_e32 v1, 29, v1
	v_cndmask_b32_e32 v3, v3, v1, vcc
	v_cndmask_b32_e32 v1, 0, v2, vcc
	v_lshlrev_b64 v[1:2], v1, v[8:9]
	v_lshlrev_b32_e32 v2, 24, v8
	v_lshlrev_b32_e32 v1, 20, v1
	v_bfrev_b32_e32 v5, 60
	v_and_b32_e32 v1, 0x700000, v1
	v_and_b32_e32 v2, 0x80000000, v2
	v_lshl_add_u32 v3, v3, 23, v5
	v_or3_b32 v1, v2, v3, v1
.LBB6_2491:                             ;   in Loop: Header=BB6_354 Depth=4
	s_or_b64 exec, exec, s[48:49]
.LBB6_2492:                             ;   in Loop: Header=BB6_354 Depth=4
	s_or_b64 exec, exec, s[38:39]
.LBB6_2493:                             ;   in Loop: Header=BB6_354 Depth=4
	s_or_b64 exec, exec, s[40:41]
	v_max_f32_e32 v1, v1, v1
	v_max_f32_e32 v0, v0, v0
	v_min_f32_e32 v0, v0, v1
.LBB6_2494:                             ;   in Loop: Header=BB6_354 Depth=4
	v_and_b32_e32 v52, 0x7f800000, v0
	v_cmp_ne_u64_e32 vcc, s[76:77], v[52:53]
                                        ; implicit-def: $vgpr19
	s_and_saveexec_b64 s[40:41], vcc
	s_xor_b64 s[38:39], exec, s[40:41]
	s_cbranch_execz .LBB6_2508
; %bb.2495:                             ;   in Loop: Header=BB6_354 Depth=4
	v_and_b32_e32 v52, 0x7fffffff, v0
	v_cmp_gt_u64_e32 vcc, s[78:79], v[52:53]
	v_and_b32_sdwa v3, v0, s82 dst_sel:DWORD dst_unused:UNUSED_PAD src0_sel:BYTE_3 src1_sel:DWORD
                                        ; implicit-def: $vgpr19
	s_and_saveexec_b64 s[40:41], vcc
	s_xor_b64 s[48:49], exec, s[40:41]
	s_cbranch_execz .LBB6_2505
; %bb.2496:                             ;   in Loop: Header=BB6_354 Depth=4
	v_mov_b32_e32 v19, 0
	v_cmp_ne_u32_e32 vcc, 0, v0
	s_and_saveexec_b64 s[50:51], vcc
	s_cbranch_execz .LBB6_2504
; %bb.2497:                             ;   in Loop: Header=BB6_354 Depth=4
	v_bfe_u32 v5, v0, 23, 8
	v_and_b32_e32 v1, 0x7fffff, v0
	v_cmp_gt_u32_e64 s[40:41], s85, v5
	v_sub_u32_e32 v0, 0x79, v5
	v_cmp_eq_u32_e32 vcc, 0, v5
	v_cndmask_b32_e64 v0, 0, v0, s[40:41]
	v_mov_b32_e32 v16, 0x78
	v_cndmask_b32_e32 v16, v0, v16, vcc
	v_or_b32_e32 v2, 0x800000, v1
	v_add_u32_e32 v0, 20, v16
	v_cndmask_b32_e32 v52, v2, v1, vcc
	v_lshlrev_b64 v[0:1], v0, -1
	v_add_u32_e32 v2, 19, v16
	v_lshlrev_b64 v[22:23], v2, 1
	v_bfi_b32 v1, v1, 0, 0
	v_bfi_b32 v0, v0, 0, v52
	v_cmp_eq_u64_e64 s[40:41], v[0:1], v[22:23]
	v_lshrrev_b64 v[0:1], v16, v[52:53]
	v_mov_b32_e32 v2, v1
	v_mov_b32_e32 v1, v0
	s_and_saveexec_b64 s[52:53], s[40:41]
; %bb.2498:                             ;   in Loop: Header=BB6_354 Depth=4
	v_bfe_u32 v1, v0, 20, 1
	v_add_co_u32_e64 v1, s[40:41], v0, v1
	v_add_co_u32_e64 v1, s[40:41], -1, v1
; %bb.2499:                             ;   in Loop: Header=BB6_354 Depth=4
	s_or_b64 exec, exec, s[52:53]
	v_add_u32_e32 v2, 0xffffff81, v5
	v_mov_b32_e32 v5, 0xffffff82
	v_cndmask_b32_e32 v2, v2, v5, vcc
	v_lshrrev_b32_e32 v5, 23, v0
	v_add3_u32 v16, v16, v2, v5
	v_add_u32_e32 v5, 6, v16
	v_and_b32_e32 v1, 0xfffff, v1
	v_add_u32_e32 v52, v1, v0
	v_cmp_ne_u32_e32 vcc, 0, v5
                                        ; implicit-def: $vgpr0_vgpr1
                                        ; implicit-def: $vgpr2
	s_and_saveexec_b64 s[40:41], vcc
	s_xor_b64 s[40:41], exec, s[40:41]
; %bb.2500:                             ;   in Loop: Header=BB6_354 Depth=4
	v_cmp_lt_u64_e32 vcc, s[88:89], v[52:53]
	v_add_u32_e32 v0, 7, v16
	v_cndmask_b32_e32 v2, v5, v0, vcc
	v_cndmask_b32_e64 v0, 0, 1, vcc
	v_lshrrev_b64 v[0:1], v0, v[52:53]
; %bb.2501:                             ;   in Loop: Header=BB6_354 Depth=4
	s_andn2_saveexec_b64 s[40:41], s[40:41]
; %bb.2502:                             ;   in Loop: Header=BB6_354 Depth=4
	v_mov_b32_e32 v0, v52
	v_bfe_u32 v2, v52, 23, 1
	v_mov_b32_e32 v1, v53
; %bb.2503:                             ;   in Loop: Header=BB6_354 Depth=4
	s_or_b64 exec, exec, s[40:41]
	v_lshrrev_b64 v[0:1], 20, v[0:1]
	v_cmp_gt_i32_e32 vcc, 16, v2
	v_cndmask_b32_e32 v1, 0, v1, vcc
	v_cndmask_b32_e32 v0, 7, v0, vcc
	v_cmp_eq_u64_e64 s[40:41], 0, v[0:1]
	v_min_i32_e32 v1, 15, v2
	v_lshlrev_b32_e32 v1, 3, v1
	v_cmp_eq_u32_e32 vcc, 0, v2
	v_and_b32_e32 v1, 0xf8, v1
	v_and_or_b32 v0, v0, 7, v1
	s_and_b64 s[40:41], vcc, s[40:41]
	v_cndmask_b32_e64 v0, v0, 0, s[40:41]
	v_or_b32_e32 v19, v0, v3
.LBB6_2504:                             ;   in Loop: Header=BB6_354 Depth=4
	s_or_b64 exec, exec, s[50:51]
                                        ; implicit-def: $vgpr3
.LBB6_2505:                             ;   in Loop: Header=BB6_354 Depth=4
	s_andn2_saveexec_b64 s[40:41], s[48:49]
; %bb.2506:                             ;   in Loop: Header=BB6_354 Depth=4
	v_or_b32_e32 v19, 0x7e, v3
; %bb.2507:                             ;   in Loop: Header=BB6_354 Depth=4
	s_or_b64 exec, exec, s[40:41]
                                        ; implicit-def: $vgpr0
.LBB6_2508:                             ;   in Loop: Header=BB6_354 Depth=4
	s_andn2_saveexec_b64 s[40:41], s[38:39]
; %bb.2509:                             ;   in Loop: Header=BB6_354 Depth=4
	v_or_b32_sdwa v19, v0, s83 dst_sel:DWORD dst_unused:UNUSED_PAD src0_sel:BYTE_3 src1_sel:DWORD
; %bb.2510:                             ;   in Loop: Header=BB6_354 Depth=4
	s_or_b64 exec, exec, s[40:41]
	v_lshrrev_b16_e32 v2, 8, v12
	s_waitcnt vmcnt(21)
	v_lshrrev_b16_e32 v0, 8, v8
	v_cmp_ne_u16_e64 s[40:41], 0, v2
	s_and_b64 vcc, exec, s[28:29]
	s_mov_b64 s[38:39], -1
                                        ; implicit-def: $vgpr1
	s_cbranch_vccnz .LBB6_2524
; %bb.2511:                             ;   in Loop: Header=BB6_354 Depth=4
	v_mov_b32_e32 v3, 0
	v_mov_b32_e32 v1, 0
	s_and_saveexec_b64 s[38:39], s[40:41]
	s_cbranch_execz .LBB6_2517
; %bb.2512:                             ;   in Loop: Header=BB6_354 Depth=4
	v_cmp_ne_u16_e32 vcc, s82, v2
	v_bfrev_b32_e32 v1, 1
	s_and_saveexec_b64 s[48:49], vcc
	s_cbranch_execz .LBB6_2516
; %bb.2513:                             ;   in Loop: Header=BB6_354 Depth=4
	v_and_b32_e32 v5, 0x7f, v2
	v_cmp_ne_u32_e32 vcc, s83, v5
	v_mov_b32_e32 v1, 0x7f800001
	s_and_saveexec_b64 s[50:51], vcc
	s_cbranch_execz .LBB6_2515
; %bb.2514:                             ;   in Loop: Header=BB6_354 Depth=4
	v_and_b32_e32 v1, 7, v2
	v_lshrrev_b32_e32 v22, 3, v5
	v_cmp_gt_u32_e32 vcc, 8, v5
	v_ffbh_u32_e32 v5, v1
	v_min_u32_e32 v5, 32, v5
	v_subrev_u32_e32 v16, 28, v5
	v_lshlrev_b64 v[16:17], v16, v[2:3]
	v_sub_u32_e32 v5, 29, v5
	v_and_b32_e32 v16, 7, v16
	v_cndmask_b32_e32 v5, v22, v5, vcc
	v_cndmask_b32_e32 v1, v1, v16, vcc
	v_lshlrev_b32_e32 v16, 16, v12
	v_bfrev_b32_e32 v17, 60
	v_lshlrev_b32_e32 v1, 20, v1
	v_and_b32_e32 v16, 0x80000000, v16
	v_lshl_add_u32 v5, v5, 23, v17
	v_or3_b32 v1, v16, v5, v1
.LBB6_2515:                             ;   in Loop: Header=BB6_354 Depth=4
	s_or_b64 exec, exec, s[50:51]
.LBB6_2516:                             ;   in Loop: Header=BB6_354 Depth=4
	s_or_b64 exec, exec, s[48:49]
.LBB6_2517:                             ;   in Loop: Header=BB6_354 Depth=4
	s_or_b64 exec, exec, s[38:39]
	v_cmp_ne_u16_e32 vcc, 0, v0
	s_and_saveexec_b64 s[38:39], vcc
	s_cbranch_execz .LBB6_2523
; %bb.2518:                             ;   in Loop: Header=BB6_354 Depth=4
	v_cmp_ne_u16_e32 vcc, s82, v0
	v_bfrev_b32_e32 v3, 1
	s_and_saveexec_b64 s[48:49], vcc
	s_cbranch_execz .LBB6_2522
; %bb.2519:                             ;   in Loop: Header=BB6_354 Depth=4
	v_and_b32_e32 v5, 0x7f, v0
	v_cmp_ne_u32_e32 vcc, s83, v5
	v_mov_b32_e32 v3, 0x7f800001
	s_and_saveexec_b64 s[50:51], vcc
	s_cbranch_execz .LBB6_2521
; %bb.2520:                             ;   in Loop: Header=BB6_354 Depth=4
	v_and_b32_e32 v3, 7, v0
	v_lshrrev_b32_e32 v22, 3, v5
	v_cmp_gt_u32_e32 vcc, 8, v5
	v_ffbh_u32_e32 v5, v3
	v_min_u32_e32 v5, 32, v5
	v_subrev_u32_e32 v16, 28, v5
	v_lshlrev_b64 v[16:17], v16, v[0:1]
	v_sub_u32_e32 v5, 29, v5
	v_and_b32_e32 v16, 7, v16
	v_cndmask_b32_e32 v5, v22, v5, vcc
	v_cndmask_b32_e32 v3, v3, v16, vcc
	v_lshlrev_b32_e32 v16, 16, v8
	v_bfrev_b32_e32 v17, 60
	v_lshlrev_b32_e32 v3, 20, v3
	v_and_b32_e32 v16, 0x80000000, v16
	v_lshl_add_u32 v5, v5, 23, v17
	v_or3_b32 v3, v16, v5, v3
.LBB6_2521:                             ;   in Loop: Header=BB6_354 Depth=4
	s_or_b64 exec, exec, s[50:51]
.LBB6_2522:                             ;   in Loop: Header=BB6_354 Depth=4
	s_or_b64 exec, exec, s[48:49]
.LBB6_2523:                             ;   in Loop: Header=BB6_354 Depth=4
	s_or_b64 exec, exec, s[38:39]
	v_max_f32_e32 v3, v3, v3
	v_max_f32_e32 v1, v1, v1
	;; [unrolled: 1-line block ×3, first 2 shown]
	s_mov_b64 s[38:39], 0
.LBB6_2524:                             ;   in Loop: Header=BB6_354 Depth=4
	s_and_b64 vcc, exec, s[38:39]
	s_cbranch_vccz .LBB6_2538
; %bb.2525:                             ;   in Loop: Header=BB6_354 Depth=4
	v_mov_b32_e32 v3, 0
	v_mov_b32_e32 v1, 0
	s_and_saveexec_b64 s[38:39], s[40:41]
	s_cbranch_execz .LBB6_2531
; %bb.2526:                             ;   in Loop: Header=BB6_354 Depth=4
	v_cmp_ne_u16_e32 vcc, s82, v2
	v_bfrev_b32_e32 v1, 1
	s_and_saveexec_b64 s[40:41], vcc
	s_cbranch_execz .LBB6_2530
; %bb.2527:                             ;   in Loop: Header=BB6_354 Depth=4
	v_and_b32_e32 v5, 0x7f, v2
	v_cmp_ne_u32_e32 vcc, s83, v5
	v_mov_b32_e32 v1, 0x7f800001
	s_and_saveexec_b64 s[48:49], vcc
	s_cbranch_execz .LBB6_2529
; %bb.2528:                             ;   in Loop: Header=BB6_354 Depth=4
	v_and_b32_e32 v16, 7, v2
	v_ffbh_u32_e32 v1, v16
	v_lshrrev_b32_e32 v17, 3, v5
	v_cmp_gt_u32_e32 vcc, 8, v5
	v_min_u32_e32 v5, 32, v1
	v_subrev_u32_e32 v1, 28, v5
	v_lshlrev_b64 v[1:2], v1, v[2:3]
	v_sub_u32_e32 v2, 29, v5
	v_and_b32_e32 v1, 7, v1
	v_cndmask_b32_e32 v2, v17, v2, vcc
	v_cndmask_b32_e32 v1, v16, v1, vcc
	v_lshlrev_b32_e32 v5, 16, v12
	v_bfrev_b32_e32 v16, 60
	v_lshlrev_b32_e32 v1, 20, v1
	v_and_b32_e32 v5, 0x80000000, v5
	v_lshl_add_u32 v2, v2, 23, v16
	v_or3_b32 v1, v5, v2, v1
.LBB6_2529:                             ;   in Loop: Header=BB6_354 Depth=4
	s_or_b64 exec, exec, s[48:49]
.LBB6_2530:                             ;   in Loop: Header=BB6_354 Depth=4
	s_or_b64 exec, exec, s[40:41]
.LBB6_2531:                             ;   in Loop: Header=BB6_354 Depth=4
	s_or_b64 exec, exec, s[38:39]
	v_cmp_ne_u16_e32 vcc, 0, v0
	s_and_saveexec_b64 s[40:41], vcc
	s_cbranch_execz .LBB6_2537
; %bb.2532:                             ;   in Loop: Header=BB6_354 Depth=4
	v_cmp_ne_u16_e32 vcc, s82, v0
	v_bfrev_b32_e32 v3, 1
	s_and_saveexec_b64 s[38:39], vcc
	s_cbranch_execz .LBB6_2536
; %bb.2533:                             ;   in Loop: Header=BB6_354 Depth=4
	v_and_b32_e32 v2, 0x7f, v0
	v_cmp_ne_u32_e32 vcc, s83, v2
	v_mov_b32_e32 v3, 0x7f800001
	s_and_saveexec_b64 s[48:49], vcc
	s_cbranch_execz .LBB6_2535
; %bb.2534:                             ;   in Loop: Header=BB6_354 Depth=4
	v_and_b32_e32 v5, 7, v0
	v_lshrrev_b32_e32 v16, 3, v2
	v_cmp_gt_u32_e32 vcc, 8, v2
	v_ffbh_u32_e32 v2, v5
	v_min_u32_e32 v17, 32, v2
	v_subrev_u32_e32 v2, 28, v17
	v_lshlrev_b64 v[2:3], v2, v[0:1]
	v_sub_u32_e32 v0, 29, v17
	v_and_b32_e32 v2, 7, v2
	v_cndmask_b32_e32 v0, v16, v0, vcc
	v_cndmask_b32_e32 v2, v5, v2, vcc
	v_lshlrev_b32_e32 v3, 16, v8
	v_bfrev_b32_e32 v5, 60
	v_lshlrev_b32_e32 v2, 20, v2
	v_and_b32_e32 v3, 0x80000000, v3
	v_lshl_add_u32 v0, v0, 23, v5
	v_or3_b32 v3, v3, v0, v2
.LBB6_2535:                             ;   in Loop: Header=BB6_354 Depth=4
	s_or_b64 exec, exec, s[48:49]
.LBB6_2536:                             ;   in Loop: Header=BB6_354 Depth=4
	s_or_b64 exec, exec, s[38:39]
.LBB6_2537:                             ;   in Loop: Header=BB6_354 Depth=4
	s_or_b64 exec, exec, s[40:41]
	v_max_f32_e32 v0, v3, v3
	v_max_f32_e32 v1, v1, v1
	v_min_f32_e32 v1, v1, v0
.LBB6_2538:                             ;   in Loop: Header=BB6_354 Depth=4
	v_and_b32_e32 v52, 0x7f800000, v1
	v_cmp_ne_u64_e32 vcc, s[76:77], v[52:53]
                                        ; implicit-def: $vgpr22
	s_and_saveexec_b64 s[40:41], vcc
	s_xor_b64 s[38:39], exec, s[40:41]
	s_cbranch_execz .LBB6_2552
; %bb.2539:                             ;   in Loop: Header=BB6_354 Depth=4
	v_and_b32_e32 v52, 0x7fffffff, v1
	v_cmp_gt_u64_e32 vcc, s[78:79], v[52:53]
	v_and_b32_sdwa v3, v1, s82 dst_sel:DWORD dst_unused:UNUSED_PAD src0_sel:BYTE_3 src1_sel:DWORD
                                        ; implicit-def: $vgpr22
	s_and_saveexec_b64 s[40:41], vcc
	s_xor_b64 s[48:49], exec, s[40:41]
	s_cbranch_execz .LBB6_2549
; %bb.2540:                             ;   in Loop: Header=BB6_354 Depth=4
	v_mov_b32_e32 v22, 0
	v_cmp_ne_u32_e32 vcc, 0, v1
	s_and_saveexec_b64 s[50:51], vcc
	s_cbranch_execz .LBB6_2548
; %bb.2541:                             ;   in Loop: Header=BB6_354 Depth=4
	v_bfe_u32 v5, v1, 23, 8
	v_and_b32_e32 v0, 0x7fffff, v1
	v_cmp_gt_u32_e64 s[40:41], s85, v5
	v_sub_u32_e32 v1, 0x79, v5
	v_cmp_eq_u32_e32 vcc, 0, v5
	v_cndmask_b32_e64 v1, 0, v1, s[40:41]
	v_mov_b32_e32 v16, 0x78
	v_or_b32_e32 v2, 0x800000, v0
	v_cndmask_b32_e32 v16, v1, v16, vcc
	v_cndmask_b32_e32 v52, v2, v0, vcc
	v_add_u32_e32 v0, 20, v16
	v_lshlrev_b64 v[0:1], v0, -1
	v_add_u32_e32 v2, 19, v16
	v_lshlrev_b64 v[22:23], v2, 1
	v_bfi_b32 v1, v1, 0, 0
	v_bfi_b32 v0, v0, 0, v52
	v_cmp_eq_u64_e64 s[40:41], v[0:1], v[22:23]
	v_lshrrev_b64 v[0:1], v16, v[52:53]
	v_mov_b32_e32 v2, v1
	v_mov_b32_e32 v1, v0
	s_and_saveexec_b64 s[52:53], s[40:41]
; %bb.2542:                             ;   in Loop: Header=BB6_354 Depth=4
	v_bfe_u32 v1, v0, 20, 1
	v_add_co_u32_e64 v1, s[40:41], v0, v1
	v_add_co_u32_e64 v1, s[40:41], -1, v1
; %bb.2543:                             ;   in Loop: Header=BB6_354 Depth=4
	s_or_b64 exec, exec, s[52:53]
	v_add_u32_e32 v2, 0xffffff81, v5
	v_mov_b32_e32 v5, 0xffffff82
	v_cndmask_b32_e32 v2, v2, v5, vcc
	v_lshrrev_b32_e32 v5, 23, v0
	v_add3_u32 v16, v16, v2, v5
	v_add_u32_e32 v5, 6, v16
	v_and_b32_e32 v1, 0xfffff, v1
	v_add_u32_e32 v52, v1, v0
	v_cmp_ne_u32_e32 vcc, 0, v5
                                        ; implicit-def: $vgpr0_vgpr1
                                        ; implicit-def: $vgpr2
	s_and_saveexec_b64 s[40:41], vcc
	s_xor_b64 s[40:41], exec, s[40:41]
; %bb.2544:                             ;   in Loop: Header=BB6_354 Depth=4
	v_cmp_lt_u64_e32 vcc, s[88:89], v[52:53]
	v_add_u32_e32 v0, 7, v16
	v_cndmask_b32_e32 v2, v5, v0, vcc
	v_cndmask_b32_e64 v0, 0, 1, vcc
	v_lshrrev_b64 v[0:1], v0, v[52:53]
; %bb.2545:                             ;   in Loop: Header=BB6_354 Depth=4
	s_andn2_saveexec_b64 s[40:41], s[40:41]
; %bb.2546:                             ;   in Loop: Header=BB6_354 Depth=4
	v_mov_b32_e32 v0, v52
	v_bfe_u32 v2, v52, 23, 1
	v_mov_b32_e32 v1, v53
; %bb.2547:                             ;   in Loop: Header=BB6_354 Depth=4
	s_or_b64 exec, exec, s[40:41]
	v_lshrrev_b64 v[0:1], 20, v[0:1]
	v_cmp_gt_i32_e32 vcc, 16, v2
	v_cndmask_b32_e32 v1, 0, v1, vcc
	v_cndmask_b32_e32 v0, 7, v0, vcc
	v_cmp_eq_u64_e64 s[40:41], 0, v[0:1]
	v_min_i32_e32 v1, 15, v2
	v_lshlrev_b32_e32 v1, 3, v1
	v_cmp_eq_u32_e32 vcc, 0, v2
	v_and_b32_e32 v1, 0xf8, v1
	v_and_or_b32 v0, v0, 7, v1
	s_and_b64 s[40:41], vcc, s[40:41]
	v_cndmask_b32_e64 v0, v0, 0, s[40:41]
	v_or_b32_e32 v22, v0, v3
.LBB6_2548:                             ;   in Loop: Header=BB6_354 Depth=4
	s_or_b64 exec, exec, s[50:51]
                                        ; implicit-def: $vgpr3
.LBB6_2549:                             ;   in Loop: Header=BB6_354 Depth=4
	s_andn2_saveexec_b64 s[40:41], s[48:49]
; %bb.2550:                             ;   in Loop: Header=BB6_354 Depth=4
	v_or_b32_e32 v22, 0x7e, v3
; %bb.2551:                             ;   in Loop: Header=BB6_354 Depth=4
	s_or_b64 exec, exec, s[40:41]
                                        ; implicit-def: $vgpr1
.LBB6_2552:                             ;   in Loop: Header=BB6_354 Depth=4
	s_andn2_saveexec_b64 s[40:41], s[38:39]
; %bb.2553:                             ;   in Loop: Header=BB6_354 Depth=4
	v_or_b32_sdwa v22, v1, s83 dst_sel:DWORD dst_unused:UNUSED_PAD src0_sel:BYTE_3 src1_sel:DWORD
; %bb.2554:                             ;   in Loop: Header=BB6_354 Depth=4
	s_or_b64 exec, exec, s[40:41]
	v_lshrrev_b32_e32 v2, 16, v12
	v_lshrrev_b32_e32 v0, 16, v8
	v_cmp_ne_u16_sdwa s[40:41], v2, v53 src0_sel:BYTE_0 src1_sel:DWORD
	s_and_b64 vcc, exec, s[28:29]
	s_mov_b64 s[38:39], -1
                                        ; implicit-def: $vgpr1
	s_cbranch_vccnz .LBB6_2568
; %bb.2555:                             ;   in Loop: Header=BB6_354 Depth=4
	v_mov_b32_e32 v3, 0
	v_mov_b32_e32 v1, 0
	s_and_saveexec_b64 s[38:39], s[40:41]
	s_cbranch_execz .LBB6_2561
; %bb.2556:                             ;   in Loop: Header=BB6_354 Depth=4
	v_cmp_ne_u16_sdwa vcc, v2, s82 src0_sel:BYTE_0 src1_sel:DWORD
	v_bfrev_b32_e32 v1, 1
	s_and_saveexec_b64 s[48:49], vcc
	s_cbranch_execz .LBB6_2560
; %bb.2557:                             ;   in Loop: Header=BB6_354 Depth=4
	v_bfe_u32 v5, v12, 16, 7
	v_cmp_ne_u32_e32 vcc, s83, v5
	v_mov_b32_e32 v1, 0x7f800001
	s_and_saveexec_b64 s[50:51], vcc
	s_cbranch_execz .LBB6_2559
; %bb.2558:                             ;   in Loop: Header=BB6_354 Depth=4
	v_and_b32_e32 v1, 7, v2
	v_lshrrev_b32_e32 v23, 3, v5
	v_cmp_gt_u32_e32 vcc, 8, v5
	v_ffbh_u32_e32 v5, v1
	v_min_u32_e32 v5, 32, v5
	v_subrev_u32_e32 v16, 28, v5
	v_lshlrev_b64 v[16:17], v16, v[2:3]
	v_sub_u32_e32 v5, 29, v5
	v_and_b32_e32 v16, 7, v16
	v_cndmask_b32_e32 v5, v23, v5, vcc
	v_cndmask_b32_e32 v1, v1, v16, vcc
	v_lshlrev_b32_e32 v16, 24, v2
	v_bfrev_b32_e32 v17, 60
	v_lshlrev_b32_e32 v1, 20, v1
	v_and_b32_e32 v16, 0x80000000, v16
	v_lshl_add_u32 v5, v5, 23, v17
	v_or3_b32 v1, v16, v5, v1
.LBB6_2559:                             ;   in Loop: Header=BB6_354 Depth=4
	s_or_b64 exec, exec, s[50:51]
.LBB6_2560:                             ;   in Loop: Header=BB6_354 Depth=4
	s_or_b64 exec, exec, s[48:49]
.LBB6_2561:                             ;   in Loop: Header=BB6_354 Depth=4
	s_or_b64 exec, exec, s[38:39]
	v_cmp_ne_u16_sdwa vcc, v0, v53 src0_sel:BYTE_0 src1_sel:DWORD
	s_and_saveexec_b64 s[38:39], vcc
	s_cbranch_execz .LBB6_2567
; %bb.2562:                             ;   in Loop: Header=BB6_354 Depth=4
	v_cmp_ne_u16_sdwa vcc, v0, s82 src0_sel:BYTE_0 src1_sel:DWORD
	v_bfrev_b32_e32 v3, 1
	s_and_saveexec_b64 s[48:49], vcc
	s_cbranch_execz .LBB6_2566
; %bb.2563:                             ;   in Loop: Header=BB6_354 Depth=4
	v_bfe_u32 v5, v8, 16, 7
	v_cmp_ne_u32_e32 vcc, s83, v5
	v_mov_b32_e32 v3, 0x7f800001
	s_and_saveexec_b64 s[50:51], vcc
	s_cbranch_execz .LBB6_2565
; %bb.2564:                             ;   in Loop: Header=BB6_354 Depth=4
	v_and_b32_e32 v3, 7, v0
	v_lshrrev_b32_e32 v23, 3, v5
	v_cmp_gt_u32_e32 vcc, 8, v5
	v_ffbh_u32_e32 v5, v3
	v_min_u32_e32 v5, 32, v5
	v_subrev_u32_e32 v16, 28, v5
	v_lshlrev_b64 v[16:17], v16, v[0:1]
	v_sub_u32_e32 v5, 29, v5
	v_and_b32_e32 v16, 7, v16
	v_cndmask_b32_e32 v5, v23, v5, vcc
	v_cndmask_b32_e32 v3, v3, v16, vcc
	v_lshlrev_b32_e32 v16, 24, v0
	v_bfrev_b32_e32 v17, 60
	v_lshlrev_b32_e32 v3, 20, v3
	v_and_b32_e32 v16, 0x80000000, v16
	v_lshl_add_u32 v5, v5, 23, v17
	v_or3_b32 v3, v16, v5, v3
.LBB6_2565:                             ;   in Loop: Header=BB6_354 Depth=4
	s_or_b64 exec, exec, s[50:51]
.LBB6_2566:                             ;   in Loop: Header=BB6_354 Depth=4
	s_or_b64 exec, exec, s[48:49]
.LBB6_2567:                             ;   in Loop: Header=BB6_354 Depth=4
	s_or_b64 exec, exec, s[38:39]
	v_max_f32_e32 v3, v3, v3
	v_max_f32_e32 v1, v1, v1
	;; [unrolled: 1-line block ×3, first 2 shown]
	s_mov_b64 s[38:39], 0
.LBB6_2568:                             ;   in Loop: Header=BB6_354 Depth=4
	s_and_b64 vcc, exec, s[38:39]
	s_cbranch_vccz .LBB6_2582
; %bb.2569:                             ;   in Loop: Header=BB6_354 Depth=4
	v_mov_b32_e32 v3, 0
	v_mov_b32_e32 v1, 0
	s_and_saveexec_b64 s[38:39], s[40:41]
	s_cbranch_execz .LBB6_2575
; %bb.2570:                             ;   in Loop: Header=BB6_354 Depth=4
	v_cmp_ne_u16_sdwa vcc, v2, s82 src0_sel:BYTE_0 src1_sel:DWORD
	v_bfrev_b32_e32 v1, 1
	s_and_saveexec_b64 s[40:41], vcc
	s_cbranch_execz .LBB6_2574
; %bb.2571:                             ;   in Loop: Header=BB6_354 Depth=4
	v_bfe_u32 v5, v12, 16, 7
	v_cmp_ne_u32_e32 vcc, s83, v5
	v_mov_b32_e32 v1, 0x7f800001
	s_and_saveexec_b64 s[48:49], vcc
	s_cbranch_execz .LBB6_2573
; %bb.2572:                             ;   in Loop: Header=BB6_354 Depth=4
	v_and_b32_e32 v1, 7, v2
	v_lshrrev_b32_e32 v23, 3, v5
	v_cmp_gt_u32_e32 vcc, 8, v5
	v_ffbh_u32_e32 v5, v1
	v_min_u32_e32 v5, 32, v5
	v_subrev_u32_e32 v16, 28, v5
	v_lshlrev_b64 v[16:17], v16, v[2:3]
	v_sub_u32_e32 v5, 29, v5
	v_and_b32_e32 v16, 7, v16
	v_cndmask_b32_e32 v5, v23, v5, vcc
	v_cndmask_b32_e32 v1, v1, v16, vcc
	v_lshlrev_b32_e32 v2, 24, v2
	v_bfrev_b32_e32 v16, 60
	v_lshlrev_b32_e32 v1, 20, v1
	v_and_b32_e32 v2, 0x80000000, v2
	v_lshl_add_u32 v5, v5, 23, v16
	v_or3_b32 v1, v2, v5, v1
.LBB6_2573:                             ;   in Loop: Header=BB6_354 Depth=4
	s_or_b64 exec, exec, s[48:49]
.LBB6_2574:                             ;   in Loop: Header=BB6_354 Depth=4
	s_or_b64 exec, exec, s[40:41]
.LBB6_2575:                             ;   in Loop: Header=BB6_354 Depth=4
	s_or_b64 exec, exec, s[38:39]
	v_cmp_ne_u16_sdwa vcc, v0, v53 src0_sel:BYTE_0 src1_sel:DWORD
	s_and_saveexec_b64 s[40:41], vcc
	s_cbranch_execz .LBB6_2581
; %bb.2576:                             ;   in Loop: Header=BB6_354 Depth=4
	v_cmp_ne_u16_sdwa vcc, v0, s82 src0_sel:BYTE_0 src1_sel:DWORD
	v_bfrev_b32_e32 v3, 1
	s_and_saveexec_b64 s[38:39], vcc
	s_cbranch_execz .LBB6_2580
; %bb.2577:                             ;   in Loop: Header=BB6_354 Depth=4
	v_bfe_u32 v2, v8, 16, 7
	v_cmp_ne_u32_e32 vcc, s83, v2
	v_mov_b32_e32 v3, 0x7f800001
	s_and_saveexec_b64 s[48:49], vcc
	s_cbranch_execz .LBB6_2579
; %bb.2578:                             ;   in Loop: Header=BB6_354 Depth=4
	v_and_b32_e32 v5, 7, v0
	v_lshrrev_b32_e32 v16, 3, v2
	v_cmp_gt_u32_e32 vcc, 8, v2
	v_ffbh_u32_e32 v2, v5
	v_min_u32_e32 v17, 32, v2
	v_subrev_u32_e32 v2, 28, v17
	v_lshlrev_b64 v[2:3], v2, v[0:1]
	v_sub_u32_e32 v3, 29, v17
	v_and_b32_e32 v2, 7, v2
	v_cndmask_b32_e32 v3, v16, v3, vcc
	v_cndmask_b32_e32 v2, v5, v2, vcc
	v_lshlrev_b32_e32 v0, 24, v0
	v_bfrev_b32_e32 v5, 60
	v_lshlrev_b32_e32 v2, 20, v2
	v_and_b32_e32 v0, 0x80000000, v0
	v_lshl_add_u32 v3, v3, 23, v5
	v_or3_b32 v3, v0, v3, v2
.LBB6_2579:                             ;   in Loop: Header=BB6_354 Depth=4
	s_or_b64 exec, exec, s[48:49]
.LBB6_2580:                             ;   in Loop: Header=BB6_354 Depth=4
	s_or_b64 exec, exec, s[38:39]
.LBB6_2581:                             ;   in Loop: Header=BB6_354 Depth=4
	s_or_b64 exec, exec, s[40:41]
	v_max_f32_e32 v0, v3, v3
	v_max_f32_e32 v1, v1, v1
	v_min_f32_e32 v1, v1, v0
.LBB6_2582:                             ;   in Loop: Header=BB6_354 Depth=4
	v_and_b32_e32 v52, 0x7f800000, v1
	v_cmp_ne_u64_e32 vcc, s[76:77], v[52:53]
                                        ; implicit-def: $vgpr23
	s_and_saveexec_b64 s[40:41], vcc
	s_xor_b64 s[38:39], exec, s[40:41]
	s_cbranch_execz .LBB6_2596
; %bb.2583:                             ;   in Loop: Header=BB6_354 Depth=4
	v_and_b32_e32 v52, 0x7fffffff, v1
	v_cmp_gt_u64_e32 vcc, s[78:79], v[52:53]
	v_and_b32_sdwa v3, v1, s82 dst_sel:DWORD dst_unused:UNUSED_PAD src0_sel:BYTE_3 src1_sel:DWORD
                                        ; implicit-def: $vgpr23
	s_and_saveexec_b64 s[40:41], vcc
	s_xor_b64 s[48:49], exec, s[40:41]
	s_cbranch_execz .LBB6_2593
; %bb.2584:                             ;   in Loop: Header=BB6_354 Depth=4
	v_mov_b32_e32 v23, 0
	v_cmp_ne_u32_e32 vcc, 0, v1
	s_and_saveexec_b64 s[50:51], vcc
	s_cbranch_execz .LBB6_2592
; %bb.2585:                             ;   in Loop: Header=BB6_354 Depth=4
	v_bfe_u32 v5, v1, 23, 8
	v_and_b32_e32 v0, 0x7fffff, v1
	v_cmp_gt_u32_e64 s[40:41], s85, v5
	v_sub_u32_e32 v1, 0x79, v5
	v_cmp_eq_u32_e32 vcc, 0, v5
	v_cndmask_b32_e64 v1, 0, v1, s[40:41]
	v_mov_b32_e32 v16, 0x78
	v_or_b32_e32 v2, 0x800000, v0
	v_cndmask_b32_e32 v16, v1, v16, vcc
	v_cndmask_b32_e32 v52, v2, v0, vcc
	v_add_u32_e32 v0, 20, v16
	v_lshlrev_b64 v[0:1], v0, -1
	v_add_u32_e32 v2, 19, v16
	v_lshlrev_b64 v[50:51], v2, 1
	v_bfi_b32 v1, v1, 0, 0
	v_bfi_b32 v0, v0, 0, v52
	v_cmp_eq_u64_e64 s[40:41], v[0:1], v[50:51]
	v_lshrrev_b64 v[0:1], v16, v[52:53]
	v_mov_b32_e32 v2, v1
	v_mov_b32_e32 v1, v0
	s_and_saveexec_b64 s[52:53], s[40:41]
; %bb.2586:                             ;   in Loop: Header=BB6_354 Depth=4
	v_bfe_u32 v1, v0, 20, 1
	v_add_co_u32_e64 v1, s[40:41], v0, v1
	v_add_co_u32_e64 v1, s[40:41], -1, v1
; %bb.2587:                             ;   in Loop: Header=BB6_354 Depth=4
	s_or_b64 exec, exec, s[52:53]
	v_add_u32_e32 v2, 0xffffff81, v5
	v_mov_b32_e32 v5, 0xffffff82
	v_cndmask_b32_e32 v2, v2, v5, vcc
	v_lshrrev_b32_e32 v5, 23, v0
	v_add3_u32 v16, v16, v2, v5
	v_add_u32_e32 v5, 6, v16
	v_and_b32_e32 v1, 0xfffff, v1
	v_add_u32_e32 v52, v1, v0
	v_cmp_ne_u32_e32 vcc, 0, v5
                                        ; implicit-def: $vgpr0_vgpr1
                                        ; implicit-def: $vgpr2
	s_and_saveexec_b64 s[40:41], vcc
	s_xor_b64 s[40:41], exec, s[40:41]
; %bb.2588:                             ;   in Loop: Header=BB6_354 Depth=4
	v_cmp_lt_u64_e32 vcc, s[88:89], v[52:53]
	v_add_u32_e32 v0, 7, v16
	v_cndmask_b32_e32 v2, v5, v0, vcc
	v_cndmask_b32_e64 v0, 0, 1, vcc
	v_lshrrev_b64 v[0:1], v0, v[52:53]
; %bb.2589:                             ;   in Loop: Header=BB6_354 Depth=4
	s_andn2_saveexec_b64 s[40:41], s[40:41]
; %bb.2590:                             ;   in Loop: Header=BB6_354 Depth=4
	v_mov_b32_e32 v0, v52
	v_bfe_u32 v2, v52, 23, 1
	v_mov_b32_e32 v1, v53
; %bb.2591:                             ;   in Loop: Header=BB6_354 Depth=4
	s_or_b64 exec, exec, s[40:41]
	v_lshrrev_b64 v[0:1], 20, v[0:1]
	v_cmp_gt_i32_e32 vcc, 16, v2
	v_cndmask_b32_e32 v1, 0, v1, vcc
	v_cndmask_b32_e32 v0, 7, v0, vcc
	v_cmp_eq_u64_e64 s[40:41], 0, v[0:1]
	v_min_i32_e32 v1, 15, v2
	v_lshlrev_b32_e32 v1, 3, v1
	v_cmp_eq_u32_e32 vcc, 0, v2
	v_and_b32_e32 v1, 0xf8, v1
	v_and_or_b32 v0, v0, 7, v1
	s_and_b64 s[40:41], vcc, s[40:41]
	v_cndmask_b32_e64 v0, v0, 0, s[40:41]
	v_or_b32_e32 v23, v0, v3
.LBB6_2592:                             ;   in Loop: Header=BB6_354 Depth=4
	s_or_b64 exec, exec, s[50:51]
                                        ; implicit-def: $vgpr3
.LBB6_2593:                             ;   in Loop: Header=BB6_354 Depth=4
	s_andn2_saveexec_b64 s[40:41], s[48:49]
; %bb.2594:                             ;   in Loop: Header=BB6_354 Depth=4
	v_or_b32_e32 v23, 0x7e, v3
; %bb.2595:                             ;   in Loop: Header=BB6_354 Depth=4
	s_or_b64 exec, exec, s[40:41]
                                        ; implicit-def: $vgpr1
.LBB6_2596:                             ;   in Loop: Header=BB6_354 Depth=4
	s_andn2_saveexec_b64 s[40:41], s[38:39]
; %bb.2597:                             ;   in Loop: Header=BB6_354 Depth=4
	v_or_b32_sdwa v23, v1, s83 dst_sel:DWORD dst_unused:UNUSED_PAD src0_sel:BYTE_3 src1_sel:DWORD
; %bb.2598:                             ;   in Loop: Header=BB6_354 Depth=4
	s_or_b64 exec, exec, s[40:41]
	v_lshrrev_b32_e32 v2, 24, v12
	v_lshrrev_b32_e32 v0, 24, v8
	v_cmp_lt_u32_e64 s[40:41], s63, v12
	s_and_b64 vcc, exec, s[28:29]
	s_mov_b64 s[38:39], -1
                                        ; implicit-def: $vgpr1
	s_cbranch_vccnz .LBB6_2612
; %bb.2599:                             ;   in Loop: Header=BB6_354 Depth=4
	v_mov_b32_e32 v3, 0
	v_mov_b32_e32 v1, 0
	s_and_saveexec_b64 s[38:39], s[40:41]
	s_cbranch_execz .LBB6_2605
; %bb.2600:                             ;   in Loop: Header=BB6_354 Depth=4
	v_cmp_ne_u32_e32 vcc, s82, v2
	v_bfrev_b32_e32 v1, 1
	s_and_saveexec_b64 s[48:49], vcc
	s_cbranch_execz .LBB6_2604
; %bb.2601:                             ;   in Loop: Header=BB6_354 Depth=4
	v_bfe_u32 v5, v12, 24, 7
	v_cmp_ne_u32_e32 vcc, s83, v5
	v_mov_b32_e32 v1, 0x7f800001
	s_and_saveexec_b64 s[50:51], vcc
	s_cbranch_execz .LBB6_2603
; %bb.2602:                             ;   in Loop: Header=BB6_354 Depth=4
	v_and_b32_e32 v1, 7, v2
	v_lshrrev_b32_e32 v28, 3, v5
	v_cmp_gt_u32_e32 vcc, 8, v5
	v_ffbh_u32_e32 v5, v1
	v_min_u32_e32 v5, 32, v5
	v_subrev_u32_e32 v16, 28, v5
	v_lshlrev_b64 v[16:17], v16, v[2:3]
	v_sub_u32_e32 v5, 29, v5
	v_and_b32_e32 v16, 7, v16
	v_cndmask_b32_e32 v5, v28, v5, vcc
	v_cndmask_b32_e32 v1, v1, v16, vcc
	v_lshlrev_b32_e32 v16, 24, v2
	v_bfrev_b32_e32 v17, 60
	v_lshlrev_b32_e32 v1, 20, v1
	v_and_b32_e32 v16, 0x80000000, v16
	v_lshl_add_u32 v5, v5, 23, v17
	v_or3_b32 v1, v16, v5, v1
.LBB6_2603:                             ;   in Loop: Header=BB6_354 Depth=4
	s_or_b64 exec, exec, s[50:51]
.LBB6_2604:                             ;   in Loop: Header=BB6_354 Depth=4
	s_or_b64 exec, exec, s[48:49]
.LBB6_2605:                             ;   in Loop: Header=BB6_354 Depth=4
	s_or_b64 exec, exec, s[38:39]
	v_cmp_lt_u32_e32 vcc, s63, v8
	s_and_saveexec_b64 s[38:39], vcc
	s_cbranch_execz .LBB6_2611
; %bb.2606:                             ;   in Loop: Header=BB6_354 Depth=4
	v_cmp_ne_u32_e32 vcc, s82, v0
	v_bfrev_b32_e32 v3, 1
	s_and_saveexec_b64 s[48:49], vcc
	s_cbranch_execz .LBB6_2610
; %bb.2607:                             ;   in Loop: Header=BB6_354 Depth=4
	v_bfe_u32 v5, v8, 24, 7
	v_cmp_ne_u32_e32 vcc, s83, v5
	v_mov_b32_e32 v3, 0x7f800001
	s_and_saveexec_b64 s[50:51], vcc
	s_cbranch_execz .LBB6_2609
; %bb.2608:                             ;   in Loop: Header=BB6_354 Depth=4
	v_and_b32_e32 v3, 7, v0
	v_lshrrev_b32_e32 v28, 3, v5
	v_cmp_gt_u32_e32 vcc, 8, v5
	v_ffbh_u32_e32 v5, v3
	v_min_u32_e32 v5, 32, v5
	v_subrev_u32_e32 v16, 28, v5
	v_lshlrev_b64 v[16:17], v16, v[0:1]
	v_sub_u32_e32 v5, 29, v5
	v_and_b32_e32 v16, 7, v16
	v_cndmask_b32_e32 v5, v28, v5, vcc
	v_cndmask_b32_e32 v3, v3, v16, vcc
	v_lshlrev_b32_e32 v16, 24, v0
	v_bfrev_b32_e32 v17, 60
	v_lshlrev_b32_e32 v3, 20, v3
	v_and_b32_e32 v16, 0x80000000, v16
	v_lshl_add_u32 v5, v5, 23, v17
	v_or3_b32 v3, v16, v5, v3
.LBB6_2609:                             ;   in Loop: Header=BB6_354 Depth=4
	s_or_b64 exec, exec, s[50:51]
.LBB6_2610:                             ;   in Loop: Header=BB6_354 Depth=4
	s_or_b64 exec, exec, s[48:49]
.LBB6_2611:                             ;   in Loop: Header=BB6_354 Depth=4
	s_or_b64 exec, exec, s[38:39]
	v_max_f32_e32 v3, v3, v3
	v_max_f32_e32 v1, v1, v1
	;; [unrolled: 1-line block ×3, first 2 shown]
	s_mov_b64 s[38:39], 0
.LBB6_2612:                             ;   in Loop: Header=BB6_354 Depth=4
	s_and_b64 vcc, exec, s[38:39]
	s_cbranch_vccz .LBB6_2626
; %bb.2613:                             ;   in Loop: Header=BB6_354 Depth=4
	v_mov_b32_e32 v3, 0
	v_mov_b32_e32 v1, 0
	s_and_saveexec_b64 s[38:39], s[40:41]
	s_cbranch_execz .LBB6_2619
; %bb.2614:                             ;   in Loop: Header=BB6_354 Depth=4
	v_cmp_ne_u32_e32 vcc, s82, v2
	v_bfrev_b32_e32 v1, 1
	s_and_saveexec_b64 s[40:41], vcc
	s_cbranch_execz .LBB6_2618
; %bb.2615:                             ;   in Loop: Header=BB6_354 Depth=4
	v_bfe_u32 v5, v12, 24, 7
	v_cmp_ne_u32_e32 vcc, s83, v5
	v_mov_b32_e32 v1, 0x7f800001
	s_and_saveexec_b64 s[48:49], vcc
	s_cbranch_execz .LBB6_2617
; %bb.2616:                             ;   in Loop: Header=BB6_354 Depth=4
	v_and_b32_e32 v1, 7, v2
	v_lshrrev_b32_e32 v28, 3, v5
	v_cmp_gt_u32_e32 vcc, 8, v5
	v_ffbh_u32_e32 v5, v1
	v_min_u32_e32 v5, 32, v5
	v_subrev_u32_e32 v16, 28, v5
	v_lshlrev_b64 v[16:17], v16, v[2:3]
	v_sub_u32_e32 v5, 29, v5
	v_and_b32_e32 v16, 7, v16
	v_cndmask_b32_e32 v5, v28, v5, vcc
	v_cndmask_b32_e32 v1, v1, v16, vcc
	v_lshlrev_b32_e32 v2, 24, v2
	v_bfrev_b32_e32 v16, 60
	v_lshlrev_b32_e32 v1, 20, v1
	v_and_b32_e32 v2, 0x80000000, v2
	v_lshl_add_u32 v5, v5, 23, v16
	v_or3_b32 v1, v2, v5, v1
.LBB6_2617:                             ;   in Loop: Header=BB6_354 Depth=4
	s_or_b64 exec, exec, s[48:49]
.LBB6_2618:                             ;   in Loop: Header=BB6_354 Depth=4
	s_or_b64 exec, exec, s[40:41]
.LBB6_2619:                             ;   in Loop: Header=BB6_354 Depth=4
	s_or_b64 exec, exec, s[38:39]
	v_cmp_lt_u32_e32 vcc, s63, v8
	s_and_saveexec_b64 s[40:41], vcc
	s_cbranch_execz .LBB6_2625
; %bb.2620:                             ;   in Loop: Header=BB6_354 Depth=4
	v_cmp_ne_u32_e32 vcc, s82, v0
	v_bfrev_b32_e32 v3, 1
	s_and_saveexec_b64 s[38:39], vcc
	s_cbranch_execz .LBB6_2624
; %bb.2621:                             ;   in Loop: Header=BB6_354 Depth=4
	v_bfe_u32 v2, v8, 24, 7
	v_cmp_ne_u32_e32 vcc, s83, v2
	v_mov_b32_e32 v3, 0x7f800001
	s_and_saveexec_b64 s[48:49], vcc
	s_cbranch_execz .LBB6_2623
; %bb.2622:                             ;   in Loop: Header=BB6_354 Depth=4
	v_and_b32_e32 v5, 7, v0
	v_lshrrev_b32_e32 v16, 3, v2
	v_cmp_gt_u32_e32 vcc, 8, v2
	v_ffbh_u32_e32 v2, v5
	v_min_u32_e32 v17, 32, v2
	v_subrev_u32_e32 v2, 28, v17
	v_lshlrev_b64 v[2:3], v2, v[0:1]
	v_sub_u32_e32 v3, 29, v17
	v_and_b32_e32 v2, 7, v2
	v_cndmask_b32_e32 v3, v16, v3, vcc
	v_cndmask_b32_e32 v2, v5, v2, vcc
	v_lshlrev_b32_e32 v0, 24, v0
	v_bfrev_b32_e32 v5, 60
	v_lshlrev_b32_e32 v2, 20, v2
	v_and_b32_e32 v0, 0x80000000, v0
	v_lshl_add_u32 v3, v3, 23, v5
	v_or3_b32 v3, v0, v3, v2
.LBB6_2623:                             ;   in Loop: Header=BB6_354 Depth=4
	s_or_b64 exec, exec, s[48:49]
.LBB6_2624:                             ;   in Loop: Header=BB6_354 Depth=4
	s_or_b64 exec, exec, s[38:39]
.LBB6_2625:                             ;   in Loop: Header=BB6_354 Depth=4
	s_or_b64 exec, exec, s[40:41]
	v_max_f32_e32 v0, v3, v3
	v_max_f32_e32 v1, v1, v1
	v_min_f32_e32 v1, v1, v0
.LBB6_2626:                             ;   in Loop: Header=BB6_354 Depth=4
	v_and_b32_e32 v52, 0x7f800000, v1
	v_cmp_ne_u64_e32 vcc, s[76:77], v[52:53]
                                        ; implicit-def: $vgpr56
	s_and_saveexec_b64 s[40:41], vcc
	s_xor_b64 s[38:39], exec, s[40:41]
	s_cbranch_execz .LBB6_2640
; %bb.2627:                             ;   in Loop: Header=BB6_354 Depth=4
	v_and_b32_e32 v52, 0x7fffffff, v1
	v_cmp_gt_u64_e32 vcc, s[78:79], v[52:53]
	v_and_b32_sdwa v3, v1, s82 dst_sel:DWORD dst_unused:UNUSED_PAD src0_sel:BYTE_3 src1_sel:DWORD
                                        ; implicit-def: $vgpr56
	s_and_saveexec_b64 s[40:41], vcc
	s_xor_b64 s[48:49], exec, s[40:41]
	s_cbranch_execz .LBB6_2637
; %bb.2628:                             ;   in Loop: Header=BB6_354 Depth=4
	v_mov_b32_e32 v56, 0
	v_cmp_ne_u32_e32 vcc, 0, v1
	s_and_saveexec_b64 s[50:51], vcc
	s_cbranch_execz .LBB6_2636
; %bb.2629:                             ;   in Loop: Header=BB6_354 Depth=4
	v_bfe_u32 v5, v1, 23, 8
	v_and_b32_e32 v0, 0x7fffff, v1
	v_cmp_gt_u32_e64 s[40:41], s85, v5
	v_sub_u32_e32 v1, 0x79, v5
	v_cmp_eq_u32_e32 vcc, 0, v5
	v_cndmask_b32_e64 v1, 0, v1, s[40:41]
	v_mov_b32_e32 v16, 0x78
	v_or_b32_e32 v2, 0x800000, v0
	v_cndmask_b32_e32 v16, v1, v16, vcc
	v_cndmask_b32_e32 v52, v2, v0, vcc
	v_add_u32_e32 v0, 20, v16
	v_lshlrev_b64 v[0:1], v0, -1
	v_add_u32_e32 v2, 19, v16
	v_lshlrev_b64 v[50:51], v2, 1
	v_bfi_b32 v1, v1, 0, 0
	v_bfi_b32 v0, v0, 0, v52
	v_cmp_eq_u64_e64 s[40:41], v[0:1], v[50:51]
	v_lshrrev_b64 v[0:1], v16, v[52:53]
	v_mov_b32_e32 v2, v1
	v_mov_b32_e32 v1, v0
	s_and_saveexec_b64 s[52:53], s[40:41]
; %bb.2630:                             ;   in Loop: Header=BB6_354 Depth=4
	v_bfe_u32 v1, v0, 20, 1
	v_add_co_u32_e64 v1, s[40:41], v0, v1
	v_add_co_u32_e64 v1, s[40:41], -1, v1
; %bb.2631:                             ;   in Loop: Header=BB6_354 Depth=4
	s_or_b64 exec, exec, s[52:53]
	v_add_u32_e32 v2, 0xffffff81, v5
	v_mov_b32_e32 v5, 0xffffff82
	v_cndmask_b32_e32 v2, v2, v5, vcc
	v_lshrrev_b32_e32 v5, 23, v0
	v_add3_u32 v16, v16, v2, v5
	v_add_u32_e32 v5, 6, v16
	v_and_b32_e32 v1, 0xfffff, v1
	v_add_u32_e32 v52, v1, v0
	v_cmp_ne_u32_e32 vcc, 0, v5
                                        ; implicit-def: $vgpr0_vgpr1
                                        ; implicit-def: $vgpr2
	s_and_saveexec_b64 s[40:41], vcc
	s_xor_b64 s[40:41], exec, s[40:41]
; %bb.2632:                             ;   in Loop: Header=BB6_354 Depth=4
	v_cmp_lt_u64_e32 vcc, s[88:89], v[52:53]
	v_add_u32_e32 v0, 7, v16
	v_cndmask_b32_e32 v2, v5, v0, vcc
	v_cndmask_b32_e64 v0, 0, 1, vcc
	v_lshrrev_b64 v[0:1], v0, v[52:53]
; %bb.2633:                             ;   in Loop: Header=BB6_354 Depth=4
	s_andn2_saveexec_b64 s[40:41], s[40:41]
; %bb.2634:                             ;   in Loop: Header=BB6_354 Depth=4
	v_mov_b32_e32 v0, v52
	v_bfe_u32 v2, v52, 23, 1
	v_mov_b32_e32 v1, v53
; %bb.2635:                             ;   in Loop: Header=BB6_354 Depth=4
	s_or_b64 exec, exec, s[40:41]
	v_lshrrev_b64 v[0:1], 20, v[0:1]
	v_cmp_gt_i32_e32 vcc, 16, v2
	v_cndmask_b32_e32 v1, 0, v1, vcc
	v_cndmask_b32_e32 v0, 7, v0, vcc
	v_cmp_eq_u64_e64 s[40:41], 0, v[0:1]
	v_min_i32_e32 v1, 15, v2
	v_lshlrev_b32_e32 v1, 3, v1
	v_cmp_eq_u32_e32 vcc, 0, v2
	v_and_b32_e32 v1, 0xf8, v1
	v_and_or_b32 v0, v0, 7, v1
	s_and_b64 s[40:41], vcc, s[40:41]
	v_cndmask_b32_e64 v0, v0, 0, s[40:41]
	v_or_b32_e32 v56, v0, v3
.LBB6_2636:                             ;   in Loop: Header=BB6_354 Depth=4
	s_or_b64 exec, exec, s[50:51]
                                        ; implicit-def: $vgpr3
.LBB6_2637:                             ;   in Loop: Header=BB6_354 Depth=4
	s_andn2_saveexec_b64 s[40:41], s[48:49]
; %bb.2638:                             ;   in Loop: Header=BB6_354 Depth=4
	v_or_b32_e32 v56, 0x7e, v3
; %bb.2639:                             ;   in Loop: Header=BB6_354 Depth=4
	s_or_b64 exec, exec, s[40:41]
                                        ; implicit-def: $vgpr1
.LBB6_2640:                             ;   in Loop: Header=BB6_354 Depth=4
	s_andn2_saveexec_b64 s[40:41], s[38:39]
; %bb.2641:                             ;   in Loop: Header=BB6_354 Depth=4
	v_or_b32_sdwa v56, v1, s83 dst_sel:DWORD dst_unused:UNUSED_PAD src0_sel:BYTE_3 src1_sel:DWORD
; %bb.2642:                             ;   in Loop: Header=BB6_354 Depth=4
	s_or_b64 exec, exec, s[40:41]
	v_mov_b32_e32 v52, v13
	v_mov_b32_e32 v2, v9
	v_mov_b32_e32 v3, v53
	v_cmp_ne_u16_sdwa s[40:41], v13, v53 src0_sel:BYTE_0 src1_sel:DWORD
	s_and_b64 vcc, exec, s[28:29]
	s_mov_b64 s[38:39], -1
                                        ; implicit-def: $vgpr0
	s_cbranch_vccnz .LBB6_2656
; %bb.2643:                             ;   in Loop: Header=BB6_354 Depth=4
	v_mov_b32_e32 v1, 0
	v_mov_b32_e32 v0, 0
	s_and_saveexec_b64 s[38:39], s[40:41]
	s_cbranch_execz .LBB6_2649
; %bb.2644:                             ;   in Loop: Header=BB6_354 Depth=4
	v_cmp_ne_u16_sdwa vcc, v13, s82 src0_sel:BYTE_0 src1_sel:DWORD
	v_bfrev_b32_e32 v0, 1
	s_and_saveexec_b64 s[48:49], vcc
	s_cbranch_execz .LBB6_2648
; %bb.2645:                             ;   in Loop: Header=BB6_354 Depth=4
	v_and_b32_e32 v5, 0x7f, v13
	v_cmp_ne_u32_e32 vcc, s83, v5
	v_mov_b32_e32 v0, 0x7f800001
	s_and_saveexec_b64 s[50:51], vcc
	s_cbranch_execz .LBB6_2647
; %bb.2646:                             ;   in Loop: Header=BB6_354 Depth=4
	v_and_b32_e32 v0, 7, v13
	v_ffbh_u32_e32 v0, v0
	v_min_u32_e32 v0, 32, v0
	v_lshrrev_b32_e32 v16, 3, v5
	v_cmp_gt_u32_e32 vcc, 8, v5
	v_subrev_u32_e32 v5, 28, v0
	v_sub_u32_e32 v0, 29, v0
	v_cndmask_b32_e32 v5, 0, v5, vcc
	v_cndmask_b32_e32 v0, v16, v0, vcc
	v_lshlrev_b64 v[16:17], v5, v[52:53]
	v_bfrev_b32_e32 v17, 60
	v_lshlrev_b32_e32 v5, 20, v16
	v_lshlrev_b32_e32 v16, 24, v52
	v_and_b32_e32 v5, 0x700000, v5
	v_and_b32_e32 v16, 0x80000000, v16
	v_lshl_add_u32 v0, v0, 23, v17
	v_or3_b32 v0, v16, v0, v5
.LBB6_2647:                             ;   in Loop: Header=BB6_354 Depth=4
	s_or_b64 exec, exec, s[50:51]
.LBB6_2648:                             ;   in Loop: Header=BB6_354 Depth=4
	s_or_b64 exec, exec, s[48:49]
.LBB6_2649:                             ;   in Loop: Header=BB6_354 Depth=4
	s_or_b64 exec, exec, s[38:39]
	v_cmp_ne_u16_sdwa vcc, v9, v53 src0_sel:BYTE_0 src1_sel:DWORD
	s_and_saveexec_b64 s[38:39], vcc
	s_cbranch_execz .LBB6_2655
; %bb.2650:                             ;   in Loop: Header=BB6_354 Depth=4
	v_cmp_ne_u16_sdwa vcc, v9, s82 src0_sel:BYTE_0 src1_sel:DWORD
	v_bfrev_b32_e32 v1, 1
	s_and_saveexec_b64 s[48:49], vcc
	s_cbranch_execz .LBB6_2654
; %bb.2651:                             ;   in Loop: Header=BB6_354 Depth=4
	v_and_b32_e32 v5, 0x7f, v9
	v_cmp_ne_u32_e32 vcc, s83, v5
	v_mov_b32_e32 v1, 0x7f800001
	s_and_saveexec_b64 s[50:51], vcc
	s_cbranch_execz .LBB6_2653
; %bb.2652:                             ;   in Loop: Header=BB6_354 Depth=4
	v_and_b32_e32 v1, 7, v9
	v_ffbh_u32_e32 v1, v1
	v_min_u32_e32 v1, 32, v1
	v_lshrrev_b32_e32 v16, 3, v5
	v_cmp_gt_u32_e32 vcc, 8, v5
	v_subrev_u32_e32 v5, 28, v1
	v_sub_u32_e32 v1, 29, v1
	v_cndmask_b32_e32 v5, 0, v5, vcc
	v_cndmask_b32_e32 v1, v16, v1, vcc
	v_lshlrev_b64 v[16:17], v5, v[2:3]
	v_bfrev_b32_e32 v17, 60
	v_lshlrev_b32_e32 v5, 20, v16
	v_lshlrev_b32_e32 v16, 24, v2
	v_and_b32_e32 v5, 0x700000, v5
	v_and_b32_e32 v16, 0x80000000, v16
	v_lshl_add_u32 v1, v1, 23, v17
	v_or3_b32 v1, v16, v1, v5
.LBB6_2653:                             ;   in Loop: Header=BB6_354 Depth=4
	s_or_b64 exec, exec, s[50:51]
.LBB6_2654:                             ;   in Loop: Header=BB6_354 Depth=4
	s_or_b64 exec, exec, s[48:49]
.LBB6_2655:                             ;   in Loop: Header=BB6_354 Depth=4
	s_or_b64 exec, exec, s[38:39]
	v_max_f32_e32 v1, v1, v1
	v_max_f32_e32 v0, v0, v0
	;; [unrolled: 1-line block ×3, first 2 shown]
	s_mov_b64 s[38:39], 0
.LBB6_2656:                             ;   in Loop: Header=BB6_354 Depth=4
	s_and_b64 vcc, exec, s[38:39]
	s_cbranch_vccz .LBB6_2670
; %bb.2657:                             ;   in Loop: Header=BB6_354 Depth=4
	v_mov_b32_e32 v1, 0
	v_mov_b32_e32 v0, 0
	s_and_saveexec_b64 s[38:39], s[40:41]
	s_cbranch_execz .LBB6_2663
; %bb.2658:                             ;   in Loop: Header=BB6_354 Depth=4
	v_cmp_ne_u16_sdwa vcc, v13, s82 src0_sel:BYTE_0 src1_sel:DWORD
	v_bfrev_b32_e32 v0, 1
	s_and_saveexec_b64 s[40:41], vcc
	s_cbranch_execz .LBB6_2662
; %bb.2659:                             ;   in Loop: Header=BB6_354 Depth=4
	v_and_b32_e32 v5, 0x7f, v13
	v_cmp_ne_u32_e32 vcc, s83, v5
	v_mov_b32_e32 v0, 0x7f800001
	s_and_saveexec_b64 s[48:49], vcc
	s_cbranch_execz .LBB6_2661
; %bb.2660:                             ;   in Loop: Header=BB6_354 Depth=4
	v_and_b32_e32 v0, 7, v13
	v_ffbh_u32_e32 v0, v0
	v_min_u32_e32 v0, 32, v0
	v_lshrrev_b32_e32 v16, 3, v5
	v_cmp_gt_u32_e32 vcc, 8, v5
	v_subrev_u32_e32 v5, 28, v0
	v_sub_u32_e32 v0, 29, v0
	v_cndmask_b32_e32 v5, 0, v5, vcc
	v_cndmask_b32_e32 v0, v16, v0, vcc
	v_lshlrev_b64 v[16:17], v5, v[52:53]
	v_bfrev_b32_e32 v17, 60
	v_lshlrev_b32_e32 v5, 20, v16
	v_lshlrev_b32_e32 v16, 24, v52
	v_and_b32_e32 v5, 0x700000, v5
	v_and_b32_e32 v16, 0x80000000, v16
	v_lshl_add_u32 v0, v0, 23, v17
	v_or3_b32 v0, v16, v0, v5
.LBB6_2661:                             ;   in Loop: Header=BB6_354 Depth=4
	s_or_b64 exec, exec, s[48:49]
.LBB6_2662:                             ;   in Loop: Header=BB6_354 Depth=4
	s_or_b64 exec, exec, s[40:41]
.LBB6_2663:                             ;   in Loop: Header=BB6_354 Depth=4
	s_or_b64 exec, exec, s[38:39]
	v_cmp_ne_u16_sdwa vcc, v9, v53 src0_sel:BYTE_0 src1_sel:DWORD
	s_and_saveexec_b64 s[40:41], vcc
	s_cbranch_execz .LBB6_2669
; %bb.2664:                             ;   in Loop: Header=BB6_354 Depth=4
	v_cmp_ne_u16_sdwa vcc, v9, s82 src0_sel:BYTE_0 src1_sel:DWORD
	v_bfrev_b32_e32 v1, 1
	s_and_saveexec_b64 s[38:39], vcc
	s_cbranch_execz .LBB6_2668
; %bb.2665:                             ;   in Loop: Header=BB6_354 Depth=4
	v_and_b32_e32 v5, 0x7f, v9
	v_cmp_ne_u32_e32 vcc, s83, v5
	v_mov_b32_e32 v1, 0x7f800001
	s_and_saveexec_b64 s[48:49], vcc
	s_cbranch_execz .LBB6_2667
; %bb.2666:                             ;   in Loop: Header=BB6_354 Depth=4
	v_and_b32_e32 v1, 7, v9
	v_ffbh_u32_e32 v1, v1
	v_min_u32_e32 v1, 32, v1
	v_lshrrev_b32_e32 v16, 3, v5
	v_cmp_gt_u32_e32 vcc, 8, v5
	v_subrev_u32_e32 v5, 28, v1
	v_sub_u32_e32 v1, 29, v1
	v_cndmask_b32_e32 v5, 0, v5, vcc
	v_cndmask_b32_e32 v1, v16, v1, vcc
	v_lshlrev_b64 v[16:17], v5, v[2:3]
	v_lshlrev_b32_e32 v5, 24, v2
	v_lshlrev_b32_e32 v3, 20, v16
	v_bfrev_b32_e32 v16, 60
	v_and_b32_e32 v3, 0x700000, v3
	v_and_b32_e32 v5, 0x80000000, v5
	v_lshl_add_u32 v1, v1, 23, v16
	v_or3_b32 v1, v5, v1, v3
.LBB6_2667:                             ;   in Loop: Header=BB6_354 Depth=4
	s_or_b64 exec, exec, s[48:49]
.LBB6_2668:                             ;   in Loop: Header=BB6_354 Depth=4
	s_or_b64 exec, exec, s[38:39]
.LBB6_2669:                             ;   in Loop: Header=BB6_354 Depth=4
	s_or_b64 exec, exec, s[40:41]
	v_max_f32_e32 v1, v1, v1
	v_max_f32_e32 v0, v0, v0
	v_min_f32_e32 v0, v0, v1
.LBB6_2670:                             ;   in Loop: Header=BB6_354 Depth=4
	v_and_b32_e32 v16, 0x7f800000, v0
	v_mov_b32_e32 v17, v53
	v_cmp_ne_u64_e32 vcc, s[76:77], v[16:17]
                                        ; implicit-def: $vgpr16
	s_and_saveexec_b64 s[40:41], vcc
	s_xor_b64 s[38:39], exec, s[40:41]
	s_cbranch_execz .LBB6_2684
; %bb.2671:                             ;   in Loop: Header=BB6_354 Depth=4
	v_and_b32_e32 v16, 0x7fffffff, v0
	v_mov_b32_e32 v17, v53
	v_cmp_gt_u64_e32 vcc, s[78:79], v[16:17]
	v_and_b32_sdwa v3, v0, s82 dst_sel:DWORD dst_unused:UNUSED_PAD src0_sel:BYTE_3 src1_sel:DWORD
                                        ; implicit-def: $vgpr16
	s_and_saveexec_b64 s[40:41], vcc
	s_xor_b64 s[48:49], exec, s[40:41]
	s_cbranch_execz .LBB6_2681
; %bb.2672:                             ;   in Loop: Header=BB6_354 Depth=4
	v_mov_b32_e32 v16, 0
	v_cmp_ne_u32_e32 vcc, 0, v0
	s_and_saveexec_b64 s[50:51], vcc
	s_cbranch_execz .LBB6_2680
; %bb.2673:                             ;   in Loop: Header=BB6_354 Depth=4
	v_bfe_u32 v5, v0, 23, 8
	v_and_b32_e32 v1, 0x7fffff, v0
	v_cmp_gt_u32_e64 s[40:41], s85, v5
	v_sub_u32_e32 v0, 0x79, v5
	v_cmp_eq_u32_e32 vcc, 0, v5
	v_cndmask_b32_e64 v0, 0, v0, s[40:41]
	v_mov_b32_e32 v17, 0x78
	v_or_b32_e32 v16, 0x800000, v1
	v_cndmask_b32_e32 v39, v0, v17, vcc
	v_cndmask_b32_e32 v0, v16, v1, vcc
	v_add_u32_e32 v16, 20, v39
	v_lshlrev_b64 v[16:17], v16, -1
	v_mov_b32_e32 v1, v53
	v_add_u32_e32 v28, 19, v39
	v_bfi_b32 v16, v16, 0, v0
	v_lshlrev_b64 v[50:51], v28, 1
	v_lshrrev_b64 v[0:1], v39, v[0:1]
	v_bfi_b32 v17, v17, 0, 0
	v_cmp_eq_u64_e64 s[40:41], v[16:17], v[50:51]
	v_mov_b32_e32 v17, v1
	v_mov_b32_e32 v16, v0
	s_and_saveexec_b64 s[52:53], s[40:41]
; %bb.2674:                             ;   in Loop: Header=BB6_354 Depth=4
	v_bfe_u32 v1, v0, 20, 1
	v_add_co_u32_e64 v1, s[40:41], v0, v1
	v_add_co_u32_e64 v16, s[40:41], -1, v1
; %bb.2675:                             ;   in Loop: Header=BB6_354 Depth=4
	s_or_b64 exec, exec, s[52:53]
	v_add_u32_e32 v1, 0xffffff81, v5
	v_mov_b32_e32 v5, 0xffffff82
	v_cndmask_b32_e32 v1, v1, v5, vcc
	v_lshrrev_b32_e32 v5, 23, v0
	v_add3_u32 v39, v39, v1, v5
	v_add_u32_e32 v17, 6, v39
	v_and_b32_e32 v1, 0xfffff, v16
	v_add_u32_e32 v0, v1, v0
	v_mov_b32_e32 v1, v53
	v_cmp_ne_u32_e32 vcc, 0, v17
                                        ; implicit-def: $vgpr5
	s_and_saveexec_b64 s[40:41], vcc
	s_xor_b64 s[40:41], exec, s[40:41]
; %bb.2676:                             ;   in Loop: Header=BB6_354 Depth=4
	v_cmp_lt_u64_e32 vcc, s[88:89], v[0:1]
	v_add_u32_e32 v5, 7, v39
	v_cndmask_b32_e64 v16, 0, 1, vcc
	v_lshrrev_b64 v[0:1], v16, v[0:1]
	v_cndmask_b32_e32 v5, v17, v5, vcc
; %bb.2677:                             ;   in Loop: Header=BB6_354 Depth=4
	s_andn2_saveexec_b64 s[40:41], s[40:41]
; %bb.2678:                             ;   in Loop: Header=BB6_354 Depth=4
	v_bfe_u32 v5, v0, 23, 1
; %bb.2679:                             ;   in Loop: Header=BB6_354 Depth=4
	s_or_b64 exec, exec, s[40:41]
	v_lshrrev_b64 v[0:1], 20, v[0:1]
	v_cmp_gt_i32_e32 vcc, 16, v5
	v_cndmask_b32_e32 v1, 0, v1, vcc
	v_cndmask_b32_e32 v0, 7, v0, vcc
	v_cmp_eq_u64_e64 s[40:41], 0, v[0:1]
	v_min_i32_e32 v1, 15, v5
	v_lshlrev_b32_e32 v1, 3, v1
	v_cmp_eq_u32_e32 vcc, 0, v5
	v_and_b32_e32 v1, 0xf8, v1
	v_and_or_b32 v0, v0, 7, v1
	s_and_b64 s[40:41], vcc, s[40:41]
	v_cndmask_b32_e64 v0, v0, 0, s[40:41]
	v_or_b32_e32 v16, v0, v3
.LBB6_2680:                             ;   in Loop: Header=BB6_354 Depth=4
	s_or_b64 exec, exec, s[50:51]
                                        ; implicit-def: $vgpr3
.LBB6_2681:                             ;   in Loop: Header=BB6_354 Depth=4
	s_andn2_saveexec_b64 s[40:41], s[48:49]
; %bb.2682:                             ;   in Loop: Header=BB6_354 Depth=4
	v_or_b32_e32 v16, 0x7e, v3
; %bb.2683:                             ;   in Loop: Header=BB6_354 Depth=4
	s_or_b64 exec, exec, s[40:41]
                                        ; implicit-def: $vgpr0
.LBB6_2684:                             ;   in Loop: Header=BB6_354 Depth=4
	s_andn2_saveexec_b64 s[40:41], s[38:39]
; %bb.2685:                             ;   in Loop: Header=BB6_354 Depth=4
	v_or_b32_sdwa v16, v0, s83 dst_sel:DWORD dst_unused:UNUSED_PAD src0_sel:BYTE_3 src1_sel:DWORD
; %bb.2686:                             ;   in Loop: Header=BB6_354 Depth=4
	s_or_b64 exec, exec, s[40:41]
	v_lshrrev_b16_e32 v5, 8, v52
	v_lshrrev_b16_e32 v3, 8, v2
	v_cmp_ne_u16_e64 s[40:41], 0, v5
	s_and_b64 vcc, exec, s[28:29]
	s_mov_b64 s[38:39], -1
                                        ; implicit-def: $vgpr0
	s_cbranch_vccnz .LBB6_2700
; %bb.2687:                             ;   in Loop: Header=BB6_354 Depth=4
	v_mov_b32_e32 v1, 0
	v_mov_b32_e32 v0, 0
	s_and_saveexec_b64 s[38:39], s[40:41]
	s_cbranch_execz .LBB6_2693
; %bb.2688:                             ;   in Loop: Header=BB6_354 Depth=4
	v_cmp_ne_u16_e32 vcc, s82, v5
	v_bfrev_b32_e32 v0, 1
	s_and_saveexec_b64 s[48:49], vcc
	s_cbranch_execz .LBB6_2692
; %bb.2689:                             ;   in Loop: Header=BB6_354 Depth=4
	v_and_b32_e32 v17, 0x7f, v5
	v_cmp_ne_u32_e32 vcc, s83, v17
	v_mov_b32_e32 v0, 0x7f800001
	s_and_saveexec_b64 s[50:51], vcc
	s_cbranch_execz .LBB6_2691
; %bb.2690:                             ;   in Loop: Header=BB6_354 Depth=4
	v_and_b32_e32 v0, 7, v5
	v_lshrrev_b32_e32 v28, 3, v17
	v_cmp_gt_u32_e32 vcc, 8, v17
	v_ffbh_u32_e32 v17, v0
	v_min_u32_e32 v17, 32, v17
	v_subrev_u32_e32 v29, 28, v17
	v_lshlrev_b64 v[50:51], v29, v[5:6]
	v_sub_u32_e32 v17, 29, v17
	v_and_b32_e32 v29, 7, v50
	v_cndmask_b32_e32 v17, v28, v17, vcc
	v_cndmask_b32_e32 v0, v0, v29, vcc
	v_lshlrev_b32_e32 v28, 16, v52
	v_bfrev_b32_e32 v29, 60
	v_lshlrev_b32_e32 v0, 20, v0
	v_and_b32_e32 v28, 0x80000000, v28
	v_lshl_add_u32 v17, v17, 23, v29
	v_or3_b32 v0, v28, v17, v0
.LBB6_2691:                             ;   in Loop: Header=BB6_354 Depth=4
	s_or_b64 exec, exec, s[50:51]
.LBB6_2692:                             ;   in Loop: Header=BB6_354 Depth=4
	s_or_b64 exec, exec, s[48:49]
.LBB6_2693:                             ;   in Loop: Header=BB6_354 Depth=4
	s_or_b64 exec, exec, s[38:39]
	v_cmp_ne_u16_e32 vcc, 0, v3
	s_and_saveexec_b64 s[38:39], vcc
	s_cbranch_execz .LBB6_2699
; %bb.2694:                             ;   in Loop: Header=BB6_354 Depth=4
	v_cmp_ne_u16_e32 vcc, s82, v3
	v_bfrev_b32_e32 v1, 1
	s_and_saveexec_b64 s[48:49], vcc
	s_cbranch_execz .LBB6_2698
; %bb.2695:                             ;   in Loop: Header=BB6_354 Depth=4
	v_and_b32_e32 v17, 0x7f, v3
	v_cmp_ne_u32_e32 vcc, s83, v17
	v_mov_b32_e32 v1, 0x7f800001
	s_and_saveexec_b64 s[50:51], vcc
	s_cbranch_execz .LBB6_2697
; %bb.2696:                             ;   in Loop: Header=BB6_354 Depth=4
	v_and_b32_e32 v1, 7, v3
	v_lshrrev_b32_e32 v28, 3, v17
	v_cmp_gt_u32_e32 vcc, 8, v17
	v_ffbh_u32_e32 v17, v1
	v_min_u32_e32 v17, 32, v17
	v_subrev_u32_e32 v29, 28, v17
	v_lshlrev_b64 v[50:51], v29, v[3:4]
	v_sub_u32_e32 v17, 29, v17
	v_and_b32_e32 v29, 7, v50
	v_cndmask_b32_e32 v17, v28, v17, vcc
	v_cndmask_b32_e32 v1, v1, v29, vcc
	v_lshlrev_b32_e32 v28, 16, v2
	v_bfrev_b32_e32 v29, 60
	v_lshlrev_b32_e32 v1, 20, v1
	v_and_b32_e32 v28, 0x80000000, v28
	v_lshl_add_u32 v17, v17, 23, v29
	v_or3_b32 v1, v28, v17, v1
.LBB6_2697:                             ;   in Loop: Header=BB6_354 Depth=4
	s_or_b64 exec, exec, s[50:51]
.LBB6_2698:                             ;   in Loop: Header=BB6_354 Depth=4
	s_or_b64 exec, exec, s[48:49]
.LBB6_2699:                             ;   in Loop: Header=BB6_354 Depth=4
	s_or_b64 exec, exec, s[38:39]
	v_max_f32_e32 v1, v1, v1
	v_max_f32_e32 v0, v0, v0
	;; [unrolled: 1-line block ×3, first 2 shown]
	s_mov_b64 s[38:39], 0
.LBB6_2700:                             ;   in Loop: Header=BB6_354 Depth=4
	s_and_b64 vcc, exec, s[38:39]
	s_cbranch_vccz .LBB6_2714
; %bb.2701:                             ;   in Loop: Header=BB6_354 Depth=4
	v_mov_b32_e32 v1, 0
	v_mov_b32_e32 v0, 0
	s_and_saveexec_b64 s[38:39], s[40:41]
	s_cbranch_execz .LBB6_2707
; %bb.2702:                             ;   in Loop: Header=BB6_354 Depth=4
	v_cmp_ne_u16_e32 vcc, s82, v5
	v_bfrev_b32_e32 v0, 1
	s_and_saveexec_b64 s[40:41], vcc
	s_cbranch_execz .LBB6_2706
; %bb.2703:                             ;   in Loop: Header=BB6_354 Depth=4
	v_and_b32_e32 v17, 0x7f, v5
	v_cmp_ne_u32_e32 vcc, s83, v17
	v_mov_b32_e32 v0, 0x7f800001
	s_and_saveexec_b64 s[48:49], vcc
	s_cbranch_execz .LBB6_2705
; %bb.2704:                             ;   in Loop: Header=BB6_354 Depth=4
	v_and_b32_e32 v0, 7, v5
	v_lshrrev_b32_e32 v28, 3, v17
	v_cmp_gt_u32_e32 vcc, 8, v17
	v_ffbh_u32_e32 v17, v0
	v_min_u32_e32 v17, 32, v17
	v_subrev_u32_e32 v29, 28, v17
	v_lshlrev_b64 v[50:51], v29, v[5:6]
	v_sub_u32_e32 v5, 29, v17
	v_and_b32_e32 v17, 7, v50
	v_cndmask_b32_e32 v5, v28, v5, vcc
	v_cndmask_b32_e32 v0, v0, v17, vcc
	v_lshlrev_b32_e32 v17, 16, v52
	v_bfrev_b32_e32 v28, 60
	v_lshlrev_b32_e32 v0, 20, v0
	v_and_b32_e32 v17, 0x80000000, v17
	v_lshl_add_u32 v5, v5, 23, v28
	v_or3_b32 v0, v17, v5, v0
.LBB6_2705:                             ;   in Loop: Header=BB6_354 Depth=4
	s_or_b64 exec, exec, s[48:49]
.LBB6_2706:                             ;   in Loop: Header=BB6_354 Depth=4
	s_or_b64 exec, exec, s[40:41]
.LBB6_2707:                             ;   in Loop: Header=BB6_354 Depth=4
	s_or_b64 exec, exec, s[38:39]
	v_cmp_ne_u16_e32 vcc, 0, v3
	s_and_saveexec_b64 s[40:41], vcc
	s_cbranch_execz .LBB6_2713
; %bb.2708:                             ;   in Loop: Header=BB6_354 Depth=4
	v_cmp_ne_u16_e32 vcc, s82, v3
	v_bfrev_b32_e32 v1, 1
	s_and_saveexec_b64 s[38:39], vcc
	s_cbranch_execz .LBB6_2712
; %bb.2709:                             ;   in Loop: Header=BB6_354 Depth=4
	v_and_b32_e32 v5, 0x7f, v3
	v_cmp_ne_u32_e32 vcc, s83, v5
	v_mov_b32_e32 v1, 0x7f800001
	s_and_saveexec_b64 s[48:49], vcc
	s_cbranch_execz .LBB6_2711
; %bb.2710:                             ;   in Loop: Header=BB6_354 Depth=4
	v_and_b32_e32 v1, 7, v3
	v_lshrrev_b32_e32 v17, 3, v5
	v_cmp_gt_u32_e32 vcc, 8, v5
	v_ffbh_u32_e32 v5, v1
	v_min_u32_e32 v5, 32, v5
	v_subrev_u32_e32 v28, 28, v5
	v_lshlrev_b64 v[50:51], v28, v[3:4]
	v_sub_u32_e32 v3, 29, v5
	v_and_b32_e32 v5, 7, v50
	v_cndmask_b32_e32 v3, v17, v3, vcc
	v_cndmask_b32_e32 v1, v1, v5, vcc
	v_lshlrev_b32_e32 v2, 16, v2
	v_bfrev_b32_e32 v5, 60
	v_lshlrev_b32_e32 v1, 20, v1
	v_and_b32_e32 v2, 0x80000000, v2
	v_lshl_add_u32 v3, v3, 23, v5
	v_or3_b32 v1, v2, v3, v1
.LBB6_2711:                             ;   in Loop: Header=BB6_354 Depth=4
	s_or_b64 exec, exec, s[48:49]
.LBB6_2712:                             ;   in Loop: Header=BB6_354 Depth=4
	s_or_b64 exec, exec, s[38:39]
.LBB6_2713:                             ;   in Loop: Header=BB6_354 Depth=4
	s_or_b64 exec, exec, s[40:41]
	v_max_f32_e32 v1, v1, v1
	v_max_f32_e32 v0, v0, v0
	v_min_f32_e32 v0, v0, v1
.LBB6_2714:                             ;   in Loop: Header=BB6_354 Depth=4
	v_and_b32_e32 v52, 0x7f800000, v0
	v_cmp_ne_u64_e32 vcc, s[76:77], v[52:53]
                                        ; implicit-def: $vgpr17
	s_and_saveexec_b64 s[40:41], vcc
	s_xor_b64 s[38:39], exec, s[40:41]
	s_cbranch_execz .LBB6_2728
; %bb.2715:                             ;   in Loop: Header=BB6_354 Depth=4
	v_and_b32_e32 v52, 0x7fffffff, v0
	v_cmp_gt_u64_e32 vcc, s[78:79], v[52:53]
	v_and_b32_sdwa v3, v0, s82 dst_sel:DWORD dst_unused:UNUSED_PAD src0_sel:BYTE_3 src1_sel:DWORD
                                        ; implicit-def: $vgpr17
	s_and_saveexec_b64 s[40:41], vcc
	s_xor_b64 s[48:49], exec, s[40:41]
	s_cbranch_execz .LBB6_2725
; %bb.2716:                             ;   in Loop: Header=BB6_354 Depth=4
	v_mov_b32_e32 v17, 0
	v_cmp_ne_u32_e32 vcc, 0, v0
	s_and_saveexec_b64 s[50:51], vcc
	s_cbranch_execz .LBB6_2724
; %bb.2717:                             ;   in Loop: Header=BB6_354 Depth=4
	v_bfe_u32 v5, v0, 23, 8
	v_and_b32_e32 v1, 0x7fffff, v0
	v_cmp_gt_u32_e64 s[40:41], s85, v5
	v_sub_u32_e32 v0, 0x79, v5
	v_cmp_eq_u32_e32 vcc, 0, v5
	v_cndmask_b32_e64 v0, 0, v0, s[40:41]
	v_mov_b32_e32 v17, 0x78
	v_cndmask_b32_e32 v17, v0, v17, vcc
	v_or_b32_e32 v2, 0x800000, v1
	v_add_u32_e32 v0, 20, v17
	v_cndmask_b32_e32 v52, v2, v1, vcc
	v_lshlrev_b64 v[0:1], v0, -1
	v_add_u32_e32 v2, 19, v17
	v_lshlrev_b64 v[50:51], v2, 1
	v_bfi_b32 v1, v1, 0, 0
	v_bfi_b32 v0, v0, 0, v52
	v_cmp_eq_u64_e64 s[40:41], v[0:1], v[50:51]
	v_lshrrev_b64 v[0:1], v17, v[52:53]
	v_mov_b32_e32 v2, v1
	v_mov_b32_e32 v1, v0
	s_and_saveexec_b64 s[52:53], s[40:41]
; %bb.2718:                             ;   in Loop: Header=BB6_354 Depth=4
	v_bfe_u32 v1, v0, 20, 1
	v_add_co_u32_e64 v1, s[40:41], v0, v1
	v_add_co_u32_e64 v1, s[40:41], -1, v1
; %bb.2719:                             ;   in Loop: Header=BB6_354 Depth=4
	s_or_b64 exec, exec, s[52:53]
	v_add_u32_e32 v2, 0xffffff81, v5
	v_mov_b32_e32 v5, 0xffffff82
	v_cndmask_b32_e32 v2, v2, v5, vcc
	v_lshrrev_b32_e32 v5, 23, v0
	v_add3_u32 v17, v17, v2, v5
	v_add_u32_e32 v5, 6, v17
	v_and_b32_e32 v1, 0xfffff, v1
	v_add_u32_e32 v52, v1, v0
	v_cmp_ne_u32_e32 vcc, 0, v5
                                        ; implicit-def: $vgpr0_vgpr1
                                        ; implicit-def: $vgpr2
	s_and_saveexec_b64 s[40:41], vcc
	s_xor_b64 s[40:41], exec, s[40:41]
; %bb.2720:                             ;   in Loop: Header=BB6_354 Depth=4
	v_cmp_lt_u64_e32 vcc, s[88:89], v[52:53]
	v_add_u32_e32 v0, 7, v17
	v_cndmask_b32_e32 v2, v5, v0, vcc
	v_cndmask_b32_e64 v0, 0, 1, vcc
	v_lshrrev_b64 v[0:1], v0, v[52:53]
; %bb.2721:                             ;   in Loop: Header=BB6_354 Depth=4
	s_andn2_saveexec_b64 s[40:41], s[40:41]
; %bb.2722:                             ;   in Loop: Header=BB6_354 Depth=4
	v_mov_b32_e32 v0, v52
	v_bfe_u32 v2, v52, 23, 1
	v_mov_b32_e32 v1, v53
; %bb.2723:                             ;   in Loop: Header=BB6_354 Depth=4
	s_or_b64 exec, exec, s[40:41]
	v_lshrrev_b64 v[0:1], 20, v[0:1]
	v_cmp_gt_i32_e32 vcc, 16, v2
	v_cndmask_b32_e32 v1, 0, v1, vcc
	v_cndmask_b32_e32 v0, 7, v0, vcc
	v_cmp_eq_u64_e64 s[40:41], 0, v[0:1]
	v_min_i32_e32 v1, 15, v2
	v_lshlrev_b32_e32 v1, 3, v1
	v_cmp_eq_u32_e32 vcc, 0, v2
	v_and_b32_e32 v1, 0xf8, v1
	v_and_or_b32 v0, v0, 7, v1
	s_and_b64 s[40:41], vcc, s[40:41]
	v_cndmask_b32_e64 v0, v0, 0, s[40:41]
	v_or_b32_e32 v17, v0, v3
.LBB6_2724:                             ;   in Loop: Header=BB6_354 Depth=4
	s_or_b64 exec, exec, s[50:51]
                                        ; implicit-def: $vgpr3
.LBB6_2725:                             ;   in Loop: Header=BB6_354 Depth=4
	s_andn2_saveexec_b64 s[40:41], s[48:49]
; %bb.2726:                             ;   in Loop: Header=BB6_354 Depth=4
	v_or_b32_e32 v17, 0x7e, v3
; %bb.2727:                             ;   in Loop: Header=BB6_354 Depth=4
	s_or_b64 exec, exec, s[40:41]
                                        ; implicit-def: $vgpr0
.LBB6_2728:                             ;   in Loop: Header=BB6_354 Depth=4
	s_andn2_saveexec_b64 s[40:41], s[38:39]
; %bb.2729:                             ;   in Loop: Header=BB6_354 Depth=4
	v_or_b32_sdwa v17, v0, s83 dst_sel:DWORD dst_unused:UNUSED_PAD src0_sel:BYTE_3 src1_sel:DWORD
; %bb.2730:                             ;   in Loop: Header=BB6_354 Depth=4
	s_or_b64 exec, exec, s[40:41]
	v_lshrrev_b32_e32 v2, 16, v13
	v_lshrrev_b32_e32 v0, 16, v9
	v_cmp_ne_u16_sdwa s[40:41], v2, v53 src0_sel:BYTE_0 src1_sel:DWORD
	s_and_b64 vcc, exec, s[28:29]
	s_mov_b64 s[38:39], -1
                                        ; implicit-def: $vgpr1
	s_cbranch_vccnz .LBB6_2744
; %bb.2731:                             ;   in Loop: Header=BB6_354 Depth=4
	v_mov_b32_e32 v3, 0
	v_mov_b32_e32 v1, 0
	s_and_saveexec_b64 s[38:39], s[40:41]
	s_cbranch_execz .LBB6_2737
; %bb.2732:                             ;   in Loop: Header=BB6_354 Depth=4
	v_cmp_ne_u16_sdwa vcc, v2, s82 src0_sel:BYTE_0 src1_sel:DWORD
	v_bfrev_b32_e32 v1, 1
	s_and_saveexec_b64 s[48:49], vcc
	s_cbranch_execz .LBB6_2736
; %bb.2733:                             ;   in Loop: Header=BB6_354 Depth=4
	v_bfe_u32 v5, v13, 16, 7
	v_cmp_ne_u32_e32 vcc, s83, v5
	v_mov_b32_e32 v1, 0x7f800001
	s_and_saveexec_b64 s[50:51], vcc
	s_cbranch_execz .LBB6_2735
; %bb.2734:                             ;   in Loop: Header=BB6_354 Depth=4
	v_and_b32_e32 v1, 7, v2
	v_lshrrev_b32_e32 v28, 3, v5
	v_cmp_gt_u32_e32 vcc, 8, v5
	v_ffbh_u32_e32 v5, v1
	v_min_u32_e32 v5, 32, v5
	v_subrev_u32_e32 v29, 28, v5
	v_lshlrev_b64 v[50:51], v29, v[2:3]
	v_sub_u32_e32 v5, 29, v5
	v_and_b32_e32 v29, 7, v50
	v_cndmask_b32_e32 v5, v28, v5, vcc
	v_cndmask_b32_e32 v1, v1, v29, vcc
	v_lshlrev_b32_e32 v28, 24, v2
	v_bfrev_b32_e32 v29, 60
	v_lshlrev_b32_e32 v1, 20, v1
	v_and_b32_e32 v28, 0x80000000, v28
	v_lshl_add_u32 v5, v5, 23, v29
	v_or3_b32 v1, v28, v5, v1
.LBB6_2735:                             ;   in Loop: Header=BB6_354 Depth=4
	s_or_b64 exec, exec, s[50:51]
.LBB6_2736:                             ;   in Loop: Header=BB6_354 Depth=4
	s_or_b64 exec, exec, s[48:49]
.LBB6_2737:                             ;   in Loop: Header=BB6_354 Depth=4
	s_or_b64 exec, exec, s[38:39]
	v_cmp_ne_u16_sdwa vcc, v0, v53 src0_sel:BYTE_0 src1_sel:DWORD
	s_and_saveexec_b64 s[38:39], vcc
	s_cbranch_execz .LBB6_2743
; %bb.2738:                             ;   in Loop: Header=BB6_354 Depth=4
	v_cmp_ne_u16_sdwa vcc, v0, s82 src0_sel:BYTE_0 src1_sel:DWORD
	v_bfrev_b32_e32 v3, 1
	s_and_saveexec_b64 s[48:49], vcc
	s_cbranch_execz .LBB6_2742
; %bb.2739:                             ;   in Loop: Header=BB6_354 Depth=4
	v_bfe_u32 v5, v9, 16, 7
	v_cmp_ne_u32_e32 vcc, s83, v5
	v_mov_b32_e32 v3, 0x7f800001
	s_and_saveexec_b64 s[50:51], vcc
	s_cbranch_execz .LBB6_2741
; %bb.2740:                             ;   in Loop: Header=BB6_354 Depth=4
	v_and_b32_e32 v3, 7, v0
	v_lshrrev_b32_e32 v28, 3, v5
	v_cmp_gt_u32_e32 vcc, 8, v5
	v_ffbh_u32_e32 v5, v3
	v_min_u32_e32 v5, 32, v5
	v_subrev_u32_e32 v29, 28, v5
	v_lshlrev_b64 v[50:51], v29, v[0:1]
	v_sub_u32_e32 v5, 29, v5
	v_and_b32_e32 v29, 7, v50
	v_cndmask_b32_e32 v5, v28, v5, vcc
	v_cndmask_b32_e32 v3, v3, v29, vcc
	v_lshlrev_b32_e32 v28, 24, v0
	v_bfrev_b32_e32 v29, 60
	v_lshlrev_b32_e32 v3, 20, v3
	v_and_b32_e32 v28, 0x80000000, v28
	v_lshl_add_u32 v5, v5, 23, v29
	v_or3_b32 v3, v28, v5, v3
.LBB6_2741:                             ;   in Loop: Header=BB6_354 Depth=4
	s_or_b64 exec, exec, s[50:51]
.LBB6_2742:                             ;   in Loop: Header=BB6_354 Depth=4
	s_or_b64 exec, exec, s[48:49]
.LBB6_2743:                             ;   in Loop: Header=BB6_354 Depth=4
	s_or_b64 exec, exec, s[38:39]
	v_max_f32_e32 v3, v3, v3
	v_max_f32_e32 v1, v1, v1
	;; [unrolled: 1-line block ×3, first 2 shown]
	s_mov_b64 s[38:39], 0
.LBB6_2744:                             ;   in Loop: Header=BB6_354 Depth=4
	s_and_b64 vcc, exec, s[38:39]
	s_cbranch_vccz .LBB6_2758
; %bb.2745:                             ;   in Loop: Header=BB6_354 Depth=4
	v_mov_b32_e32 v3, 0
	v_mov_b32_e32 v1, 0
	s_and_saveexec_b64 s[38:39], s[40:41]
	s_cbranch_execz .LBB6_2751
; %bb.2746:                             ;   in Loop: Header=BB6_354 Depth=4
	v_cmp_ne_u16_sdwa vcc, v2, s82 src0_sel:BYTE_0 src1_sel:DWORD
	v_bfrev_b32_e32 v1, 1
	s_and_saveexec_b64 s[40:41], vcc
	s_cbranch_execz .LBB6_2750
; %bb.2747:                             ;   in Loop: Header=BB6_354 Depth=4
	v_bfe_u32 v5, v13, 16, 7
	v_cmp_ne_u32_e32 vcc, s83, v5
	v_mov_b32_e32 v1, 0x7f800001
	s_and_saveexec_b64 s[48:49], vcc
	s_cbranch_execz .LBB6_2749
; %bb.2748:                             ;   in Loop: Header=BB6_354 Depth=4
	v_and_b32_e32 v1, 7, v2
	v_lshrrev_b32_e32 v28, 3, v5
	v_cmp_gt_u32_e32 vcc, 8, v5
	v_ffbh_u32_e32 v5, v1
	v_min_u32_e32 v5, 32, v5
	v_subrev_u32_e32 v29, 28, v5
	v_lshlrev_b64 v[50:51], v29, v[2:3]
	v_sub_u32_e32 v5, 29, v5
	v_and_b32_e32 v29, 7, v50
	v_cndmask_b32_e32 v5, v28, v5, vcc
	v_cndmask_b32_e32 v1, v1, v29, vcc
	v_lshlrev_b32_e32 v2, 24, v2
	v_bfrev_b32_e32 v28, 60
	v_lshlrev_b32_e32 v1, 20, v1
	v_and_b32_e32 v2, 0x80000000, v2
	v_lshl_add_u32 v5, v5, 23, v28
	v_or3_b32 v1, v2, v5, v1
.LBB6_2749:                             ;   in Loop: Header=BB6_354 Depth=4
	s_or_b64 exec, exec, s[48:49]
.LBB6_2750:                             ;   in Loop: Header=BB6_354 Depth=4
	s_or_b64 exec, exec, s[40:41]
.LBB6_2751:                             ;   in Loop: Header=BB6_354 Depth=4
	s_or_b64 exec, exec, s[38:39]
	v_cmp_ne_u16_sdwa vcc, v0, v53 src0_sel:BYTE_0 src1_sel:DWORD
	s_and_saveexec_b64 s[40:41], vcc
	s_cbranch_execz .LBB6_2757
; %bb.2752:                             ;   in Loop: Header=BB6_354 Depth=4
	v_cmp_ne_u16_sdwa vcc, v0, s82 src0_sel:BYTE_0 src1_sel:DWORD
	v_bfrev_b32_e32 v3, 1
	s_and_saveexec_b64 s[38:39], vcc
	s_cbranch_execz .LBB6_2756
; %bb.2753:                             ;   in Loop: Header=BB6_354 Depth=4
	v_bfe_u32 v2, v9, 16, 7
	v_cmp_ne_u32_e32 vcc, s83, v2
	v_mov_b32_e32 v3, 0x7f800001
	s_and_saveexec_b64 s[48:49], vcc
	s_cbranch_execz .LBB6_2755
; %bb.2754:                             ;   in Loop: Header=BB6_354 Depth=4
	v_and_b32_e32 v5, 7, v0
	v_lshrrev_b32_e32 v28, 3, v2
	v_cmp_gt_u32_e32 vcc, 8, v2
	v_ffbh_u32_e32 v2, v5
	v_min_u32_e32 v29, 32, v2
	v_subrev_u32_e32 v2, 28, v29
	v_lshlrev_b64 v[2:3], v2, v[0:1]
	v_sub_u32_e32 v3, 29, v29
	v_and_b32_e32 v2, 7, v2
	v_cndmask_b32_e32 v3, v28, v3, vcc
	v_cndmask_b32_e32 v2, v5, v2, vcc
	v_lshlrev_b32_e32 v0, 24, v0
	v_bfrev_b32_e32 v5, 60
	v_lshlrev_b32_e32 v2, 20, v2
	v_and_b32_e32 v0, 0x80000000, v0
	v_lshl_add_u32 v3, v3, 23, v5
	v_or3_b32 v3, v0, v3, v2
.LBB6_2755:                             ;   in Loop: Header=BB6_354 Depth=4
	s_or_b64 exec, exec, s[48:49]
.LBB6_2756:                             ;   in Loop: Header=BB6_354 Depth=4
	s_or_b64 exec, exec, s[38:39]
.LBB6_2757:                             ;   in Loop: Header=BB6_354 Depth=4
	s_or_b64 exec, exec, s[40:41]
	v_max_f32_e32 v0, v3, v3
	v_max_f32_e32 v1, v1, v1
	v_min_f32_e32 v1, v1, v0
.LBB6_2758:                             ;   in Loop: Header=BB6_354 Depth=4
	v_and_b32_e32 v52, 0x7f800000, v1
	v_cmp_ne_u64_e32 vcc, s[76:77], v[52:53]
                                        ; implicit-def: $vgpr57
	s_and_saveexec_b64 s[40:41], vcc
	s_xor_b64 s[38:39], exec, s[40:41]
	s_cbranch_execz .LBB6_2772
; %bb.2759:                             ;   in Loop: Header=BB6_354 Depth=4
	v_and_b32_e32 v52, 0x7fffffff, v1
	v_cmp_gt_u64_e32 vcc, s[78:79], v[52:53]
	v_and_b32_sdwa v3, v1, s82 dst_sel:DWORD dst_unused:UNUSED_PAD src0_sel:BYTE_3 src1_sel:DWORD
                                        ; implicit-def: $vgpr57
	s_and_saveexec_b64 s[40:41], vcc
	s_xor_b64 s[48:49], exec, s[40:41]
	s_cbranch_execz .LBB6_2769
; %bb.2760:                             ;   in Loop: Header=BB6_354 Depth=4
	v_mov_b32_e32 v57, 0
	v_cmp_ne_u32_e32 vcc, 0, v1
	s_and_saveexec_b64 s[50:51], vcc
	s_cbranch_execz .LBB6_2768
; %bb.2761:                             ;   in Loop: Header=BB6_354 Depth=4
	v_bfe_u32 v5, v1, 23, 8
	v_and_b32_e32 v0, 0x7fffff, v1
	v_cmp_gt_u32_e64 s[40:41], s85, v5
	v_sub_u32_e32 v1, 0x79, v5
	v_cmp_eq_u32_e32 vcc, 0, v5
	v_cndmask_b32_e64 v1, 0, v1, s[40:41]
	v_mov_b32_e32 v28, 0x78
	v_or_b32_e32 v2, 0x800000, v0
	v_cndmask_b32_e32 v39, v1, v28, vcc
	v_cndmask_b32_e32 v52, v2, v0, vcc
	v_add_u32_e32 v0, 20, v39
	v_lshlrev_b64 v[0:1], v0, -1
	v_add_u32_e32 v2, 19, v39
	v_lshlrev_b64 v[50:51], v2, 1
	v_bfi_b32 v1, v1, 0, 0
	v_bfi_b32 v0, v0, 0, v52
	v_cmp_eq_u64_e64 s[40:41], v[0:1], v[50:51]
	v_lshrrev_b64 v[0:1], v39, v[52:53]
	v_mov_b32_e32 v2, v1
	v_mov_b32_e32 v1, v0
	s_and_saveexec_b64 s[52:53], s[40:41]
; %bb.2762:                             ;   in Loop: Header=BB6_354 Depth=4
	v_bfe_u32 v1, v0, 20, 1
	v_add_co_u32_e64 v1, s[40:41], v0, v1
	v_add_co_u32_e64 v1, s[40:41], -1, v1
; %bb.2763:                             ;   in Loop: Header=BB6_354 Depth=4
	s_or_b64 exec, exec, s[52:53]
	v_add_u32_e32 v2, 0xffffff81, v5
	v_mov_b32_e32 v5, 0xffffff82
	v_cndmask_b32_e32 v2, v2, v5, vcc
	v_lshrrev_b32_e32 v5, 23, v0
	v_add3_u32 v39, v39, v2, v5
	v_add_u32_e32 v5, 6, v39
	v_and_b32_e32 v1, 0xfffff, v1
	v_add_u32_e32 v52, v1, v0
	v_cmp_ne_u32_e32 vcc, 0, v5
                                        ; implicit-def: $vgpr0_vgpr1
                                        ; implicit-def: $vgpr2
	s_and_saveexec_b64 s[40:41], vcc
	s_xor_b64 s[40:41], exec, s[40:41]
; %bb.2764:                             ;   in Loop: Header=BB6_354 Depth=4
	v_cmp_lt_u64_e32 vcc, s[88:89], v[52:53]
	v_add_u32_e32 v0, 7, v39
	v_cndmask_b32_e32 v2, v5, v0, vcc
	v_cndmask_b32_e64 v0, 0, 1, vcc
	v_lshrrev_b64 v[0:1], v0, v[52:53]
; %bb.2765:                             ;   in Loop: Header=BB6_354 Depth=4
	s_andn2_saveexec_b64 s[40:41], s[40:41]
; %bb.2766:                             ;   in Loop: Header=BB6_354 Depth=4
	v_mov_b32_e32 v0, v52
	v_bfe_u32 v2, v52, 23, 1
	v_mov_b32_e32 v1, v53
; %bb.2767:                             ;   in Loop: Header=BB6_354 Depth=4
	s_or_b64 exec, exec, s[40:41]
	v_lshrrev_b64 v[0:1], 20, v[0:1]
	v_cmp_gt_i32_e32 vcc, 16, v2
	v_cndmask_b32_e32 v1, 0, v1, vcc
	v_cndmask_b32_e32 v0, 7, v0, vcc
	v_cmp_eq_u64_e64 s[40:41], 0, v[0:1]
	v_min_i32_e32 v1, 15, v2
	v_lshlrev_b32_e32 v1, 3, v1
	v_cmp_eq_u32_e32 vcc, 0, v2
	v_and_b32_e32 v1, 0xf8, v1
	v_and_or_b32 v0, v0, 7, v1
	s_and_b64 s[40:41], vcc, s[40:41]
	v_cndmask_b32_e64 v0, v0, 0, s[40:41]
	v_or_b32_e32 v57, v0, v3
.LBB6_2768:                             ;   in Loop: Header=BB6_354 Depth=4
	s_or_b64 exec, exec, s[50:51]
                                        ; implicit-def: $vgpr3
.LBB6_2769:                             ;   in Loop: Header=BB6_354 Depth=4
	s_andn2_saveexec_b64 s[40:41], s[48:49]
; %bb.2770:                             ;   in Loop: Header=BB6_354 Depth=4
	v_or_b32_e32 v57, 0x7e, v3
; %bb.2771:                             ;   in Loop: Header=BB6_354 Depth=4
	s_or_b64 exec, exec, s[40:41]
                                        ; implicit-def: $vgpr1
.LBB6_2772:                             ;   in Loop: Header=BB6_354 Depth=4
	s_andn2_saveexec_b64 s[40:41], s[38:39]
; %bb.2773:                             ;   in Loop: Header=BB6_354 Depth=4
	v_or_b32_sdwa v57, v1, s83 dst_sel:DWORD dst_unused:UNUSED_PAD src0_sel:BYTE_3 src1_sel:DWORD
; %bb.2774:                             ;   in Loop: Header=BB6_354 Depth=4
	s_or_b64 exec, exec, s[40:41]
	v_cmp_lt_u64_e64 s[40:41], s[62:63], v[12:13]
	v_lshrrev_b32_e32 v2, 24, v13
	v_lshrrev_b32_e32 v0, 24, v9
	s_and_b64 vcc, exec, s[28:29]
	s_mov_b64 s[38:39], -1
                                        ; implicit-def: $vgpr1
	s_cbranch_vccnz .LBB6_2788
; %bb.2775:                             ;   in Loop: Header=BB6_354 Depth=4
	v_mov_b32_e32 v3, 0
	v_mov_b32_e32 v1, 0
	s_and_saveexec_b64 s[38:39], s[40:41]
	s_cbranch_execz .LBB6_2781
; %bb.2776:                             ;   in Loop: Header=BB6_354 Depth=4
	v_cmp_ne_u32_e32 vcc, s82, v2
	v_bfrev_b32_e32 v1, 1
	s_and_saveexec_b64 s[48:49], vcc
	s_cbranch_execz .LBB6_2780
; %bb.2777:                             ;   in Loop: Header=BB6_354 Depth=4
	v_bfe_u32 v5, v13, 24, 7
	v_cmp_ne_u32_e32 vcc, s83, v5
	v_mov_b32_e32 v1, 0x7f800001
	s_and_saveexec_b64 s[50:51], vcc
	s_cbranch_execz .LBB6_2779
; %bb.2778:                             ;   in Loop: Header=BB6_354 Depth=4
	v_and_b32_e32 v1, 7, v2
	v_lshrrev_b32_e32 v12, 3, v5
	v_cmp_gt_u32_e32 vcc, 8, v5
	v_ffbh_u32_e32 v5, v1
	v_min_u32_e32 v5, 32, v5
	v_subrev_u32_e32 v28, 28, v5
	v_lshlrev_b64 v[50:51], v28, v[2:3]
	v_sub_u32_e32 v5, 29, v5
	v_and_b32_e32 v28, 7, v50
	v_cndmask_b32_e32 v5, v12, v5, vcc
	v_cndmask_b32_e32 v1, v1, v28, vcc
	v_lshlrev_b32_e32 v12, 24, v2
	v_bfrev_b32_e32 v28, 60
	v_lshlrev_b32_e32 v1, 20, v1
	v_and_b32_e32 v12, 0x80000000, v12
	v_lshl_add_u32 v5, v5, 23, v28
	v_or3_b32 v1, v12, v5, v1
.LBB6_2779:                             ;   in Loop: Header=BB6_354 Depth=4
	s_or_b64 exec, exec, s[50:51]
.LBB6_2780:                             ;   in Loop: Header=BB6_354 Depth=4
	s_or_b64 exec, exec, s[48:49]
.LBB6_2781:                             ;   in Loop: Header=BB6_354 Depth=4
	s_or_b64 exec, exec, s[38:39]
	v_cmp_lt_u64_e32 vcc, s[62:63], v[8:9]
	s_and_saveexec_b64 s[38:39], vcc
	s_cbranch_execz .LBB6_2787
; %bb.2782:                             ;   in Loop: Header=BB6_354 Depth=4
	v_cmp_ne_u32_e32 vcc, s82, v0
	v_bfrev_b32_e32 v3, 1
	s_and_saveexec_b64 s[48:49], vcc
	s_cbranch_execz .LBB6_2786
; %bb.2783:                             ;   in Loop: Header=BB6_354 Depth=4
	v_bfe_u32 v5, v9, 24, 7
	v_cmp_ne_u32_e32 vcc, s83, v5
	v_mov_b32_e32 v3, 0x7f800001
	s_and_saveexec_b64 s[50:51], vcc
	s_cbranch_execz .LBB6_2785
; %bb.2784:                             ;   in Loop: Header=BB6_354 Depth=4
	v_and_b32_e32 v3, 7, v0
	v_lshrrev_b32_e32 v12, 3, v5
	v_cmp_gt_u32_e32 vcc, 8, v5
	v_ffbh_u32_e32 v5, v3
	v_min_u32_e32 v5, 32, v5
	v_subrev_u32_e32 v28, 28, v5
	v_lshlrev_b64 v[50:51], v28, v[0:1]
	v_sub_u32_e32 v5, 29, v5
	v_and_b32_e32 v28, 7, v50
	v_cndmask_b32_e32 v5, v12, v5, vcc
	v_cndmask_b32_e32 v3, v3, v28, vcc
	v_lshlrev_b32_e32 v12, 24, v0
	v_bfrev_b32_e32 v28, 60
	v_lshlrev_b32_e32 v3, 20, v3
	v_and_b32_e32 v12, 0x80000000, v12
	v_lshl_add_u32 v5, v5, 23, v28
	v_or3_b32 v3, v12, v5, v3
.LBB6_2785:                             ;   in Loop: Header=BB6_354 Depth=4
	s_or_b64 exec, exec, s[50:51]
.LBB6_2786:                             ;   in Loop: Header=BB6_354 Depth=4
	s_or_b64 exec, exec, s[48:49]
.LBB6_2787:                             ;   in Loop: Header=BB6_354 Depth=4
	s_or_b64 exec, exec, s[38:39]
	v_max_f32_e32 v3, v3, v3
	v_max_f32_e32 v1, v1, v1
	;; [unrolled: 1-line block ×3, first 2 shown]
	s_mov_b64 s[38:39], 0
.LBB6_2788:                             ;   in Loop: Header=BB6_354 Depth=4
	s_and_b64 vcc, exec, s[38:39]
	s_cbranch_vccz .LBB6_2802
; %bb.2789:                             ;   in Loop: Header=BB6_354 Depth=4
	v_mov_b32_e32 v3, 0
	v_mov_b32_e32 v1, 0
	s_and_saveexec_b64 s[38:39], s[40:41]
	s_cbranch_execz .LBB6_2795
; %bb.2790:                             ;   in Loop: Header=BB6_354 Depth=4
	v_cmp_ne_u32_e32 vcc, s82, v2
	v_bfrev_b32_e32 v1, 1
	s_and_saveexec_b64 s[40:41], vcc
	s_cbranch_execz .LBB6_2794
; %bb.2791:                             ;   in Loop: Header=BB6_354 Depth=4
	v_bfe_u32 v5, v13, 24, 7
	v_cmp_ne_u32_e32 vcc, s83, v5
	v_mov_b32_e32 v1, 0x7f800001
	s_and_saveexec_b64 s[48:49], vcc
	s_cbranch_execz .LBB6_2793
; %bb.2792:                             ;   in Loop: Header=BB6_354 Depth=4
	v_and_b32_e32 v1, 7, v2
	v_lshrrev_b32_e32 v28, 3, v5
	v_cmp_gt_u32_e32 vcc, 8, v5
	v_ffbh_u32_e32 v5, v1
	v_min_u32_e32 v5, 32, v5
	v_subrev_u32_e32 v12, 28, v5
	v_lshlrev_b64 v[12:13], v12, v[2:3]
	v_sub_u32_e32 v5, 29, v5
	v_and_b32_e32 v12, 7, v12
	v_cndmask_b32_e32 v5, v28, v5, vcc
	v_cndmask_b32_e32 v1, v1, v12, vcc
	v_lshlrev_b32_e32 v2, 24, v2
	v_bfrev_b32_e32 v12, 60
	v_lshlrev_b32_e32 v1, 20, v1
	v_and_b32_e32 v2, 0x80000000, v2
	v_lshl_add_u32 v5, v5, 23, v12
	v_or3_b32 v1, v2, v5, v1
.LBB6_2793:                             ;   in Loop: Header=BB6_354 Depth=4
	s_or_b64 exec, exec, s[48:49]
.LBB6_2794:                             ;   in Loop: Header=BB6_354 Depth=4
	s_or_b64 exec, exec, s[40:41]
.LBB6_2795:                             ;   in Loop: Header=BB6_354 Depth=4
	s_or_b64 exec, exec, s[38:39]
	v_cmp_lt_u64_e32 vcc, s[62:63], v[8:9]
	s_and_saveexec_b64 s[40:41], vcc
	s_cbranch_execz .LBB6_2801
; %bb.2796:                             ;   in Loop: Header=BB6_354 Depth=4
	v_cmp_ne_u32_e32 vcc, s82, v0
	v_bfrev_b32_e32 v3, 1
	s_and_saveexec_b64 s[38:39], vcc
	s_cbranch_execz .LBB6_2800
; %bb.2797:                             ;   in Loop: Header=BB6_354 Depth=4
	v_bfe_u32 v2, v9, 24, 7
	v_cmp_ne_u32_e32 vcc, s83, v2
	v_mov_b32_e32 v3, 0x7f800001
	s_and_saveexec_b64 s[48:49], vcc
	s_cbranch_execz .LBB6_2799
; %bb.2798:                             ;   in Loop: Header=BB6_354 Depth=4
	v_and_b32_e32 v5, 7, v0
	v_lshrrev_b32_e32 v8, 3, v2
	v_cmp_gt_u32_e32 vcc, 8, v2
	v_ffbh_u32_e32 v2, v5
	v_min_u32_e32 v9, 32, v2
	v_subrev_u32_e32 v2, 28, v9
	v_lshlrev_b64 v[2:3], v2, v[0:1]
	v_sub_u32_e32 v3, 29, v9
	v_and_b32_e32 v2, 7, v2
	v_cndmask_b32_e32 v3, v8, v3, vcc
	v_cndmask_b32_e32 v2, v5, v2, vcc
	v_lshlrev_b32_e32 v0, 24, v0
	v_bfrev_b32_e32 v5, 60
	v_lshlrev_b32_e32 v2, 20, v2
	v_and_b32_e32 v0, 0x80000000, v0
	v_lshl_add_u32 v3, v3, 23, v5
	v_or3_b32 v3, v0, v3, v2
.LBB6_2799:                             ;   in Loop: Header=BB6_354 Depth=4
	s_or_b64 exec, exec, s[48:49]
.LBB6_2800:                             ;   in Loop: Header=BB6_354 Depth=4
	s_or_b64 exec, exec, s[38:39]
.LBB6_2801:                             ;   in Loop: Header=BB6_354 Depth=4
	s_or_b64 exec, exec, s[40:41]
	v_max_f32_e32 v0, v3, v3
	v_max_f32_e32 v1, v1, v1
	v_min_f32_e32 v1, v1, v0
.LBB6_2802:                             ;   in Loop: Header=BB6_354 Depth=4
	v_and_b32_e32 v52, 0x7f800000, v1
	v_cmp_ne_u64_e32 vcc, s[76:77], v[52:53]
                                        ; implicit-def: $vgpr12
	s_and_saveexec_b64 s[40:41], vcc
	s_xor_b64 s[38:39], exec, s[40:41]
	s_cbranch_execz .LBB6_2816
; %bb.2803:                             ;   in Loop: Header=BB6_354 Depth=4
	v_and_b32_e32 v52, 0x7fffffff, v1
	v_cmp_gt_u64_e32 vcc, s[78:79], v[52:53]
	v_and_b32_sdwa v3, v1, s82 dst_sel:DWORD dst_unused:UNUSED_PAD src0_sel:BYTE_3 src1_sel:DWORD
                                        ; implicit-def: $vgpr12
	s_and_saveexec_b64 s[40:41], vcc
	s_xor_b64 s[48:49], exec, s[40:41]
	s_cbranch_execz .LBB6_2813
; %bb.2804:                             ;   in Loop: Header=BB6_354 Depth=4
	v_mov_b32_e32 v12, 0
	v_cmp_ne_u32_e32 vcc, 0, v1
	s_and_saveexec_b64 s[50:51], vcc
	s_cbranch_execz .LBB6_2812
; %bb.2805:                             ;   in Loop: Header=BB6_354 Depth=4
	v_bfe_u32 v5, v1, 23, 8
	v_and_b32_e32 v0, 0x7fffff, v1
	v_cmp_gt_u32_e64 s[40:41], s85, v5
	v_sub_u32_e32 v1, 0x79, v5
	v_cmp_eq_u32_e32 vcc, 0, v5
	v_cndmask_b32_e64 v1, 0, v1, s[40:41]
	v_mov_b32_e32 v8, 0x78
	v_or_b32_e32 v2, 0x800000, v0
	v_cndmask_b32_e32 v8, v1, v8, vcc
	v_cndmask_b32_e32 v52, v2, v0, vcc
	v_add_u32_e32 v0, 20, v8
	v_lshlrev_b64 v[0:1], v0, -1
	v_add_u32_e32 v2, 19, v8
	v_lshlrev_b64 v[12:13], v2, 1
	v_bfi_b32 v1, v1, 0, 0
	v_bfi_b32 v0, v0, 0, v52
	v_cmp_eq_u64_e64 s[40:41], v[0:1], v[12:13]
	v_lshrrev_b64 v[0:1], v8, v[52:53]
	v_mov_b32_e32 v2, v1
	v_mov_b32_e32 v1, v0
	s_and_saveexec_b64 s[52:53], s[40:41]
; %bb.2806:                             ;   in Loop: Header=BB6_354 Depth=4
	v_bfe_u32 v1, v0, 20, 1
	v_add_co_u32_e64 v1, s[40:41], v0, v1
	v_add_co_u32_e64 v1, s[40:41], -1, v1
; %bb.2807:                             ;   in Loop: Header=BB6_354 Depth=4
	s_or_b64 exec, exec, s[52:53]
	v_add_u32_e32 v2, 0xffffff81, v5
	v_mov_b32_e32 v5, 0xffffff82
	v_cndmask_b32_e32 v2, v2, v5, vcc
	v_lshrrev_b32_e32 v5, 23, v0
	v_add3_u32 v8, v8, v2, v5
	v_add_u32_e32 v5, 6, v8
	v_and_b32_e32 v1, 0xfffff, v1
	v_add_u32_e32 v52, v1, v0
	v_cmp_ne_u32_e32 vcc, 0, v5
                                        ; implicit-def: $vgpr0_vgpr1
                                        ; implicit-def: $vgpr2
	s_and_saveexec_b64 s[40:41], vcc
	s_xor_b64 s[40:41], exec, s[40:41]
; %bb.2808:                             ;   in Loop: Header=BB6_354 Depth=4
	v_cmp_lt_u64_e32 vcc, s[88:89], v[52:53]
	v_add_u32_e32 v0, 7, v8
	v_cndmask_b32_e32 v2, v5, v0, vcc
	v_cndmask_b32_e64 v0, 0, 1, vcc
	v_lshrrev_b64 v[0:1], v0, v[52:53]
; %bb.2809:                             ;   in Loop: Header=BB6_354 Depth=4
	s_andn2_saveexec_b64 s[40:41], s[40:41]
; %bb.2810:                             ;   in Loop: Header=BB6_354 Depth=4
	v_mov_b32_e32 v0, v52
	v_bfe_u32 v2, v52, 23, 1
	v_mov_b32_e32 v1, v53
; %bb.2811:                             ;   in Loop: Header=BB6_354 Depth=4
	s_or_b64 exec, exec, s[40:41]
	v_lshrrev_b64 v[0:1], 20, v[0:1]
	v_cmp_gt_i32_e32 vcc, 16, v2
	v_cndmask_b32_e32 v1, 0, v1, vcc
	v_cndmask_b32_e32 v0, 7, v0, vcc
	v_cmp_eq_u64_e64 s[40:41], 0, v[0:1]
	v_min_i32_e32 v1, 15, v2
	v_lshlrev_b32_e32 v1, 3, v1
	v_cmp_eq_u32_e32 vcc, 0, v2
	v_and_b32_e32 v1, 0xf8, v1
	v_and_or_b32 v0, v0, 7, v1
	s_and_b64 s[40:41], vcc, s[40:41]
	v_cndmask_b32_e64 v0, v0, 0, s[40:41]
	v_or_b32_e32 v12, v0, v3
.LBB6_2812:                             ;   in Loop: Header=BB6_354 Depth=4
	s_or_b64 exec, exec, s[50:51]
                                        ; implicit-def: $vgpr3
.LBB6_2813:                             ;   in Loop: Header=BB6_354 Depth=4
	s_andn2_saveexec_b64 s[40:41], s[48:49]
; %bb.2814:                             ;   in Loop: Header=BB6_354 Depth=4
	v_or_b32_e32 v12, 0x7e, v3
; %bb.2815:                             ;   in Loop: Header=BB6_354 Depth=4
	s_or_b64 exec, exec, s[40:41]
                                        ; implicit-def: $vgpr1
.LBB6_2816:                             ;   in Loop: Header=BB6_354 Depth=4
	s_andn2_saveexec_b64 s[40:41], s[38:39]
; %bb.2817:                             ;   in Loop: Header=BB6_354 Depth=4
	v_or_b32_sdwa v12, v1, s83 dst_sel:DWORD dst_unused:UNUSED_PAD src0_sel:BYTE_3 src1_sel:DWORD
; %bb.2818:                             ;   in Loop: Header=BB6_354 Depth=4
	s_or_b64 exec, exec, s[40:41]
	v_cmp_ne_u16_sdwa s[40:41], v14, v53 src0_sel:BYTE_0 src1_sel:DWORD
	s_and_b64 vcc, exec, s[28:29]
	s_mov_b64 s[38:39], -1
                                        ; implicit-def: $vgpr0
	s_cbranch_vccnz .LBB6_2832
; %bb.2819:                             ;   in Loop: Header=BB6_354 Depth=4
	v_mov_b32_e32 v1, 0
	v_mov_b32_e32 v0, 0
	s_and_saveexec_b64 s[38:39], s[40:41]
	s_cbranch_execz .LBB6_2825
; %bb.2820:                             ;   in Loop: Header=BB6_354 Depth=4
	v_cmp_ne_u16_sdwa vcc, v14, s82 src0_sel:BYTE_0 src1_sel:DWORD
	v_bfrev_b32_e32 v0, 1
	s_and_saveexec_b64 s[48:49], vcc
	s_cbranch_execz .LBB6_2824
; %bb.2821:                             ;   in Loop: Header=BB6_354 Depth=4
	v_and_b32_e32 v2, 0x7f, v14
	v_cmp_ne_u32_e32 vcc, s83, v2
	v_mov_b32_e32 v0, 0x7f800001
	s_and_saveexec_b64 s[50:51], vcc
	s_cbranch_execz .LBB6_2823
; %bb.2822:                             ;   in Loop: Header=BB6_354 Depth=4
	v_and_b32_e32 v0, 7, v14
	v_ffbh_u32_e32 v0, v0
	v_min_u32_e32 v0, 32, v0
	v_lshrrev_b32_e32 v3, 3, v2
	v_cmp_gt_u32_e32 vcc, 8, v2
	v_subrev_u32_e32 v2, 28, v0
	v_sub_u32_e32 v0, 29, v0
	v_cndmask_b32_e32 v2, 0, v2, vcc
	v_cndmask_b32_e32 v0, v3, v0, vcc
	v_lshlrev_b64 v[2:3], v2, v[14:15]
	v_lshlrev_b32_e32 v3, 24, v14
	v_lshlrev_b32_e32 v2, 20, v2
	v_bfrev_b32_e32 v5, 60
	v_and_b32_e32 v2, 0x700000, v2
	v_and_b32_e32 v3, 0x80000000, v3
	v_lshl_add_u32 v0, v0, 23, v5
	v_or3_b32 v0, v3, v0, v2
.LBB6_2823:                             ;   in Loop: Header=BB6_354 Depth=4
	s_or_b64 exec, exec, s[50:51]
.LBB6_2824:                             ;   in Loop: Header=BB6_354 Depth=4
	s_or_b64 exec, exec, s[48:49]
.LBB6_2825:                             ;   in Loop: Header=BB6_354 Depth=4
	s_or_b64 exec, exec, s[38:39]
	v_cmp_ne_u16_sdwa vcc, v10, v53 src0_sel:BYTE_0 src1_sel:DWORD
	s_and_saveexec_b64 s[38:39], vcc
	s_cbranch_execz .LBB6_2831
; %bb.2826:                             ;   in Loop: Header=BB6_354 Depth=4
	v_cmp_ne_u16_sdwa vcc, v10, s82 src0_sel:BYTE_0 src1_sel:DWORD
	v_bfrev_b32_e32 v1, 1
	s_and_saveexec_b64 s[48:49], vcc
	s_cbranch_execz .LBB6_2830
; %bb.2827:                             ;   in Loop: Header=BB6_354 Depth=4
	v_and_b32_e32 v2, 0x7f, v10
	v_cmp_ne_u32_e32 vcc, s83, v2
	v_mov_b32_e32 v1, 0x7f800001
	s_and_saveexec_b64 s[50:51], vcc
	s_cbranch_execz .LBB6_2829
; %bb.2828:                             ;   in Loop: Header=BB6_354 Depth=4
	v_and_b32_e32 v1, 7, v10
	v_ffbh_u32_e32 v1, v1
	v_min_u32_e32 v1, 32, v1
	v_lshrrev_b32_e32 v3, 3, v2
	v_cmp_gt_u32_e32 vcc, 8, v2
	v_subrev_u32_e32 v2, 28, v1
	v_sub_u32_e32 v1, 29, v1
	v_cndmask_b32_e32 v3, v3, v1, vcc
	v_cndmask_b32_e32 v1, 0, v2, vcc
	v_lshlrev_b64 v[1:2], v1, v[10:11]
	v_lshlrev_b32_e32 v2, 24, v10
	v_lshlrev_b32_e32 v1, 20, v1
	v_bfrev_b32_e32 v5, 60
	v_and_b32_e32 v1, 0x700000, v1
	v_and_b32_e32 v2, 0x80000000, v2
	v_lshl_add_u32 v3, v3, 23, v5
	v_or3_b32 v1, v2, v3, v1
.LBB6_2829:                             ;   in Loop: Header=BB6_354 Depth=4
	s_or_b64 exec, exec, s[50:51]
.LBB6_2830:                             ;   in Loop: Header=BB6_354 Depth=4
	s_or_b64 exec, exec, s[48:49]
.LBB6_2831:                             ;   in Loop: Header=BB6_354 Depth=4
	s_or_b64 exec, exec, s[38:39]
	v_max_f32_e32 v1, v1, v1
	v_max_f32_e32 v0, v0, v0
	;; [unrolled: 1-line block ×3, first 2 shown]
	s_mov_b64 s[38:39], 0
.LBB6_2832:                             ;   in Loop: Header=BB6_354 Depth=4
	s_and_b64 vcc, exec, s[38:39]
	s_cbranch_vccz .LBB6_2846
; %bb.2833:                             ;   in Loop: Header=BB6_354 Depth=4
	v_mov_b32_e32 v1, 0
	v_mov_b32_e32 v0, 0
	s_and_saveexec_b64 s[38:39], s[40:41]
	s_cbranch_execz .LBB6_2839
; %bb.2834:                             ;   in Loop: Header=BB6_354 Depth=4
	v_cmp_ne_u16_sdwa vcc, v14, s82 src0_sel:BYTE_0 src1_sel:DWORD
	v_bfrev_b32_e32 v0, 1
	s_and_saveexec_b64 s[40:41], vcc
	s_cbranch_execz .LBB6_2838
; %bb.2835:                             ;   in Loop: Header=BB6_354 Depth=4
	v_and_b32_e32 v2, 0x7f, v14
	v_cmp_ne_u32_e32 vcc, s83, v2
	v_mov_b32_e32 v0, 0x7f800001
	s_and_saveexec_b64 s[48:49], vcc
	s_cbranch_execz .LBB6_2837
; %bb.2836:                             ;   in Loop: Header=BB6_354 Depth=4
	v_and_b32_e32 v0, 7, v14
	v_ffbh_u32_e32 v0, v0
	v_min_u32_e32 v0, 32, v0
	v_lshrrev_b32_e32 v3, 3, v2
	v_cmp_gt_u32_e32 vcc, 8, v2
	v_subrev_u32_e32 v2, 28, v0
	v_sub_u32_e32 v0, 29, v0
	v_cndmask_b32_e32 v2, 0, v2, vcc
	v_cndmask_b32_e32 v0, v3, v0, vcc
	v_lshlrev_b64 v[2:3], v2, v[14:15]
	v_lshlrev_b32_e32 v3, 24, v14
	v_lshlrev_b32_e32 v2, 20, v2
	v_bfrev_b32_e32 v5, 60
	v_and_b32_e32 v2, 0x700000, v2
	v_and_b32_e32 v3, 0x80000000, v3
	v_lshl_add_u32 v0, v0, 23, v5
	v_or3_b32 v0, v3, v0, v2
.LBB6_2837:                             ;   in Loop: Header=BB6_354 Depth=4
	s_or_b64 exec, exec, s[48:49]
.LBB6_2838:                             ;   in Loop: Header=BB6_354 Depth=4
	s_or_b64 exec, exec, s[40:41]
.LBB6_2839:                             ;   in Loop: Header=BB6_354 Depth=4
	s_or_b64 exec, exec, s[38:39]
	v_cmp_ne_u16_sdwa vcc, v10, v53 src0_sel:BYTE_0 src1_sel:DWORD
	s_and_saveexec_b64 s[40:41], vcc
	s_cbranch_execz .LBB6_2845
; %bb.2840:                             ;   in Loop: Header=BB6_354 Depth=4
	v_cmp_ne_u16_sdwa vcc, v10, s82 src0_sel:BYTE_0 src1_sel:DWORD
	v_bfrev_b32_e32 v1, 1
	s_and_saveexec_b64 s[38:39], vcc
	s_cbranch_execz .LBB6_2844
; %bb.2841:                             ;   in Loop: Header=BB6_354 Depth=4
	v_and_b32_e32 v2, 0x7f, v10
	v_cmp_ne_u32_e32 vcc, s83, v2
	v_mov_b32_e32 v1, 0x7f800001
	s_and_saveexec_b64 s[48:49], vcc
	s_cbranch_execz .LBB6_2843
; %bb.2842:                             ;   in Loop: Header=BB6_354 Depth=4
	v_and_b32_e32 v1, 7, v10
	v_ffbh_u32_e32 v1, v1
	v_min_u32_e32 v1, 32, v1
	v_lshrrev_b32_e32 v3, 3, v2
	v_cmp_gt_u32_e32 vcc, 8, v2
	v_subrev_u32_e32 v2, 28, v1
	v_sub_u32_e32 v1, 29, v1
	v_cndmask_b32_e32 v3, v3, v1, vcc
	v_cndmask_b32_e32 v1, 0, v2, vcc
	v_lshlrev_b64 v[1:2], v1, v[10:11]
	v_lshlrev_b32_e32 v2, 24, v10
	v_lshlrev_b32_e32 v1, 20, v1
	v_bfrev_b32_e32 v5, 60
	v_and_b32_e32 v1, 0x700000, v1
	v_and_b32_e32 v2, 0x80000000, v2
	v_lshl_add_u32 v3, v3, 23, v5
	v_or3_b32 v1, v2, v3, v1
.LBB6_2843:                             ;   in Loop: Header=BB6_354 Depth=4
	s_or_b64 exec, exec, s[48:49]
.LBB6_2844:                             ;   in Loop: Header=BB6_354 Depth=4
	s_or_b64 exec, exec, s[38:39]
.LBB6_2845:                             ;   in Loop: Header=BB6_354 Depth=4
	s_or_b64 exec, exec, s[40:41]
	v_max_f32_e32 v1, v1, v1
	v_max_f32_e32 v0, v0, v0
	v_min_f32_e32 v0, v0, v1
.LBB6_2846:                             ;   in Loop: Header=BB6_354 Depth=4
	v_and_b32_e32 v52, 0x7f800000, v0
	v_cmp_ne_u64_e32 vcc, s[76:77], v[52:53]
                                        ; implicit-def: $vgpr13
	s_and_saveexec_b64 s[40:41], vcc
	s_xor_b64 s[38:39], exec, s[40:41]
	s_cbranch_execz .LBB6_2860
; %bb.2847:                             ;   in Loop: Header=BB6_354 Depth=4
	v_and_b32_e32 v52, 0x7fffffff, v0
	v_cmp_gt_u64_e32 vcc, s[78:79], v[52:53]
	v_and_b32_sdwa v3, v0, s82 dst_sel:DWORD dst_unused:UNUSED_PAD src0_sel:BYTE_3 src1_sel:DWORD
                                        ; implicit-def: $vgpr13
	s_and_saveexec_b64 s[40:41], vcc
	s_xor_b64 s[48:49], exec, s[40:41]
	s_cbranch_execz .LBB6_2857
; %bb.2848:                             ;   in Loop: Header=BB6_354 Depth=4
	v_mov_b32_e32 v13, 0
	v_cmp_ne_u32_e32 vcc, 0, v0
	s_and_saveexec_b64 s[50:51], vcc
	s_cbranch_execz .LBB6_2856
; %bb.2849:                             ;   in Loop: Header=BB6_354 Depth=4
	v_bfe_u32 v5, v0, 23, 8
	v_and_b32_e32 v1, 0x7fffff, v0
	v_cmp_gt_u32_e64 s[40:41], s85, v5
	v_sub_u32_e32 v0, 0x79, v5
	v_cmp_eq_u32_e32 vcc, 0, v5
	v_cndmask_b32_e64 v0, 0, v0, s[40:41]
	v_mov_b32_e32 v8, 0x78
	v_cndmask_b32_e32 v8, v0, v8, vcc
	v_or_b32_e32 v2, 0x800000, v1
	v_add_u32_e32 v0, 20, v8
	v_cndmask_b32_e32 v52, v2, v1, vcc
	v_lshlrev_b64 v[0:1], v0, -1
	v_add_u32_e32 v2, 19, v8
	v_lshlrev_b64 v[50:51], v2, 1
	v_bfi_b32 v1, v1, 0, 0
	v_bfi_b32 v0, v0, 0, v52
	v_cmp_eq_u64_e64 s[40:41], v[0:1], v[50:51]
	v_lshrrev_b64 v[0:1], v8, v[52:53]
	v_mov_b32_e32 v2, v1
	v_mov_b32_e32 v1, v0
	s_and_saveexec_b64 s[52:53], s[40:41]
; %bb.2850:                             ;   in Loop: Header=BB6_354 Depth=4
	v_bfe_u32 v1, v0, 20, 1
	v_add_co_u32_e64 v1, s[40:41], v0, v1
	v_add_co_u32_e64 v1, s[40:41], -1, v1
; %bb.2851:                             ;   in Loop: Header=BB6_354 Depth=4
	s_or_b64 exec, exec, s[52:53]
	v_add_u32_e32 v2, 0xffffff81, v5
	v_mov_b32_e32 v5, 0xffffff82
	v_cndmask_b32_e32 v2, v2, v5, vcc
	v_lshrrev_b32_e32 v5, 23, v0
	v_add3_u32 v8, v8, v2, v5
	v_add_u32_e32 v5, 6, v8
	v_and_b32_e32 v1, 0xfffff, v1
	v_add_u32_e32 v52, v1, v0
	v_cmp_ne_u32_e32 vcc, 0, v5
                                        ; implicit-def: $vgpr0_vgpr1
                                        ; implicit-def: $vgpr2
	s_and_saveexec_b64 s[40:41], vcc
	s_xor_b64 s[40:41], exec, s[40:41]
; %bb.2852:                             ;   in Loop: Header=BB6_354 Depth=4
	v_cmp_lt_u64_e32 vcc, s[88:89], v[52:53]
	v_add_u32_e32 v0, 7, v8
	v_cndmask_b32_e32 v2, v5, v0, vcc
	v_cndmask_b32_e64 v0, 0, 1, vcc
	v_lshrrev_b64 v[0:1], v0, v[52:53]
; %bb.2853:                             ;   in Loop: Header=BB6_354 Depth=4
	s_andn2_saveexec_b64 s[40:41], s[40:41]
; %bb.2854:                             ;   in Loop: Header=BB6_354 Depth=4
	v_mov_b32_e32 v0, v52
	v_bfe_u32 v2, v52, 23, 1
	v_mov_b32_e32 v1, v53
; %bb.2855:                             ;   in Loop: Header=BB6_354 Depth=4
	s_or_b64 exec, exec, s[40:41]
	v_lshrrev_b64 v[0:1], 20, v[0:1]
	v_cmp_gt_i32_e32 vcc, 16, v2
	v_cndmask_b32_e32 v1, 0, v1, vcc
	v_cndmask_b32_e32 v0, 7, v0, vcc
	v_cmp_eq_u64_e64 s[40:41], 0, v[0:1]
	v_min_i32_e32 v1, 15, v2
	v_lshlrev_b32_e32 v1, 3, v1
	v_cmp_eq_u32_e32 vcc, 0, v2
	v_and_b32_e32 v1, 0xf8, v1
	v_and_or_b32 v0, v0, 7, v1
	s_and_b64 s[40:41], vcc, s[40:41]
	v_cndmask_b32_e64 v0, v0, 0, s[40:41]
	v_or_b32_e32 v13, v0, v3
.LBB6_2856:                             ;   in Loop: Header=BB6_354 Depth=4
	s_or_b64 exec, exec, s[50:51]
                                        ; implicit-def: $vgpr3
.LBB6_2857:                             ;   in Loop: Header=BB6_354 Depth=4
	s_andn2_saveexec_b64 s[40:41], s[48:49]
; %bb.2858:                             ;   in Loop: Header=BB6_354 Depth=4
	v_or_b32_e32 v13, 0x7e, v3
; %bb.2859:                             ;   in Loop: Header=BB6_354 Depth=4
	s_or_b64 exec, exec, s[40:41]
                                        ; implicit-def: $vgpr0
.LBB6_2860:                             ;   in Loop: Header=BB6_354 Depth=4
	s_andn2_saveexec_b64 s[40:41], s[38:39]
; %bb.2861:                             ;   in Loop: Header=BB6_354 Depth=4
	v_or_b32_sdwa v13, v0, s83 dst_sel:DWORD dst_unused:UNUSED_PAD src0_sel:BYTE_3 src1_sel:DWORD
; %bb.2862:                             ;   in Loop: Header=BB6_354 Depth=4
	s_or_b64 exec, exec, s[40:41]
	v_lshrrev_b16_e32 v2, 8, v14
	v_lshrrev_b16_e32 v0, 8, v10
	v_cmp_ne_u16_e64 s[40:41], 0, v2
	s_and_b64 vcc, exec, s[28:29]
	s_mov_b64 s[38:39], -1
                                        ; implicit-def: $vgpr1
	s_cbranch_vccnz .LBB6_2876
; %bb.2863:                             ;   in Loop: Header=BB6_354 Depth=4
	v_mov_b32_e32 v3, 0
	v_mov_b32_e32 v1, 0
	s_and_saveexec_b64 s[38:39], s[40:41]
	s_cbranch_execz .LBB6_2869
; %bb.2864:                             ;   in Loop: Header=BB6_354 Depth=4
	v_cmp_ne_u16_e32 vcc, s82, v2
	v_bfrev_b32_e32 v1, 1
	s_and_saveexec_b64 s[48:49], vcc
	s_cbranch_execz .LBB6_2868
; %bb.2865:                             ;   in Loop: Header=BB6_354 Depth=4
	v_and_b32_e32 v5, 0x7f, v2
	v_cmp_ne_u32_e32 vcc, s83, v5
	v_mov_b32_e32 v1, 0x7f800001
	s_and_saveexec_b64 s[50:51], vcc
	s_cbranch_execz .LBB6_2867
; %bb.2866:                             ;   in Loop: Header=BB6_354 Depth=4
	v_and_b32_e32 v1, 7, v2
	v_lshrrev_b32_e32 v28, 3, v5
	v_cmp_gt_u32_e32 vcc, 8, v5
	v_ffbh_u32_e32 v5, v1
	v_min_u32_e32 v5, 32, v5
	v_subrev_u32_e32 v8, 28, v5
	v_lshlrev_b64 v[8:9], v8, v[2:3]
	v_sub_u32_e32 v5, 29, v5
	v_and_b32_e32 v8, 7, v8
	v_cndmask_b32_e32 v5, v28, v5, vcc
	v_cndmask_b32_e32 v1, v1, v8, vcc
	v_lshlrev_b32_e32 v8, 16, v14
	v_bfrev_b32_e32 v9, 60
	v_lshlrev_b32_e32 v1, 20, v1
	v_and_b32_e32 v8, 0x80000000, v8
	v_lshl_add_u32 v5, v5, 23, v9
	v_or3_b32 v1, v8, v5, v1
.LBB6_2867:                             ;   in Loop: Header=BB6_354 Depth=4
	s_or_b64 exec, exec, s[50:51]
.LBB6_2868:                             ;   in Loop: Header=BB6_354 Depth=4
	s_or_b64 exec, exec, s[48:49]
.LBB6_2869:                             ;   in Loop: Header=BB6_354 Depth=4
	s_or_b64 exec, exec, s[38:39]
	v_cmp_ne_u16_e32 vcc, 0, v0
	s_and_saveexec_b64 s[38:39], vcc
	s_cbranch_execz .LBB6_2875
; %bb.2870:                             ;   in Loop: Header=BB6_354 Depth=4
	v_cmp_ne_u16_e32 vcc, s82, v0
	v_bfrev_b32_e32 v3, 1
	s_and_saveexec_b64 s[48:49], vcc
	s_cbranch_execz .LBB6_2874
; %bb.2871:                             ;   in Loop: Header=BB6_354 Depth=4
	v_and_b32_e32 v5, 0x7f, v0
	v_cmp_ne_u32_e32 vcc, s83, v5
	v_mov_b32_e32 v3, 0x7f800001
	s_and_saveexec_b64 s[50:51], vcc
	s_cbranch_execz .LBB6_2873
; %bb.2872:                             ;   in Loop: Header=BB6_354 Depth=4
	v_and_b32_e32 v3, 7, v0
	v_lshrrev_b32_e32 v28, 3, v5
	v_cmp_gt_u32_e32 vcc, 8, v5
	v_ffbh_u32_e32 v5, v3
	v_min_u32_e32 v5, 32, v5
	v_subrev_u32_e32 v8, 28, v5
	v_lshlrev_b64 v[8:9], v8, v[0:1]
	v_sub_u32_e32 v5, 29, v5
	v_and_b32_e32 v8, 7, v8
	v_cndmask_b32_e32 v5, v28, v5, vcc
	v_cndmask_b32_e32 v3, v3, v8, vcc
	v_lshlrev_b32_e32 v8, 16, v10
	v_bfrev_b32_e32 v9, 60
	v_lshlrev_b32_e32 v3, 20, v3
	v_and_b32_e32 v8, 0x80000000, v8
	v_lshl_add_u32 v5, v5, 23, v9
	v_or3_b32 v3, v8, v5, v3
.LBB6_2873:                             ;   in Loop: Header=BB6_354 Depth=4
	s_or_b64 exec, exec, s[50:51]
.LBB6_2874:                             ;   in Loop: Header=BB6_354 Depth=4
	s_or_b64 exec, exec, s[48:49]
.LBB6_2875:                             ;   in Loop: Header=BB6_354 Depth=4
	s_or_b64 exec, exec, s[38:39]
	v_max_f32_e32 v3, v3, v3
	v_max_f32_e32 v1, v1, v1
	;; [unrolled: 1-line block ×3, first 2 shown]
	s_mov_b64 s[38:39], 0
.LBB6_2876:                             ;   in Loop: Header=BB6_354 Depth=4
	s_and_b64 vcc, exec, s[38:39]
	s_cbranch_vccz .LBB6_2890
; %bb.2877:                             ;   in Loop: Header=BB6_354 Depth=4
	v_mov_b32_e32 v3, 0
	v_mov_b32_e32 v1, 0
	s_and_saveexec_b64 s[38:39], s[40:41]
	s_cbranch_execz .LBB6_2883
; %bb.2878:                             ;   in Loop: Header=BB6_354 Depth=4
	v_cmp_ne_u16_e32 vcc, s82, v2
	v_bfrev_b32_e32 v1, 1
	s_and_saveexec_b64 s[40:41], vcc
	s_cbranch_execz .LBB6_2882
; %bb.2879:                             ;   in Loop: Header=BB6_354 Depth=4
	v_and_b32_e32 v5, 0x7f, v2
	v_cmp_ne_u32_e32 vcc, s83, v5
	v_mov_b32_e32 v1, 0x7f800001
	s_and_saveexec_b64 s[48:49], vcc
	s_cbranch_execz .LBB6_2881
; %bb.2880:                             ;   in Loop: Header=BB6_354 Depth=4
	v_and_b32_e32 v8, 7, v2
	v_ffbh_u32_e32 v1, v8
	v_lshrrev_b32_e32 v9, 3, v5
	v_cmp_gt_u32_e32 vcc, 8, v5
	v_min_u32_e32 v5, 32, v1
	v_subrev_u32_e32 v1, 28, v5
	v_lshlrev_b64 v[1:2], v1, v[2:3]
	v_sub_u32_e32 v2, 29, v5
	v_and_b32_e32 v1, 7, v1
	v_cndmask_b32_e32 v2, v9, v2, vcc
	v_cndmask_b32_e32 v1, v8, v1, vcc
	v_lshlrev_b32_e32 v5, 16, v14
	v_bfrev_b32_e32 v8, 60
	v_lshlrev_b32_e32 v1, 20, v1
	v_and_b32_e32 v5, 0x80000000, v5
	v_lshl_add_u32 v2, v2, 23, v8
	v_or3_b32 v1, v5, v2, v1
.LBB6_2881:                             ;   in Loop: Header=BB6_354 Depth=4
	s_or_b64 exec, exec, s[48:49]
.LBB6_2882:                             ;   in Loop: Header=BB6_354 Depth=4
	s_or_b64 exec, exec, s[40:41]
.LBB6_2883:                             ;   in Loop: Header=BB6_354 Depth=4
	s_or_b64 exec, exec, s[38:39]
	v_cmp_ne_u16_e32 vcc, 0, v0
	s_and_saveexec_b64 s[40:41], vcc
	s_cbranch_execz .LBB6_2889
; %bb.2884:                             ;   in Loop: Header=BB6_354 Depth=4
	v_cmp_ne_u16_e32 vcc, s82, v0
	v_bfrev_b32_e32 v3, 1
	s_and_saveexec_b64 s[38:39], vcc
	s_cbranch_execz .LBB6_2888
; %bb.2885:                             ;   in Loop: Header=BB6_354 Depth=4
	v_and_b32_e32 v2, 0x7f, v0
	v_cmp_ne_u32_e32 vcc, s83, v2
	v_mov_b32_e32 v3, 0x7f800001
	s_and_saveexec_b64 s[48:49], vcc
	s_cbranch_execz .LBB6_2887
; %bb.2886:                             ;   in Loop: Header=BB6_354 Depth=4
	v_and_b32_e32 v5, 7, v0
	v_lshrrev_b32_e32 v8, 3, v2
	v_cmp_gt_u32_e32 vcc, 8, v2
	v_ffbh_u32_e32 v2, v5
	v_min_u32_e32 v9, 32, v2
	v_subrev_u32_e32 v2, 28, v9
	v_lshlrev_b64 v[2:3], v2, v[0:1]
	v_sub_u32_e32 v0, 29, v9
	v_and_b32_e32 v2, 7, v2
	v_cndmask_b32_e32 v0, v8, v0, vcc
	v_cndmask_b32_e32 v2, v5, v2, vcc
	v_lshlrev_b32_e32 v3, 16, v10
	v_bfrev_b32_e32 v5, 60
	v_lshlrev_b32_e32 v2, 20, v2
	v_and_b32_e32 v3, 0x80000000, v3
	v_lshl_add_u32 v0, v0, 23, v5
	v_or3_b32 v3, v3, v0, v2
.LBB6_2887:                             ;   in Loop: Header=BB6_354 Depth=4
	s_or_b64 exec, exec, s[48:49]
.LBB6_2888:                             ;   in Loop: Header=BB6_354 Depth=4
	s_or_b64 exec, exec, s[38:39]
.LBB6_2889:                             ;   in Loop: Header=BB6_354 Depth=4
	s_or_b64 exec, exec, s[40:41]
	v_max_f32_e32 v0, v3, v3
	v_max_f32_e32 v1, v1, v1
	v_min_f32_e32 v1, v1, v0
.LBB6_2890:                             ;   in Loop: Header=BB6_354 Depth=4
	v_and_b32_e32 v52, 0x7f800000, v1
	v_cmp_ne_u64_e32 vcc, s[76:77], v[52:53]
                                        ; implicit-def: $vgpr60
	s_and_saveexec_b64 s[40:41], vcc
	s_xor_b64 s[38:39], exec, s[40:41]
	s_cbranch_execz .LBB6_2904
; %bb.2891:                             ;   in Loop: Header=BB6_354 Depth=4
	v_and_b32_e32 v52, 0x7fffffff, v1
	v_cmp_gt_u64_e32 vcc, s[78:79], v[52:53]
	v_and_b32_sdwa v3, v1, s82 dst_sel:DWORD dst_unused:UNUSED_PAD src0_sel:BYTE_3 src1_sel:DWORD
                                        ; implicit-def: $vgpr60
	s_and_saveexec_b64 s[40:41], vcc
	s_xor_b64 s[48:49], exec, s[40:41]
	s_cbranch_execz .LBB6_2901
; %bb.2892:                             ;   in Loop: Header=BB6_354 Depth=4
	v_mov_b32_e32 v60, 0
	v_cmp_ne_u32_e32 vcc, 0, v1
	s_and_saveexec_b64 s[50:51], vcc
	s_cbranch_execz .LBB6_2900
; %bb.2893:                             ;   in Loop: Header=BB6_354 Depth=4
	v_bfe_u32 v5, v1, 23, 8
	v_and_b32_e32 v0, 0x7fffff, v1
	v_cmp_gt_u32_e64 s[40:41], s85, v5
	v_sub_u32_e32 v1, 0x79, v5
	v_cmp_eq_u32_e32 vcc, 0, v5
	v_cndmask_b32_e64 v1, 0, v1, s[40:41]
	v_mov_b32_e32 v8, 0x78
	v_or_b32_e32 v2, 0x800000, v0
	v_cndmask_b32_e32 v8, v1, v8, vcc
	v_cndmask_b32_e32 v52, v2, v0, vcc
	v_add_u32_e32 v0, 20, v8
	v_lshlrev_b64 v[0:1], v0, -1
	v_add_u32_e32 v2, 19, v8
	v_lshlrev_b64 v[50:51], v2, 1
	v_bfi_b32 v1, v1, 0, 0
	v_bfi_b32 v0, v0, 0, v52
	v_cmp_eq_u64_e64 s[40:41], v[0:1], v[50:51]
	v_lshrrev_b64 v[0:1], v8, v[52:53]
	v_mov_b32_e32 v2, v1
	v_mov_b32_e32 v1, v0
	s_and_saveexec_b64 s[52:53], s[40:41]
; %bb.2894:                             ;   in Loop: Header=BB6_354 Depth=4
	v_bfe_u32 v1, v0, 20, 1
	v_add_co_u32_e64 v1, s[40:41], v0, v1
	v_add_co_u32_e64 v1, s[40:41], -1, v1
; %bb.2895:                             ;   in Loop: Header=BB6_354 Depth=4
	s_or_b64 exec, exec, s[52:53]
	v_add_u32_e32 v2, 0xffffff81, v5
	v_mov_b32_e32 v5, 0xffffff82
	v_cndmask_b32_e32 v2, v2, v5, vcc
	v_lshrrev_b32_e32 v5, 23, v0
	v_add3_u32 v8, v8, v2, v5
	v_add_u32_e32 v5, 6, v8
	v_and_b32_e32 v1, 0xfffff, v1
	v_add_u32_e32 v52, v1, v0
	v_cmp_ne_u32_e32 vcc, 0, v5
                                        ; implicit-def: $vgpr0_vgpr1
                                        ; implicit-def: $vgpr2
	s_and_saveexec_b64 s[40:41], vcc
	s_xor_b64 s[40:41], exec, s[40:41]
; %bb.2896:                             ;   in Loop: Header=BB6_354 Depth=4
	v_cmp_lt_u64_e32 vcc, s[88:89], v[52:53]
	v_add_u32_e32 v0, 7, v8
	v_cndmask_b32_e32 v2, v5, v0, vcc
	v_cndmask_b32_e64 v0, 0, 1, vcc
	v_lshrrev_b64 v[0:1], v0, v[52:53]
; %bb.2897:                             ;   in Loop: Header=BB6_354 Depth=4
	s_andn2_saveexec_b64 s[40:41], s[40:41]
; %bb.2898:                             ;   in Loop: Header=BB6_354 Depth=4
	v_mov_b32_e32 v0, v52
	v_bfe_u32 v2, v52, 23, 1
	v_mov_b32_e32 v1, v53
; %bb.2899:                             ;   in Loop: Header=BB6_354 Depth=4
	s_or_b64 exec, exec, s[40:41]
	v_lshrrev_b64 v[0:1], 20, v[0:1]
	v_cmp_gt_i32_e32 vcc, 16, v2
	v_cndmask_b32_e32 v1, 0, v1, vcc
	v_cndmask_b32_e32 v0, 7, v0, vcc
	v_cmp_eq_u64_e64 s[40:41], 0, v[0:1]
	v_min_i32_e32 v1, 15, v2
	v_lshlrev_b32_e32 v1, 3, v1
	v_cmp_eq_u32_e32 vcc, 0, v2
	v_and_b32_e32 v1, 0xf8, v1
	v_and_or_b32 v0, v0, 7, v1
	s_and_b64 s[40:41], vcc, s[40:41]
	v_cndmask_b32_e64 v0, v0, 0, s[40:41]
	v_or_b32_e32 v60, v0, v3
.LBB6_2900:                             ;   in Loop: Header=BB6_354 Depth=4
	s_or_b64 exec, exec, s[50:51]
                                        ; implicit-def: $vgpr3
.LBB6_2901:                             ;   in Loop: Header=BB6_354 Depth=4
	s_andn2_saveexec_b64 s[40:41], s[48:49]
; %bb.2902:                             ;   in Loop: Header=BB6_354 Depth=4
	v_or_b32_e32 v60, 0x7e, v3
; %bb.2903:                             ;   in Loop: Header=BB6_354 Depth=4
	s_or_b64 exec, exec, s[40:41]
                                        ; implicit-def: $vgpr1
.LBB6_2904:                             ;   in Loop: Header=BB6_354 Depth=4
	s_andn2_saveexec_b64 s[40:41], s[38:39]
; %bb.2905:                             ;   in Loop: Header=BB6_354 Depth=4
	v_or_b32_sdwa v60, v1, s83 dst_sel:DWORD dst_unused:UNUSED_PAD src0_sel:BYTE_3 src1_sel:DWORD
; %bb.2906:                             ;   in Loop: Header=BB6_354 Depth=4
	s_or_b64 exec, exec, s[40:41]
	v_lshrrev_b32_e32 v2, 16, v14
	v_lshrrev_b32_e32 v0, 16, v10
	v_cmp_ne_u16_sdwa s[40:41], v2, v53 src0_sel:BYTE_0 src1_sel:DWORD
	s_and_b64 vcc, exec, s[28:29]
	s_mov_b64 s[38:39], -1
                                        ; implicit-def: $vgpr1
	s_cbranch_vccnz .LBB6_2920
; %bb.2907:                             ;   in Loop: Header=BB6_354 Depth=4
	v_mov_b32_e32 v3, 0
	v_mov_b32_e32 v1, 0
	s_and_saveexec_b64 s[38:39], s[40:41]
	s_cbranch_execz .LBB6_2913
; %bb.2908:                             ;   in Loop: Header=BB6_354 Depth=4
	v_cmp_ne_u16_sdwa vcc, v2, s82 src0_sel:BYTE_0 src1_sel:DWORD
	v_bfrev_b32_e32 v1, 1
	s_and_saveexec_b64 s[48:49], vcc
	s_cbranch_execz .LBB6_2912
; %bb.2909:                             ;   in Loop: Header=BB6_354 Depth=4
	v_bfe_u32 v5, v14, 16, 7
	v_cmp_ne_u32_e32 vcc, s83, v5
	v_mov_b32_e32 v1, 0x7f800001
	s_and_saveexec_b64 s[50:51], vcc
	s_cbranch_execz .LBB6_2911
; %bb.2910:                             ;   in Loop: Header=BB6_354 Depth=4
	v_and_b32_e32 v1, 7, v2
	v_lshrrev_b32_e32 v28, 3, v5
	v_cmp_gt_u32_e32 vcc, 8, v5
	v_ffbh_u32_e32 v5, v1
	v_min_u32_e32 v5, 32, v5
	v_subrev_u32_e32 v8, 28, v5
	v_lshlrev_b64 v[8:9], v8, v[2:3]
	v_sub_u32_e32 v5, 29, v5
	v_and_b32_e32 v8, 7, v8
	v_cndmask_b32_e32 v5, v28, v5, vcc
	v_cndmask_b32_e32 v1, v1, v8, vcc
	v_lshlrev_b32_e32 v8, 24, v2
	v_bfrev_b32_e32 v9, 60
	v_lshlrev_b32_e32 v1, 20, v1
	v_and_b32_e32 v8, 0x80000000, v8
	v_lshl_add_u32 v5, v5, 23, v9
	v_or3_b32 v1, v8, v5, v1
.LBB6_2911:                             ;   in Loop: Header=BB6_354 Depth=4
	s_or_b64 exec, exec, s[50:51]
.LBB6_2912:                             ;   in Loop: Header=BB6_354 Depth=4
	s_or_b64 exec, exec, s[48:49]
.LBB6_2913:                             ;   in Loop: Header=BB6_354 Depth=4
	s_or_b64 exec, exec, s[38:39]
	v_cmp_ne_u16_sdwa vcc, v0, v53 src0_sel:BYTE_0 src1_sel:DWORD
	s_and_saveexec_b64 s[38:39], vcc
	s_cbranch_execz .LBB6_2919
; %bb.2914:                             ;   in Loop: Header=BB6_354 Depth=4
	v_cmp_ne_u16_sdwa vcc, v0, s82 src0_sel:BYTE_0 src1_sel:DWORD
	v_bfrev_b32_e32 v3, 1
	s_and_saveexec_b64 s[48:49], vcc
	s_cbranch_execz .LBB6_2918
; %bb.2915:                             ;   in Loop: Header=BB6_354 Depth=4
	v_bfe_u32 v5, v10, 16, 7
	v_cmp_ne_u32_e32 vcc, s83, v5
	v_mov_b32_e32 v3, 0x7f800001
	s_and_saveexec_b64 s[50:51], vcc
	s_cbranch_execz .LBB6_2917
; %bb.2916:                             ;   in Loop: Header=BB6_354 Depth=4
	v_and_b32_e32 v3, 7, v0
	v_lshrrev_b32_e32 v28, 3, v5
	v_cmp_gt_u32_e32 vcc, 8, v5
	v_ffbh_u32_e32 v5, v3
	v_min_u32_e32 v5, 32, v5
	v_subrev_u32_e32 v8, 28, v5
	v_lshlrev_b64 v[8:9], v8, v[0:1]
	v_sub_u32_e32 v5, 29, v5
	v_and_b32_e32 v8, 7, v8
	v_cndmask_b32_e32 v5, v28, v5, vcc
	v_cndmask_b32_e32 v3, v3, v8, vcc
	v_lshlrev_b32_e32 v8, 24, v0
	v_bfrev_b32_e32 v9, 60
	v_lshlrev_b32_e32 v3, 20, v3
	v_and_b32_e32 v8, 0x80000000, v8
	v_lshl_add_u32 v5, v5, 23, v9
	v_or3_b32 v3, v8, v5, v3
.LBB6_2917:                             ;   in Loop: Header=BB6_354 Depth=4
	s_or_b64 exec, exec, s[50:51]
.LBB6_2918:                             ;   in Loop: Header=BB6_354 Depth=4
	s_or_b64 exec, exec, s[48:49]
.LBB6_2919:                             ;   in Loop: Header=BB6_354 Depth=4
	s_or_b64 exec, exec, s[38:39]
	v_max_f32_e32 v3, v3, v3
	v_max_f32_e32 v1, v1, v1
	;; [unrolled: 1-line block ×3, first 2 shown]
	s_mov_b64 s[38:39], 0
.LBB6_2920:                             ;   in Loop: Header=BB6_354 Depth=4
	s_and_b64 vcc, exec, s[38:39]
	s_cbranch_vccz .LBB6_2934
; %bb.2921:                             ;   in Loop: Header=BB6_354 Depth=4
	v_mov_b32_e32 v3, 0
	v_mov_b32_e32 v1, 0
	s_and_saveexec_b64 s[38:39], s[40:41]
	s_cbranch_execz .LBB6_2927
; %bb.2922:                             ;   in Loop: Header=BB6_354 Depth=4
	v_cmp_ne_u16_sdwa vcc, v2, s82 src0_sel:BYTE_0 src1_sel:DWORD
	v_bfrev_b32_e32 v1, 1
	s_and_saveexec_b64 s[40:41], vcc
	s_cbranch_execz .LBB6_2926
; %bb.2923:                             ;   in Loop: Header=BB6_354 Depth=4
	v_bfe_u32 v5, v14, 16, 7
	v_cmp_ne_u32_e32 vcc, s83, v5
	v_mov_b32_e32 v1, 0x7f800001
	s_and_saveexec_b64 s[48:49], vcc
	s_cbranch_execz .LBB6_2925
; %bb.2924:                             ;   in Loop: Header=BB6_354 Depth=4
	v_and_b32_e32 v1, 7, v2
	v_lshrrev_b32_e32 v28, 3, v5
	v_cmp_gt_u32_e32 vcc, 8, v5
	v_ffbh_u32_e32 v5, v1
	v_min_u32_e32 v5, 32, v5
	v_subrev_u32_e32 v8, 28, v5
	v_lshlrev_b64 v[8:9], v8, v[2:3]
	v_sub_u32_e32 v5, 29, v5
	v_and_b32_e32 v8, 7, v8
	v_cndmask_b32_e32 v5, v28, v5, vcc
	v_cndmask_b32_e32 v1, v1, v8, vcc
	v_lshlrev_b32_e32 v2, 24, v2
	v_bfrev_b32_e32 v8, 60
	v_lshlrev_b32_e32 v1, 20, v1
	v_and_b32_e32 v2, 0x80000000, v2
	v_lshl_add_u32 v5, v5, 23, v8
	v_or3_b32 v1, v2, v5, v1
.LBB6_2925:                             ;   in Loop: Header=BB6_354 Depth=4
	s_or_b64 exec, exec, s[48:49]
.LBB6_2926:                             ;   in Loop: Header=BB6_354 Depth=4
	s_or_b64 exec, exec, s[40:41]
.LBB6_2927:                             ;   in Loop: Header=BB6_354 Depth=4
	s_or_b64 exec, exec, s[38:39]
	v_cmp_ne_u16_sdwa vcc, v0, v53 src0_sel:BYTE_0 src1_sel:DWORD
	s_and_saveexec_b64 s[40:41], vcc
	s_cbranch_execz .LBB6_2933
; %bb.2928:                             ;   in Loop: Header=BB6_354 Depth=4
	v_cmp_ne_u16_sdwa vcc, v0, s82 src0_sel:BYTE_0 src1_sel:DWORD
	v_bfrev_b32_e32 v3, 1
	s_and_saveexec_b64 s[38:39], vcc
	s_cbranch_execz .LBB6_2932
; %bb.2929:                             ;   in Loop: Header=BB6_354 Depth=4
	v_bfe_u32 v2, v10, 16, 7
	v_cmp_ne_u32_e32 vcc, s83, v2
	v_mov_b32_e32 v3, 0x7f800001
	s_and_saveexec_b64 s[48:49], vcc
	s_cbranch_execz .LBB6_2931
; %bb.2930:                             ;   in Loop: Header=BB6_354 Depth=4
	v_and_b32_e32 v5, 7, v0
	v_lshrrev_b32_e32 v8, 3, v2
	v_cmp_gt_u32_e32 vcc, 8, v2
	v_ffbh_u32_e32 v2, v5
	v_min_u32_e32 v9, 32, v2
	v_subrev_u32_e32 v2, 28, v9
	v_lshlrev_b64 v[2:3], v2, v[0:1]
	v_sub_u32_e32 v3, 29, v9
	v_and_b32_e32 v2, 7, v2
	v_cndmask_b32_e32 v3, v8, v3, vcc
	v_cndmask_b32_e32 v2, v5, v2, vcc
	v_lshlrev_b32_e32 v0, 24, v0
	v_bfrev_b32_e32 v5, 60
	v_lshlrev_b32_e32 v2, 20, v2
	v_and_b32_e32 v0, 0x80000000, v0
	v_lshl_add_u32 v3, v3, 23, v5
	v_or3_b32 v3, v0, v3, v2
.LBB6_2931:                             ;   in Loop: Header=BB6_354 Depth=4
	s_or_b64 exec, exec, s[48:49]
.LBB6_2932:                             ;   in Loop: Header=BB6_354 Depth=4
	s_or_b64 exec, exec, s[38:39]
.LBB6_2933:                             ;   in Loop: Header=BB6_354 Depth=4
	s_or_b64 exec, exec, s[40:41]
	v_max_f32_e32 v0, v3, v3
	v_max_f32_e32 v1, v1, v1
	v_min_f32_e32 v1, v1, v0
.LBB6_2934:                             ;   in Loop: Header=BB6_354 Depth=4
	v_and_b32_e32 v52, 0x7f800000, v1
	v_cmp_ne_u64_e32 vcc, s[76:77], v[52:53]
                                        ; implicit-def: $vgpr39
	s_and_saveexec_b64 s[40:41], vcc
	s_xor_b64 s[38:39], exec, s[40:41]
	s_cbranch_execz .LBB6_2948
; %bb.2935:                             ;   in Loop: Header=BB6_354 Depth=4
	v_and_b32_e32 v52, 0x7fffffff, v1
	v_cmp_gt_u64_e32 vcc, s[78:79], v[52:53]
	v_and_b32_sdwa v3, v1, s82 dst_sel:DWORD dst_unused:UNUSED_PAD src0_sel:BYTE_3 src1_sel:DWORD
                                        ; implicit-def: $vgpr39
	s_and_saveexec_b64 s[40:41], vcc
	s_xor_b64 s[48:49], exec, s[40:41]
	s_cbranch_execz .LBB6_2945
; %bb.2936:                             ;   in Loop: Header=BB6_354 Depth=4
	v_mov_b32_e32 v39, 0
	v_cmp_ne_u32_e32 vcc, 0, v1
	s_and_saveexec_b64 s[50:51], vcc
	s_cbranch_execz .LBB6_2944
; %bb.2937:                             ;   in Loop: Header=BB6_354 Depth=4
	v_bfe_u32 v5, v1, 23, 8
	v_and_b32_e32 v0, 0x7fffff, v1
	v_cmp_gt_u32_e64 s[40:41], s85, v5
	v_sub_u32_e32 v1, 0x79, v5
	v_cmp_eq_u32_e32 vcc, 0, v5
	v_cndmask_b32_e64 v1, 0, v1, s[40:41]
	v_mov_b32_e32 v8, 0x78
	v_or_b32_e32 v2, 0x800000, v0
	v_cndmask_b32_e32 v8, v1, v8, vcc
	v_cndmask_b32_e32 v52, v2, v0, vcc
	v_add_u32_e32 v0, 20, v8
	v_lshlrev_b64 v[0:1], v0, -1
	v_add_u32_e32 v2, 19, v8
	v_lshlrev_b64 v[50:51], v2, 1
	v_bfi_b32 v1, v1, 0, 0
	v_bfi_b32 v0, v0, 0, v52
	v_cmp_eq_u64_e64 s[40:41], v[0:1], v[50:51]
	v_lshrrev_b64 v[0:1], v8, v[52:53]
	v_mov_b32_e32 v2, v1
	v_mov_b32_e32 v1, v0
	s_and_saveexec_b64 s[52:53], s[40:41]
; %bb.2938:                             ;   in Loop: Header=BB6_354 Depth=4
	v_bfe_u32 v1, v0, 20, 1
	v_add_co_u32_e64 v1, s[40:41], v0, v1
	v_add_co_u32_e64 v1, s[40:41], -1, v1
; %bb.2939:                             ;   in Loop: Header=BB6_354 Depth=4
	s_or_b64 exec, exec, s[52:53]
	v_add_u32_e32 v2, 0xffffff81, v5
	v_mov_b32_e32 v5, 0xffffff82
	v_cndmask_b32_e32 v2, v2, v5, vcc
	v_lshrrev_b32_e32 v5, 23, v0
	v_add3_u32 v8, v8, v2, v5
	v_add_u32_e32 v5, 6, v8
	v_and_b32_e32 v1, 0xfffff, v1
	v_add_u32_e32 v52, v1, v0
	v_cmp_ne_u32_e32 vcc, 0, v5
                                        ; implicit-def: $vgpr0_vgpr1
                                        ; implicit-def: $vgpr2
	s_and_saveexec_b64 s[40:41], vcc
	s_xor_b64 s[40:41], exec, s[40:41]
; %bb.2940:                             ;   in Loop: Header=BB6_354 Depth=4
	v_cmp_lt_u64_e32 vcc, s[88:89], v[52:53]
	v_add_u32_e32 v0, 7, v8
	v_cndmask_b32_e32 v2, v5, v0, vcc
	v_cndmask_b32_e64 v0, 0, 1, vcc
	v_lshrrev_b64 v[0:1], v0, v[52:53]
; %bb.2941:                             ;   in Loop: Header=BB6_354 Depth=4
	s_andn2_saveexec_b64 s[40:41], s[40:41]
; %bb.2942:                             ;   in Loop: Header=BB6_354 Depth=4
	v_mov_b32_e32 v0, v52
	v_bfe_u32 v2, v52, 23, 1
	v_mov_b32_e32 v1, v53
; %bb.2943:                             ;   in Loop: Header=BB6_354 Depth=4
	s_or_b64 exec, exec, s[40:41]
	v_lshrrev_b64 v[0:1], 20, v[0:1]
	v_cmp_gt_i32_e32 vcc, 16, v2
	v_cndmask_b32_e32 v1, 0, v1, vcc
	v_cndmask_b32_e32 v0, 7, v0, vcc
	v_cmp_eq_u64_e64 s[40:41], 0, v[0:1]
	v_min_i32_e32 v1, 15, v2
	v_lshlrev_b32_e32 v1, 3, v1
	v_cmp_eq_u32_e32 vcc, 0, v2
	v_and_b32_e32 v1, 0xf8, v1
	v_and_or_b32 v0, v0, 7, v1
	s_and_b64 s[40:41], vcc, s[40:41]
	v_cndmask_b32_e64 v0, v0, 0, s[40:41]
	v_or_b32_e32 v39, v0, v3
.LBB6_2944:                             ;   in Loop: Header=BB6_354 Depth=4
	s_or_b64 exec, exec, s[50:51]
                                        ; implicit-def: $vgpr3
.LBB6_2945:                             ;   in Loop: Header=BB6_354 Depth=4
	s_andn2_saveexec_b64 s[40:41], s[48:49]
; %bb.2946:                             ;   in Loop: Header=BB6_354 Depth=4
	v_or_b32_e32 v39, 0x7e, v3
; %bb.2947:                             ;   in Loop: Header=BB6_354 Depth=4
	s_or_b64 exec, exec, s[40:41]
                                        ; implicit-def: $vgpr1
.LBB6_2948:                             ;   in Loop: Header=BB6_354 Depth=4
	s_andn2_saveexec_b64 s[40:41], s[38:39]
; %bb.2949:                             ;   in Loop: Header=BB6_354 Depth=4
	v_or_b32_sdwa v39, v1, s83 dst_sel:DWORD dst_unused:UNUSED_PAD src0_sel:BYTE_3 src1_sel:DWORD
; %bb.2950:                             ;   in Loop: Header=BB6_354 Depth=4
	s_or_b64 exec, exec, s[40:41]
	v_lshrrev_b32_e32 v2, 24, v14
	v_lshrrev_b32_e32 v0, 24, v10
	v_cmp_lt_u32_e64 s[40:41], s63, v14
	s_and_b64 vcc, exec, s[28:29]
	s_mov_b64 s[38:39], -1
                                        ; implicit-def: $vgpr1
	s_cbranch_vccnz .LBB6_2964
; %bb.2951:                             ;   in Loop: Header=BB6_354 Depth=4
	v_mov_b32_e32 v3, 0
	v_mov_b32_e32 v1, 0
	s_and_saveexec_b64 s[38:39], s[40:41]
	s_cbranch_execz .LBB6_2957
; %bb.2952:                             ;   in Loop: Header=BB6_354 Depth=4
	v_cmp_ne_u32_e32 vcc, s82, v2
	v_bfrev_b32_e32 v1, 1
	s_and_saveexec_b64 s[48:49], vcc
	s_cbranch_execz .LBB6_2956
; %bb.2953:                             ;   in Loop: Header=BB6_354 Depth=4
	v_bfe_u32 v5, v14, 24, 7
	v_cmp_ne_u32_e32 vcc, s83, v5
	v_mov_b32_e32 v1, 0x7f800001
	s_and_saveexec_b64 s[50:51], vcc
	s_cbranch_execz .LBB6_2955
; %bb.2954:                             ;   in Loop: Header=BB6_354 Depth=4
	v_and_b32_e32 v1, 7, v2
	v_lshrrev_b32_e32 v28, 3, v5
	v_cmp_gt_u32_e32 vcc, 8, v5
	v_ffbh_u32_e32 v5, v1
	v_min_u32_e32 v5, 32, v5
	v_subrev_u32_e32 v8, 28, v5
	v_lshlrev_b64 v[8:9], v8, v[2:3]
	v_sub_u32_e32 v5, 29, v5
	v_and_b32_e32 v8, 7, v8
	v_cndmask_b32_e32 v5, v28, v5, vcc
	v_cndmask_b32_e32 v1, v1, v8, vcc
	v_lshlrev_b32_e32 v8, 24, v2
	v_bfrev_b32_e32 v9, 60
	v_lshlrev_b32_e32 v1, 20, v1
	v_and_b32_e32 v8, 0x80000000, v8
	v_lshl_add_u32 v5, v5, 23, v9
	v_or3_b32 v1, v8, v5, v1
.LBB6_2955:                             ;   in Loop: Header=BB6_354 Depth=4
	s_or_b64 exec, exec, s[50:51]
.LBB6_2956:                             ;   in Loop: Header=BB6_354 Depth=4
	s_or_b64 exec, exec, s[48:49]
.LBB6_2957:                             ;   in Loop: Header=BB6_354 Depth=4
	s_or_b64 exec, exec, s[38:39]
	v_cmp_lt_u32_e32 vcc, s63, v10
	s_and_saveexec_b64 s[38:39], vcc
	s_cbranch_execz .LBB6_2963
; %bb.2958:                             ;   in Loop: Header=BB6_354 Depth=4
	v_cmp_ne_u32_e32 vcc, s82, v0
	v_bfrev_b32_e32 v3, 1
	s_and_saveexec_b64 s[48:49], vcc
	s_cbranch_execz .LBB6_2962
; %bb.2959:                             ;   in Loop: Header=BB6_354 Depth=4
	v_bfe_u32 v5, v10, 24, 7
	v_cmp_ne_u32_e32 vcc, s83, v5
	v_mov_b32_e32 v3, 0x7f800001
	s_and_saveexec_b64 s[50:51], vcc
	s_cbranch_execz .LBB6_2961
; %bb.2960:                             ;   in Loop: Header=BB6_354 Depth=4
	v_and_b32_e32 v3, 7, v0
	v_lshrrev_b32_e32 v28, 3, v5
	v_cmp_gt_u32_e32 vcc, 8, v5
	v_ffbh_u32_e32 v5, v3
	v_min_u32_e32 v5, 32, v5
	v_subrev_u32_e32 v8, 28, v5
	v_lshlrev_b64 v[8:9], v8, v[0:1]
	v_sub_u32_e32 v5, 29, v5
	v_and_b32_e32 v8, 7, v8
	v_cndmask_b32_e32 v5, v28, v5, vcc
	v_cndmask_b32_e32 v3, v3, v8, vcc
	v_lshlrev_b32_e32 v8, 24, v0
	v_bfrev_b32_e32 v9, 60
	v_lshlrev_b32_e32 v3, 20, v3
	v_and_b32_e32 v8, 0x80000000, v8
	v_lshl_add_u32 v5, v5, 23, v9
	v_or3_b32 v3, v8, v5, v3
.LBB6_2961:                             ;   in Loop: Header=BB6_354 Depth=4
	s_or_b64 exec, exec, s[50:51]
.LBB6_2962:                             ;   in Loop: Header=BB6_354 Depth=4
	s_or_b64 exec, exec, s[48:49]
.LBB6_2963:                             ;   in Loop: Header=BB6_354 Depth=4
	s_or_b64 exec, exec, s[38:39]
	v_max_f32_e32 v3, v3, v3
	v_max_f32_e32 v1, v1, v1
	;; [unrolled: 1-line block ×3, first 2 shown]
	s_mov_b64 s[38:39], 0
.LBB6_2964:                             ;   in Loop: Header=BB6_354 Depth=4
	s_and_b64 vcc, exec, s[38:39]
	s_cbranch_vccz .LBB6_2978
; %bb.2965:                             ;   in Loop: Header=BB6_354 Depth=4
	v_mov_b32_e32 v3, 0
	v_mov_b32_e32 v1, 0
	s_and_saveexec_b64 s[38:39], s[40:41]
	s_cbranch_execz .LBB6_2971
; %bb.2966:                             ;   in Loop: Header=BB6_354 Depth=4
	v_cmp_ne_u32_e32 vcc, s82, v2
	v_bfrev_b32_e32 v1, 1
	s_and_saveexec_b64 s[40:41], vcc
	s_cbranch_execz .LBB6_2970
; %bb.2967:                             ;   in Loop: Header=BB6_354 Depth=4
	v_bfe_u32 v5, v14, 24, 7
	v_cmp_ne_u32_e32 vcc, s83, v5
	v_mov_b32_e32 v1, 0x7f800001
	s_and_saveexec_b64 s[48:49], vcc
	s_cbranch_execz .LBB6_2969
; %bb.2968:                             ;   in Loop: Header=BB6_354 Depth=4
	v_and_b32_e32 v1, 7, v2
	v_lshrrev_b32_e32 v28, 3, v5
	v_cmp_gt_u32_e32 vcc, 8, v5
	v_ffbh_u32_e32 v5, v1
	v_min_u32_e32 v5, 32, v5
	v_subrev_u32_e32 v8, 28, v5
	v_lshlrev_b64 v[8:9], v8, v[2:3]
	v_sub_u32_e32 v5, 29, v5
	v_and_b32_e32 v8, 7, v8
	v_cndmask_b32_e32 v5, v28, v5, vcc
	v_cndmask_b32_e32 v1, v1, v8, vcc
	v_lshlrev_b32_e32 v2, 24, v2
	v_bfrev_b32_e32 v8, 60
	v_lshlrev_b32_e32 v1, 20, v1
	v_and_b32_e32 v2, 0x80000000, v2
	v_lshl_add_u32 v5, v5, 23, v8
	v_or3_b32 v1, v2, v5, v1
.LBB6_2969:                             ;   in Loop: Header=BB6_354 Depth=4
	s_or_b64 exec, exec, s[48:49]
.LBB6_2970:                             ;   in Loop: Header=BB6_354 Depth=4
	s_or_b64 exec, exec, s[40:41]
.LBB6_2971:                             ;   in Loop: Header=BB6_354 Depth=4
	s_or_b64 exec, exec, s[38:39]
	v_cmp_lt_u32_e32 vcc, s63, v10
	s_and_saveexec_b64 s[40:41], vcc
	s_cbranch_execz .LBB6_2977
; %bb.2972:                             ;   in Loop: Header=BB6_354 Depth=4
	v_cmp_ne_u32_e32 vcc, s82, v0
	v_bfrev_b32_e32 v3, 1
	s_and_saveexec_b64 s[38:39], vcc
	s_cbranch_execz .LBB6_2976
; %bb.2973:                             ;   in Loop: Header=BB6_354 Depth=4
	v_bfe_u32 v2, v10, 24, 7
	v_cmp_ne_u32_e32 vcc, s83, v2
	v_mov_b32_e32 v3, 0x7f800001
	s_and_saveexec_b64 s[48:49], vcc
	s_cbranch_execz .LBB6_2975
; %bb.2974:                             ;   in Loop: Header=BB6_354 Depth=4
	v_and_b32_e32 v5, 7, v0
	v_lshrrev_b32_e32 v8, 3, v2
	v_cmp_gt_u32_e32 vcc, 8, v2
	v_ffbh_u32_e32 v2, v5
	v_min_u32_e32 v9, 32, v2
	v_subrev_u32_e32 v2, 28, v9
	v_lshlrev_b64 v[2:3], v2, v[0:1]
	v_sub_u32_e32 v3, 29, v9
	v_and_b32_e32 v2, 7, v2
	v_cndmask_b32_e32 v3, v8, v3, vcc
	v_cndmask_b32_e32 v2, v5, v2, vcc
	v_lshlrev_b32_e32 v0, 24, v0
	v_bfrev_b32_e32 v5, 60
	v_lshlrev_b32_e32 v2, 20, v2
	v_and_b32_e32 v0, 0x80000000, v0
	v_lshl_add_u32 v3, v3, 23, v5
	v_or3_b32 v3, v0, v3, v2
.LBB6_2975:                             ;   in Loop: Header=BB6_354 Depth=4
	s_or_b64 exec, exec, s[48:49]
.LBB6_2976:                             ;   in Loop: Header=BB6_354 Depth=4
	s_or_b64 exec, exec, s[38:39]
.LBB6_2977:                             ;   in Loop: Header=BB6_354 Depth=4
	s_or_b64 exec, exec, s[40:41]
	v_max_f32_e32 v0, v3, v3
	v_max_f32_e32 v1, v1, v1
	v_min_f32_e32 v1, v1, v0
.LBB6_2978:                             ;   in Loop: Header=BB6_354 Depth=4
	v_and_b32_e32 v52, 0x7f800000, v1
	v_cmp_ne_u64_e32 vcc, s[76:77], v[52:53]
                                        ; implicit-def: $vgpr50
	s_and_saveexec_b64 s[40:41], vcc
	s_xor_b64 s[38:39], exec, s[40:41]
	s_cbranch_execz .LBB6_2992
; %bb.2979:                             ;   in Loop: Header=BB6_354 Depth=4
	v_and_b32_e32 v52, 0x7fffffff, v1
	v_cmp_gt_u64_e32 vcc, s[78:79], v[52:53]
	v_and_b32_sdwa v3, v1, s82 dst_sel:DWORD dst_unused:UNUSED_PAD src0_sel:BYTE_3 src1_sel:DWORD
                                        ; implicit-def: $vgpr50
	s_and_saveexec_b64 s[40:41], vcc
	s_xor_b64 s[48:49], exec, s[40:41]
	s_cbranch_execz .LBB6_2989
; %bb.2980:                             ;   in Loop: Header=BB6_354 Depth=4
	v_mov_b32_e32 v50, 0
	v_cmp_ne_u32_e32 vcc, 0, v1
	s_and_saveexec_b64 s[50:51], vcc
	s_cbranch_execz .LBB6_2988
; %bb.2981:                             ;   in Loop: Header=BB6_354 Depth=4
	v_bfe_u32 v5, v1, 23, 8
	v_and_b32_e32 v0, 0x7fffff, v1
	v_cmp_gt_u32_e64 s[40:41], s85, v5
	v_sub_u32_e32 v1, 0x79, v5
	v_cmp_eq_u32_e32 vcc, 0, v5
	v_cndmask_b32_e64 v1, 0, v1, s[40:41]
	v_mov_b32_e32 v8, 0x78
	v_or_b32_e32 v2, 0x800000, v0
	v_cndmask_b32_e32 v8, v1, v8, vcc
	v_cndmask_b32_e32 v52, v2, v0, vcc
	v_add_u32_e32 v0, 20, v8
	v_lshlrev_b64 v[0:1], v0, -1
	v_add_u32_e32 v2, 19, v8
	v_lshlrev_b64 v[50:51], v2, 1
	v_bfi_b32 v1, v1, 0, 0
	v_bfi_b32 v0, v0, 0, v52
	v_cmp_eq_u64_e64 s[40:41], v[0:1], v[50:51]
	v_lshrrev_b64 v[0:1], v8, v[52:53]
	v_mov_b32_e32 v2, v1
	v_mov_b32_e32 v1, v0
	s_and_saveexec_b64 s[52:53], s[40:41]
; %bb.2982:                             ;   in Loop: Header=BB6_354 Depth=4
	v_bfe_u32 v1, v0, 20, 1
	v_add_co_u32_e64 v1, s[40:41], v0, v1
	v_add_co_u32_e64 v1, s[40:41], -1, v1
; %bb.2983:                             ;   in Loop: Header=BB6_354 Depth=4
	s_or_b64 exec, exec, s[52:53]
	v_add_u32_e32 v2, 0xffffff81, v5
	v_mov_b32_e32 v5, 0xffffff82
	v_cndmask_b32_e32 v2, v2, v5, vcc
	v_lshrrev_b32_e32 v5, 23, v0
	v_add3_u32 v8, v8, v2, v5
	v_add_u32_e32 v5, 6, v8
	v_and_b32_e32 v1, 0xfffff, v1
	v_add_u32_e32 v52, v1, v0
	v_cmp_ne_u32_e32 vcc, 0, v5
                                        ; implicit-def: $vgpr0_vgpr1
                                        ; implicit-def: $vgpr2
	s_and_saveexec_b64 s[40:41], vcc
	s_xor_b64 s[40:41], exec, s[40:41]
; %bb.2984:                             ;   in Loop: Header=BB6_354 Depth=4
	v_cmp_lt_u64_e32 vcc, s[88:89], v[52:53]
	v_add_u32_e32 v0, 7, v8
	v_cndmask_b32_e32 v2, v5, v0, vcc
	v_cndmask_b32_e64 v0, 0, 1, vcc
	v_lshrrev_b64 v[0:1], v0, v[52:53]
; %bb.2985:                             ;   in Loop: Header=BB6_354 Depth=4
	s_andn2_saveexec_b64 s[40:41], s[40:41]
; %bb.2986:                             ;   in Loop: Header=BB6_354 Depth=4
	v_mov_b32_e32 v0, v52
	v_bfe_u32 v2, v52, 23, 1
	v_mov_b32_e32 v1, v53
; %bb.2987:                             ;   in Loop: Header=BB6_354 Depth=4
	s_or_b64 exec, exec, s[40:41]
	v_lshrrev_b64 v[0:1], 20, v[0:1]
	v_cmp_gt_i32_e32 vcc, 16, v2
	v_cndmask_b32_e32 v1, 0, v1, vcc
	v_cndmask_b32_e32 v0, 7, v0, vcc
	v_cmp_eq_u64_e64 s[40:41], 0, v[0:1]
	v_min_i32_e32 v1, 15, v2
	v_lshlrev_b32_e32 v1, 3, v1
	v_cmp_eq_u32_e32 vcc, 0, v2
	v_and_b32_e32 v1, 0xf8, v1
	v_and_or_b32 v0, v0, 7, v1
	s_and_b64 s[40:41], vcc, s[40:41]
	v_cndmask_b32_e64 v0, v0, 0, s[40:41]
	v_or_b32_e32 v50, v0, v3
.LBB6_2988:                             ;   in Loop: Header=BB6_354 Depth=4
	s_or_b64 exec, exec, s[50:51]
                                        ; implicit-def: $vgpr3
.LBB6_2989:                             ;   in Loop: Header=BB6_354 Depth=4
	s_andn2_saveexec_b64 s[40:41], s[48:49]
; %bb.2990:                             ;   in Loop: Header=BB6_354 Depth=4
	v_or_b32_e32 v50, 0x7e, v3
; %bb.2991:                             ;   in Loop: Header=BB6_354 Depth=4
	s_or_b64 exec, exec, s[40:41]
                                        ; implicit-def: $vgpr1
.LBB6_2992:                             ;   in Loop: Header=BB6_354 Depth=4
	s_andn2_saveexec_b64 s[40:41], s[38:39]
; %bb.2993:                             ;   in Loop: Header=BB6_354 Depth=4
	v_or_b32_sdwa v50, v1, s83 dst_sel:DWORD dst_unused:UNUSED_PAD src0_sel:BYTE_3 src1_sel:DWORD
; %bb.2994:                             ;   in Loop: Header=BB6_354 Depth=4
	s_or_b64 exec, exec, s[40:41]
	v_mov_b32_e32 v52, v15
	v_mov_b32_e32 v2, v11
	v_mov_b32_e32 v3, v53
	v_cmp_ne_u16_sdwa s[40:41], v15, v53 src0_sel:BYTE_0 src1_sel:DWORD
	s_and_b64 vcc, exec, s[28:29]
	s_mov_b64 s[38:39], -1
                                        ; implicit-def: $vgpr0
	s_cbranch_vccnz .LBB6_3008
; %bb.2995:                             ;   in Loop: Header=BB6_354 Depth=4
	v_mov_b32_e32 v1, 0
	v_mov_b32_e32 v0, 0
	s_and_saveexec_b64 s[38:39], s[40:41]
	s_cbranch_execz .LBB6_3001
; %bb.2996:                             ;   in Loop: Header=BB6_354 Depth=4
	v_cmp_ne_u16_sdwa vcc, v15, s82 src0_sel:BYTE_0 src1_sel:DWORD
	v_bfrev_b32_e32 v0, 1
	s_and_saveexec_b64 s[48:49], vcc
	s_cbranch_execz .LBB6_3000
; %bb.2997:                             ;   in Loop: Header=BB6_354 Depth=4
	v_and_b32_e32 v5, 0x7f, v15
	v_cmp_ne_u32_e32 vcc, s83, v5
	v_mov_b32_e32 v0, 0x7f800001
	s_and_saveexec_b64 s[50:51], vcc
	s_cbranch_execz .LBB6_2999
; %bb.2998:                             ;   in Loop: Header=BB6_354 Depth=4
	v_and_b32_e32 v0, 7, v15
	v_ffbh_u32_e32 v0, v0
	v_min_u32_e32 v0, 32, v0
	v_lshrrev_b32_e32 v8, 3, v5
	v_cmp_gt_u32_e32 vcc, 8, v5
	v_subrev_u32_e32 v5, 28, v0
	v_sub_u32_e32 v0, 29, v0
	v_cndmask_b32_e32 v5, 0, v5, vcc
	v_cndmask_b32_e32 v0, v8, v0, vcc
	v_lshlrev_b64 v[8:9], v5, v[52:53]
	v_bfrev_b32_e32 v9, 60
	v_lshlrev_b32_e32 v5, 20, v8
	v_lshlrev_b32_e32 v8, 24, v52
	v_and_b32_e32 v5, 0x700000, v5
	v_and_b32_e32 v8, 0x80000000, v8
	v_lshl_add_u32 v0, v0, 23, v9
	v_or3_b32 v0, v8, v0, v5
.LBB6_2999:                             ;   in Loop: Header=BB6_354 Depth=4
	s_or_b64 exec, exec, s[50:51]
.LBB6_3000:                             ;   in Loop: Header=BB6_354 Depth=4
	s_or_b64 exec, exec, s[48:49]
.LBB6_3001:                             ;   in Loop: Header=BB6_354 Depth=4
	s_or_b64 exec, exec, s[38:39]
	v_cmp_ne_u16_sdwa vcc, v11, v53 src0_sel:BYTE_0 src1_sel:DWORD
	s_and_saveexec_b64 s[38:39], vcc
	s_cbranch_execz .LBB6_3007
; %bb.3002:                             ;   in Loop: Header=BB6_354 Depth=4
	v_cmp_ne_u16_sdwa vcc, v11, s82 src0_sel:BYTE_0 src1_sel:DWORD
	v_bfrev_b32_e32 v1, 1
	s_and_saveexec_b64 s[48:49], vcc
	s_cbranch_execz .LBB6_3006
; %bb.3003:                             ;   in Loop: Header=BB6_354 Depth=4
	v_and_b32_e32 v5, 0x7f, v11
	v_cmp_ne_u32_e32 vcc, s83, v5
	v_mov_b32_e32 v1, 0x7f800001
	s_and_saveexec_b64 s[50:51], vcc
	s_cbranch_execz .LBB6_3005
; %bb.3004:                             ;   in Loop: Header=BB6_354 Depth=4
	v_and_b32_e32 v1, 7, v11
	v_ffbh_u32_e32 v1, v1
	v_min_u32_e32 v1, 32, v1
	v_lshrrev_b32_e32 v8, 3, v5
	v_cmp_gt_u32_e32 vcc, 8, v5
	v_subrev_u32_e32 v5, 28, v1
	v_sub_u32_e32 v1, 29, v1
	v_cndmask_b32_e32 v5, 0, v5, vcc
	v_cndmask_b32_e32 v1, v8, v1, vcc
	v_lshlrev_b64 v[8:9], v5, v[2:3]
	v_bfrev_b32_e32 v9, 60
	v_lshlrev_b32_e32 v5, 20, v8
	v_lshlrev_b32_e32 v8, 24, v2
	v_and_b32_e32 v5, 0x700000, v5
	v_and_b32_e32 v8, 0x80000000, v8
	v_lshl_add_u32 v1, v1, 23, v9
	v_or3_b32 v1, v8, v1, v5
.LBB6_3005:                             ;   in Loop: Header=BB6_354 Depth=4
	s_or_b64 exec, exec, s[50:51]
.LBB6_3006:                             ;   in Loop: Header=BB6_354 Depth=4
	s_or_b64 exec, exec, s[48:49]
.LBB6_3007:                             ;   in Loop: Header=BB6_354 Depth=4
	s_or_b64 exec, exec, s[38:39]
	v_max_f32_e32 v1, v1, v1
	v_max_f32_e32 v0, v0, v0
	;; [unrolled: 1-line block ×3, first 2 shown]
	s_mov_b64 s[38:39], 0
.LBB6_3008:                             ;   in Loop: Header=BB6_354 Depth=4
	s_and_b64 vcc, exec, s[38:39]
	s_cbranch_vccz .LBB6_3022
; %bb.3009:                             ;   in Loop: Header=BB6_354 Depth=4
	v_mov_b32_e32 v1, 0
	v_mov_b32_e32 v0, 0
	s_and_saveexec_b64 s[38:39], s[40:41]
	s_cbranch_execz .LBB6_3015
; %bb.3010:                             ;   in Loop: Header=BB6_354 Depth=4
	v_cmp_ne_u16_sdwa vcc, v15, s82 src0_sel:BYTE_0 src1_sel:DWORD
	v_bfrev_b32_e32 v0, 1
	s_and_saveexec_b64 s[40:41], vcc
	s_cbranch_execz .LBB6_3014
; %bb.3011:                             ;   in Loop: Header=BB6_354 Depth=4
	v_and_b32_e32 v5, 0x7f, v15
	v_cmp_ne_u32_e32 vcc, s83, v5
	v_mov_b32_e32 v0, 0x7f800001
	s_and_saveexec_b64 s[48:49], vcc
	s_cbranch_execz .LBB6_3013
; %bb.3012:                             ;   in Loop: Header=BB6_354 Depth=4
	v_and_b32_e32 v0, 7, v15
	v_ffbh_u32_e32 v0, v0
	v_min_u32_e32 v0, 32, v0
	v_lshrrev_b32_e32 v8, 3, v5
	v_cmp_gt_u32_e32 vcc, 8, v5
	v_subrev_u32_e32 v5, 28, v0
	v_sub_u32_e32 v0, 29, v0
	v_cndmask_b32_e32 v5, 0, v5, vcc
	v_cndmask_b32_e32 v0, v8, v0, vcc
	v_lshlrev_b64 v[8:9], v5, v[52:53]
	v_bfrev_b32_e32 v9, 60
	v_lshlrev_b32_e32 v5, 20, v8
	v_lshlrev_b32_e32 v8, 24, v52
	v_and_b32_e32 v5, 0x700000, v5
	v_and_b32_e32 v8, 0x80000000, v8
	v_lshl_add_u32 v0, v0, 23, v9
	v_or3_b32 v0, v8, v0, v5
.LBB6_3013:                             ;   in Loop: Header=BB6_354 Depth=4
	s_or_b64 exec, exec, s[48:49]
.LBB6_3014:                             ;   in Loop: Header=BB6_354 Depth=4
	s_or_b64 exec, exec, s[40:41]
.LBB6_3015:                             ;   in Loop: Header=BB6_354 Depth=4
	s_or_b64 exec, exec, s[38:39]
	v_cmp_ne_u16_sdwa vcc, v11, v53 src0_sel:BYTE_0 src1_sel:DWORD
	s_and_saveexec_b64 s[40:41], vcc
	s_cbranch_execz .LBB6_3021
; %bb.3016:                             ;   in Loop: Header=BB6_354 Depth=4
	v_cmp_ne_u16_sdwa vcc, v11, s82 src0_sel:BYTE_0 src1_sel:DWORD
	v_bfrev_b32_e32 v1, 1
	s_and_saveexec_b64 s[38:39], vcc
	s_cbranch_execz .LBB6_3020
; %bb.3017:                             ;   in Loop: Header=BB6_354 Depth=4
	v_and_b32_e32 v5, 0x7f, v11
	v_cmp_ne_u32_e32 vcc, s83, v5
	v_mov_b32_e32 v1, 0x7f800001
	s_and_saveexec_b64 s[48:49], vcc
	s_cbranch_execz .LBB6_3019
; %bb.3018:                             ;   in Loop: Header=BB6_354 Depth=4
	v_and_b32_e32 v1, 7, v11
	v_ffbh_u32_e32 v1, v1
	v_min_u32_e32 v1, 32, v1
	v_lshrrev_b32_e32 v8, 3, v5
	v_cmp_gt_u32_e32 vcc, 8, v5
	v_subrev_u32_e32 v5, 28, v1
	v_sub_u32_e32 v1, 29, v1
	v_cndmask_b32_e32 v5, 0, v5, vcc
	v_cndmask_b32_e32 v1, v8, v1, vcc
	v_lshlrev_b64 v[8:9], v5, v[2:3]
	v_lshlrev_b32_e32 v5, 24, v2
	v_lshlrev_b32_e32 v3, 20, v8
	v_bfrev_b32_e32 v8, 60
	v_and_b32_e32 v3, 0x700000, v3
	v_and_b32_e32 v5, 0x80000000, v5
	v_lshl_add_u32 v1, v1, 23, v8
	v_or3_b32 v1, v5, v1, v3
.LBB6_3019:                             ;   in Loop: Header=BB6_354 Depth=4
	s_or_b64 exec, exec, s[48:49]
.LBB6_3020:                             ;   in Loop: Header=BB6_354 Depth=4
	s_or_b64 exec, exec, s[38:39]
.LBB6_3021:                             ;   in Loop: Header=BB6_354 Depth=4
	s_or_b64 exec, exec, s[40:41]
	v_max_f32_e32 v1, v1, v1
	v_max_f32_e32 v0, v0, v0
	v_min_f32_e32 v0, v0, v1
.LBB6_3022:                             ;   in Loop: Header=BB6_354 Depth=4
	v_and_b32_e32 v8, 0x7f800000, v0
	v_mov_b32_e32 v9, v53
	v_cmp_ne_u64_e32 vcc, s[76:77], v[8:9]
                                        ; implicit-def: $vgpr8
	s_and_saveexec_b64 s[40:41], vcc
	s_xor_b64 s[38:39], exec, s[40:41]
	s_cbranch_execz .LBB6_3036
; %bb.3023:                             ;   in Loop: Header=BB6_354 Depth=4
	v_and_b32_e32 v8, 0x7fffffff, v0
	v_mov_b32_e32 v9, v53
	v_cmp_gt_u64_e32 vcc, s[78:79], v[8:9]
	v_and_b32_sdwa v3, v0, s82 dst_sel:DWORD dst_unused:UNUSED_PAD src0_sel:BYTE_3 src1_sel:DWORD
                                        ; implicit-def: $vgpr8
	s_and_saveexec_b64 s[40:41], vcc
	s_xor_b64 s[48:49], exec, s[40:41]
	s_cbranch_execz .LBB6_3033
; %bb.3024:                             ;   in Loop: Header=BB6_354 Depth=4
	v_mov_b32_e32 v8, 0
	v_cmp_ne_u32_e32 vcc, 0, v0
	s_and_saveexec_b64 s[50:51], vcc
	s_cbranch_execz .LBB6_3032
; %bb.3025:                             ;   in Loop: Header=BB6_354 Depth=4
	v_bfe_u32 v5, v0, 23, 8
	v_and_b32_e32 v1, 0x7fffff, v0
	v_cmp_gt_u32_e64 s[40:41], s85, v5
	v_sub_u32_e32 v0, 0x79, v5
	v_cmp_eq_u32_e32 vcc, 0, v5
	v_cndmask_b32_e64 v0, 0, v0, s[40:41]
	v_mov_b32_e32 v9, 0x78
	v_or_b32_e32 v8, 0x800000, v1
	v_cndmask_b32_e32 v51, v0, v9, vcc
	v_cndmask_b32_e32 v0, v8, v1, vcc
	v_add_u32_e32 v8, 20, v51
	v_lshlrev_b64 v[8:9], v8, -1
	v_mov_b32_e32 v1, v53
	v_add_u32_e32 v28, 19, v51
	v_bfi_b32 v8, v8, 0, v0
	v_lshlrev_b64 v[28:29], v28, 1
	v_lshrrev_b64 v[0:1], v51, v[0:1]
	v_bfi_b32 v9, v9, 0, 0
	v_cmp_eq_u64_e64 s[40:41], v[8:9], v[28:29]
	v_mov_b32_e32 v9, v1
	v_mov_b32_e32 v8, v0
	s_and_saveexec_b64 s[52:53], s[40:41]
; %bb.3026:                             ;   in Loop: Header=BB6_354 Depth=4
	v_bfe_u32 v1, v0, 20, 1
	v_add_co_u32_e64 v1, s[40:41], v0, v1
	v_add_co_u32_e64 v8, s[40:41], -1, v1
; %bb.3027:                             ;   in Loop: Header=BB6_354 Depth=4
	s_or_b64 exec, exec, s[52:53]
	v_add_u32_e32 v1, 0xffffff81, v5
	v_mov_b32_e32 v5, 0xffffff82
	v_cndmask_b32_e32 v1, v1, v5, vcc
	v_lshrrev_b32_e32 v5, 23, v0
	v_add3_u32 v51, v51, v1, v5
	v_add_u32_e32 v9, 6, v51
	v_and_b32_e32 v1, 0xfffff, v8
	v_add_u32_e32 v0, v1, v0
	v_mov_b32_e32 v1, v53
	v_cmp_ne_u32_e32 vcc, 0, v9
                                        ; implicit-def: $vgpr5
	s_and_saveexec_b64 s[40:41], vcc
	s_xor_b64 s[40:41], exec, s[40:41]
; %bb.3028:                             ;   in Loop: Header=BB6_354 Depth=4
	v_cmp_lt_u64_e32 vcc, s[88:89], v[0:1]
	v_add_u32_e32 v5, 7, v51
	v_cndmask_b32_e64 v8, 0, 1, vcc
	v_lshrrev_b64 v[0:1], v8, v[0:1]
	v_cndmask_b32_e32 v5, v9, v5, vcc
; %bb.3029:                             ;   in Loop: Header=BB6_354 Depth=4
	s_andn2_saveexec_b64 s[40:41], s[40:41]
; %bb.3030:                             ;   in Loop: Header=BB6_354 Depth=4
	v_bfe_u32 v5, v0, 23, 1
; %bb.3031:                             ;   in Loop: Header=BB6_354 Depth=4
	s_or_b64 exec, exec, s[40:41]
	v_lshrrev_b64 v[0:1], 20, v[0:1]
	v_cmp_gt_i32_e32 vcc, 16, v5
	v_cndmask_b32_e32 v1, 0, v1, vcc
	v_cndmask_b32_e32 v0, 7, v0, vcc
	v_cmp_eq_u64_e64 s[40:41], 0, v[0:1]
	v_min_i32_e32 v1, 15, v5
	v_lshlrev_b32_e32 v1, 3, v1
	v_cmp_eq_u32_e32 vcc, 0, v5
	v_and_b32_e32 v1, 0xf8, v1
	v_and_or_b32 v0, v0, 7, v1
	s_and_b64 s[40:41], vcc, s[40:41]
	v_cndmask_b32_e64 v0, v0, 0, s[40:41]
	v_or_b32_e32 v8, v0, v3
.LBB6_3032:                             ;   in Loop: Header=BB6_354 Depth=4
	s_or_b64 exec, exec, s[50:51]
                                        ; implicit-def: $vgpr3
.LBB6_3033:                             ;   in Loop: Header=BB6_354 Depth=4
	s_andn2_saveexec_b64 s[40:41], s[48:49]
; %bb.3034:                             ;   in Loop: Header=BB6_354 Depth=4
	v_or_b32_e32 v8, 0x7e, v3
; %bb.3035:                             ;   in Loop: Header=BB6_354 Depth=4
	s_or_b64 exec, exec, s[40:41]
                                        ; implicit-def: $vgpr0
.LBB6_3036:                             ;   in Loop: Header=BB6_354 Depth=4
	s_andn2_saveexec_b64 s[40:41], s[38:39]
; %bb.3037:                             ;   in Loop: Header=BB6_354 Depth=4
	v_or_b32_sdwa v8, v0, s83 dst_sel:DWORD dst_unused:UNUSED_PAD src0_sel:BYTE_3 src1_sel:DWORD
; %bb.3038:                             ;   in Loop: Header=BB6_354 Depth=4
	s_or_b64 exec, exec, s[40:41]
	v_lshrrev_b16_e32 v5, 8, v52
	v_lshrrev_b16_e32 v3, 8, v2
	v_cmp_ne_u16_e64 s[40:41], 0, v5
	s_and_b64 vcc, exec, s[28:29]
	s_mov_b64 s[38:39], -1
                                        ; implicit-def: $vgpr0
	s_cbranch_vccnz .LBB6_3052
; %bb.3039:                             ;   in Loop: Header=BB6_354 Depth=4
	v_mov_b32_e32 v1, 0
	v_mov_b32_e32 v0, 0
	s_and_saveexec_b64 s[38:39], s[40:41]
	s_cbranch_execz .LBB6_3045
; %bb.3040:                             ;   in Loop: Header=BB6_354 Depth=4
	v_cmp_ne_u16_e32 vcc, s82, v5
	v_bfrev_b32_e32 v0, 1
	s_and_saveexec_b64 s[48:49], vcc
	s_cbranch_execz .LBB6_3044
; %bb.3041:                             ;   in Loop: Header=BB6_354 Depth=4
	v_and_b32_e32 v9, 0x7f, v5
	v_cmp_ne_u32_e32 vcc, s83, v9
	v_mov_b32_e32 v0, 0x7f800001
	s_and_saveexec_b64 s[50:51], vcc
	s_cbranch_execz .LBB6_3043
; %bb.3042:                             ;   in Loop: Header=BB6_354 Depth=4
	v_and_b32_e32 v0, 7, v5
	v_lshrrev_b32_e32 v51, 3, v9
	v_cmp_gt_u32_e32 vcc, 8, v9
	v_ffbh_u32_e32 v9, v0
	v_min_u32_e32 v9, 32, v9
	v_subrev_u32_e32 v28, 28, v9
	v_lshlrev_b64 v[28:29], v28, v[5:6]
	v_sub_u32_e32 v9, 29, v9
	v_and_b32_e32 v28, 7, v28
	v_cndmask_b32_e32 v9, v51, v9, vcc
	v_cndmask_b32_e32 v0, v0, v28, vcc
	v_lshlrev_b32_e32 v28, 16, v52
	v_bfrev_b32_e32 v29, 60
	v_lshlrev_b32_e32 v0, 20, v0
	v_and_b32_e32 v28, 0x80000000, v28
	v_lshl_add_u32 v9, v9, 23, v29
	v_or3_b32 v0, v28, v9, v0
.LBB6_3043:                             ;   in Loop: Header=BB6_354 Depth=4
	s_or_b64 exec, exec, s[50:51]
.LBB6_3044:                             ;   in Loop: Header=BB6_354 Depth=4
	s_or_b64 exec, exec, s[48:49]
.LBB6_3045:                             ;   in Loop: Header=BB6_354 Depth=4
	s_or_b64 exec, exec, s[38:39]
	v_cmp_ne_u16_e32 vcc, 0, v3
	s_and_saveexec_b64 s[38:39], vcc
	s_cbranch_execz .LBB6_3051
; %bb.3046:                             ;   in Loop: Header=BB6_354 Depth=4
	v_cmp_ne_u16_e32 vcc, s82, v3
	v_bfrev_b32_e32 v1, 1
	s_and_saveexec_b64 s[48:49], vcc
	s_cbranch_execz .LBB6_3050
; %bb.3047:                             ;   in Loop: Header=BB6_354 Depth=4
	v_and_b32_e32 v9, 0x7f, v3
	v_cmp_ne_u32_e32 vcc, s83, v9
	v_mov_b32_e32 v1, 0x7f800001
	s_and_saveexec_b64 s[50:51], vcc
	s_cbranch_execz .LBB6_3049
; %bb.3048:                             ;   in Loop: Header=BB6_354 Depth=4
	v_and_b32_e32 v1, 7, v3
	v_lshrrev_b32_e32 v51, 3, v9
	v_cmp_gt_u32_e32 vcc, 8, v9
	v_ffbh_u32_e32 v9, v1
	v_min_u32_e32 v9, 32, v9
	v_subrev_u32_e32 v28, 28, v9
	v_lshlrev_b64 v[28:29], v28, v[3:4]
	v_sub_u32_e32 v9, 29, v9
	v_and_b32_e32 v28, 7, v28
	v_cndmask_b32_e32 v9, v51, v9, vcc
	v_cndmask_b32_e32 v1, v1, v28, vcc
	v_lshlrev_b32_e32 v28, 16, v2
	v_bfrev_b32_e32 v29, 60
	v_lshlrev_b32_e32 v1, 20, v1
	v_and_b32_e32 v28, 0x80000000, v28
	v_lshl_add_u32 v9, v9, 23, v29
	v_or3_b32 v1, v28, v9, v1
.LBB6_3049:                             ;   in Loop: Header=BB6_354 Depth=4
	s_or_b64 exec, exec, s[50:51]
.LBB6_3050:                             ;   in Loop: Header=BB6_354 Depth=4
	s_or_b64 exec, exec, s[48:49]
.LBB6_3051:                             ;   in Loop: Header=BB6_354 Depth=4
	s_or_b64 exec, exec, s[38:39]
	v_max_f32_e32 v1, v1, v1
	v_max_f32_e32 v0, v0, v0
	;; [unrolled: 1-line block ×3, first 2 shown]
	s_mov_b64 s[38:39], 0
.LBB6_3052:                             ;   in Loop: Header=BB6_354 Depth=4
	s_and_b64 vcc, exec, s[38:39]
	s_cbranch_vccz .LBB6_3066
; %bb.3053:                             ;   in Loop: Header=BB6_354 Depth=4
	v_mov_b32_e32 v1, 0
	v_mov_b32_e32 v0, 0
	s_and_saveexec_b64 s[38:39], s[40:41]
	s_cbranch_execz .LBB6_3059
; %bb.3054:                             ;   in Loop: Header=BB6_354 Depth=4
	v_cmp_ne_u16_e32 vcc, s82, v5
	v_bfrev_b32_e32 v0, 1
	s_and_saveexec_b64 s[40:41], vcc
	s_cbranch_execz .LBB6_3058
; %bb.3055:                             ;   in Loop: Header=BB6_354 Depth=4
	v_and_b32_e32 v9, 0x7f, v5
	v_cmp_ne_u32_e32 vcc, s83, v9
	v_mov_b32_e32 v0, 0x7f800001
	s_and_saveexec_b64 s[48:49], vcc
	s_cbranch_execz .LBB6_3057
; %bb.3056:                             ;   in Loop: Header=BB6_354 Depth=4
	v_and_b32_e32 v0, 7, v5
	v_lshrrev_b32_e32 v51, 3, v9
	v_cmp_gt_u32_e32 vcc, 8, v9
	v_ffbh_u32_e32 v9, v0
	v_min_u32_e32 v9, 32, v9
	v_subrev_u32_e32 v28, 28, v9
	v_lshlrev_b64 v[28:29], v28, v[5:6]
	v_sub_u32_e32 v5, 29, v9
	v_and_b32_e32 v9, 7, v28
	v_cndmask_b32_e32 v5, v51, v5, vcc
	v_cndmask_b32_e32 v0, v0, v9, vcc
	v_lshlrev_b32_e32 v9, 16, v52
	v_bfrev_b32_e32 v28, 60
	v_lshlrev_b32_e32 v0, 20, v0
	v_and_b32_e32 v9, 0x80000000, v9
	v_lshl_add_u32 v5, v5, 23, v28
	v_or3_b32 v0, v9, v5, v0
.LBB6_3057:                             ;   in Loop: Header=BB6_354 Depth=4
	s_or_b64 exec, exec, s[48:49]
.LBB6_3058:                             ;   in Loop: Header=BB6_354 Depth=4
	s_or_b64 exec, exec, s[40:41]
.LBB6_3059:                             ;   in Loop: Header=BB6_354 Depth=4
	s_or_b64 exec, exec, s[38:39]
	v_cmp_ne_u16_e32 vcc, 0, v3
	s_and_saveexec_b64 s[40:41], vcc
	s_cbranch_execz .LBB6_3065
; %bb.3060:                             ;   in Loop: Header=BB6_354 Depth=4
	v_cmp_ne_u16_e32 vcc, s82, v3
	v_bfrev_b32_e32 v1, 1
	s_and_saveexec_b64 s[38:39], vcc
	s_cbranch_execz .LBB6_3064
; %bb.3061:                             ;   in Loop: Header=BB6_354 Depth=4
	v_and_b32_e32 v5, 0x7f, v3
	v_cmp_ne_u32_e32 vcc, s83, v5
	v_mov_b32_e32 v1, 0x7f800001
	s_and_saveexec_b64 s[48:49], vcc
	s_cbranch_execz .LBB6_3063
; %bb.3062:                             ;   in Loop: Header=BB6_354 Depth=4
	v_and_b32_e32 v1, 7, v3
	v_lshrrev_b32_e32 v9, 3, v5
	v_cmp_gt_u32_e32 vcc, 8, v5
	v_ffbh_u32_e32 v5, v1
	v_min_u32_e32 v5, 32, v5
	v_subrev_u32_e32 v28, 28, v5
	v_lshlrev_b64 v[28:29], v28, v[3:4]
	v_sub_u32_e32 v3, 29, v5
	v_and_b32_e32 v5, 7, v28
	v_cndmask_b32_e32 v3, v9, v3, vcc
	v_cndmask_b32_e32 v1, v1, v5, vcc
	v_lshlrev_b32_e32 v2, 16, v2
	v_bfrev_b32_e32 v5, 60
	v_lshlrev_b32_e32 v1, 20, v1
	v_and_b32_e32 v2, 0x80000000, v2
	v_lshl_add_u32 v3, v3, 23, v5
	v_or3_b32 v1, v2, v3, v1
.LBB6_3063:                             ;   in Loop: Header=BB6_354 Depth=4
	s_or_b64 exec, exec, s[48:49]
.LBB6_3064:                             ;   in Loop: Header=BB6_354 Depth=4
	s_or_b64 exec, exec, s[38:39]
.LBB6_3065:                             ;   in Loop: Header=BB6_354 Depth=4
	s_or_b64 exec, exec, s[40:41]
	v_max_f32_e32 v1, v1, v1
	v_max_f32_e32 v0, v0, v0
	v_min_f32_e32 v0, v0, v1
.LBB6_3066:                             ;   in Loop: Header=BB6_354 Depth=4
	v_and_b32_e32 v52, 0x7f800000, v0
	v_cmp_ne_u64_e32 vcc, s[76:77], v[52:53]
                                        ; implicit-def: $vgpr3
	s_and_saveexec_b64 s[40:41], vcc
	s_xor_b64 s[38:39], exec, s[40:41]
	s_cbranch_execz .LBB6_3080
; %bb.3067:                             ;   in Loop: Header=BB6_354 Depth=4
	v_and_b32_e32 v52, 0x7fffffff, v0
	v_cmp_gt_u64_e32 vcc, s[78:79], v[52:53]
	v_and_b32_sdwa v5, v0, s82 dst_sel:DWORD dst_unused:UNUSED_PAD src0_sel:BYTE_3 src1_sel:DWORD
                                        ; implicit-def: $vgpr3
	s_and_saveexec_b64 s[40:41], vcc
	s_xor_b64 s[48:49], exec, s[40:41]
	s_cbranch_execz .LBB6_3077
; %bb.3068:                             ;   in Loop: Header=BB6_354 Depth=4
	v_mov_b32_e32 v3, 0
	v_cmp_ne_u32_e32 vcc, 0, v0
	s_and_saveexec_b64 s[50:51], vcc
	s_cbranch_execz .LBB6_3076
; %bb.3069:                             ;   in Loop: Header=BB6_354 Depth=4
	v_bfe_u32 v3, v0, 23, 8
	v_and_b32_e32 v1, 0x7fffff, v0
	v_cmp_gt_u32_e64 s[40:41], s85, v3
	v_sub_u32_e32 v0, 0x79, v3
	v_cmp_eq_u32_e32 vcc, 0, v3
	v_cndmask_b32_e64 v0, 0, v0, s[40:41]
	v_mov_b32_e32 v9, 0x78
	v_cndmask_b32_e32 v9, v0, v9, vcc
	v_or_b32_e32 v2, 0x800000, v1
	v_add_u32_e32 v0, 20, v9
	v_cndmask_b32_e32 v52, v2, v1, vcc
	v_lshlrev_b64 v[0:1], v0, -1
	v_add_u32_e32 v2, 19, v9
	v_lshlrev_b64 v[28:29], v2, 1
	v_bfi_b32 v1, v1, 0, 0
	v_bfi_b32 v0, v0, 0, v52
	v_cmp_eq_u64_e64 s[40:41], v[0:1], v[28:29]
	v_lshrrev_b64 v[0:1], v9, v[52:53]
	v_mov_b32_e32 v2, v1
	v_mov_b32_e32 v1, v0
	s_and_saveexec_b64 s[52:53], s[40:41]
; %bb.3070:                             ;   in Loop: Header=BB6_354 Depth=4
	v_bfe_u32 v1, v0, 20, 1
	v_add_co_u32_e64 v1, s[40:41], v0, v1
	v_add_co_u32_e64 v1, s[40:41], -1, v1
; %bb.3071:                             ;   in Loop: Header=BB6_354 Depth=4
	s_or_b64 exec, exec, s[52:53]
	v_add_u32_e32 v2, 0xffffff81, v3
	v_mov_b32_e32 v3, 0xffffff82
	v_cndmask_b32_e32 v2, v2, v3, vcc
	v_lshrrev_b32_e32 v3, 23, v0
	v_add3_u32 v9, v9, v2, v3
	v_add_u32_e32 v3, 6, v9
	v_and_b32_e32 v1, 0xfffff, v1
	v_add_u32_e32 v52, v1, v0
	v_cmp_ne_u32_e32 vcc, 0, v3
                                        ; implicit-def: $vgpr0_vgpr1
                                        ; implicit-def: $vgpr2
	s_and_saveexec_b64 s[40:41], vcc
	s_xor_b64 s[40:41], exec, s[40:41]
; %bb.3072:                             ;   in Loop: Header=BB6_354 Depth=4
	v_cmp_lt_u64_e32 vcc, s[88:89], v[52:53]
	v_add_u32_e32 v0, 7, v9
	v_cndmask_b32_e32 v2, v3, v0, vcc
	v_cndmask_b32_e64 v0, 0, 1, vcc
	v_lshrrev_b64 v[0:1], v0, v[52:53]
; %bb.3073:                             ;   in Loop: Header=BB6_354 Depth=4
	s_andn2_saveexec_b64 s[40:41], s[40:41]
; %bb.3074:                             ;   in Loop: Header=BB6_354 Depth=4
	v_mov_b32_e32 v0, v52
	v_bfe_u32 v2, v52, 23, 1
	v_mov_b32_e32 v1, v53
; %bb.3075:                             ;   in Loop: Header=BB6_354 Depth=4
	s_or_b64 exec, exec, s[40:41]
	v_lshrrev_b64 v[0:1], 20, v[0:1]
	v_cmp_gt_i32_e32 vcc, 16, v2
	v_cndmask_b32_e32 v1, 0, v1, vcc
	v_cndmask_b32_e32 v0, 7, v0, vcc
	v_cmp_eq_u64_e64 s[40:41], 0, v[0:1]
	v_min_i32_e32 v1, 15, v2
	v_lshlrev_b32_e32 v1, 3, v1
	v_cmp_eq_u32_e32 vcc, 0, v2
	v_and_b32_e32 v1, 0xf8, v1
	v_and_or_b32 v0, v0, 7, v1
	s_and_b64 s[40:41], vcc, s[40:41]
	v_cndmask_b32_e64 v0, v0, 0, s[40:41]
	v_or_b32_e32 v3, v0, v5
.LBB6_3076:                             ;   in Loop: Header=BB6_354 Depth=4
	s_or_b64 exec, exec, s[50:51]
                                        ; implicit-def: $vgpr5
.LBB6_3077:                             ;   in Loop: Header=BB6_354 Depth=4
	s_andn2_saveexec_b64 s[40:41], s[48:49]
; %bb.3078:                             ;   in Loop: Header=BB6_354 Depth=4
	v_or_b32_e32 v3, 0x7e, v5
; %bb.3079:                             ;   in Loop: Header=BB6_354 Depth=4
	s_or_b64 exec, exec, s[40:41]
                                        ; implicit-def: $vgpr0
.LBB6_3080:                             ;   in Loop: Header=BB6_354 Depth=4
	s_andn2_saveexec_b64 s[40:41], s[38:39]
; %bb.3081:                             ;   in Loop: Header=BB6_354 Depth=4
	v_or_b32_sdwa v3, v0, s83 dst_sel:DWORD dst_unused:UNUSED_PAD src0_sel:BYTE_3 src1_sel:DWORD
; %bb.3082:                             ;   in Loop: Header=BB6_354 Depth=4
	s_or_b64 exec, exec, s[40:41]
	v_lshrrev_b32_e32 v2, 16, v15
	v_lshrrev_b32_e32 v0, 16, v11
	v_cmp_ne_u16_sdwa s[40:41], v2, v53 src0_sel:BYTE_0 src1_sel:DWORD
	s_and_b64 vcc, exec, s[28:29]
	s_mov_b64 s[38:39], -1
                                        ; implicit-def: $vgpr1
	s_cbranch_vccnz .LBB6_3096
; %bb.3083:                             ;   in Loop: Header=BB6_354 Depth=4
	v_mov_b32_e32 v5, 0
	v_mov_b32_e32 v1, 0
	s_and_saveexec_b64 s[38:39], s[40:41]
	s_cbranch_execz .LBB6_3089
; %bb.3084:                             ;   in Loop: Header=BB6_354 Depth=4
	v_cmp_ne_u16_sdwa vcc, v2, s82 src0_sel:BYTE_0 src1_sel:DWORD
	v_bfrev_b32_e32 v1, 1
	s_and_saveexec_b64 s[48:49], vcc
	s_cbranch_execz .LBB6_3088
; %bb.3085:                             ;   in Loop: Header=BB6_354 Depth=4
	v_bfe_u32 v9, v15, 16, 7
	v_cmp_ne_u32_e32 vcc, s83, v9
	v_mov_b32_e32 v1, 0x7f800001
	s_and_saveexec_b64 s[50:51], vcc
	s_cbranch_execz .LBB6_3087
; %bb.3086:                             ;   in Loop: Header=BB6_354 Depth=4
	v_and_b32_e32 v1, 7, v2
	v_lshrrev_b32_e32 v51, 3, v9
	v_cmp_gt_u32_e32 vcc, 8, v9
	v_ffbh_u32_e32 v9, v1
	v_min_u32_e32 v9, 32, v9
	v_subrev_u32_e32 v28, 28, v9
	v_lshlrev_b64 v[28:29], v28, v[2:3]
	v_sub_u32_e32 v9, 29, v9
	v_and_b32_e32 v28, 7, v28
	v_cndmask_b32_e32 v9, v51, v9, vcc
	v_cndmask_b32_e32 v1, v1, v28, vcc
	v_lshlrev_b32_e32 v28, 24, v2
	v_bfrev_b32_e32 v29, 60
	v_lshlrev_b32_e32 v1, 20, v1
	v_and_b32_e32 v28, 0x80000000, v28
	v_lshl_add_u32 v9, v9, 23, v29
	v_or3_b32 v1, v28, v9, v1
.LBB6_3087:                             ;   in Loop: Header=BB6_354 Depth=4
	s_or_b64 exec, exec, s[50:51]
.LBB6_3088:                             ;   in Loop: Header=BB6_354 Depth=4
	s_or_b64 exec, exec, s[48:49]
.LBB6_3089:                             ;   in Loop: Header=BB6_354 Depth=4
	s_or_b64 exec, exec, s[38:39]
	v_cmp_ne_u16_sdwa vcc, v0, v53 src0_sel:BYTE_0 src1_sel:DWORD
	s_and_saveexec_b64 s[38:39], vcc
	s_cbranch_execz .LBB6_3095
; %bb.3090:                             ;   in Loop: Header=BB6_354 Depth=4
	v_cmp_ne_u16_sdwa vcc, v0, s82 src0_sel:BYTE_0 src1_sel:DWORD
	v_bfrev_b32_e32 v5, 1
	s_and_saveexec_b64 s[48:49], vcc
	s_cbranch_execz .LBB6_3094
; %bb.3091:                             ;   in Loop: Header=BB6_354 Depth=4
	v_bfe_u32 v9, v11, 16, 7
	v_cmp_ne_u32_e32 vcc, s83, v9
	v_mov_b32_e32 v5, 0x7f800001
	s_and_saveexec_b64 s[50:51], vcc
	s_cbranch_execz .LBB6_3093
; %bb.3092:                             ;   in Loop: Header=BB6_354 Depth=4
	v_and_b32_e32 v5, 7, v0
	v_lshrrev_b32_e32 v51, 3, v9
	v_cmp_gt_u32_e32 vcc, 8, v9
	v_ffbh_u32_e32 v9, v5
	v_min_u32_e32 v9, 32, v9
	v_subrev_u32_e32 v28, 28, v9
	v_lshlrev_b64 v[28:29], v28, v[0:1]
	v_sub_u32_e32 v9, 29, v9
	v_and_b32_e32 v28, 7, v28
	v_cndmask_b32_e32 v9, v51, v9, vcc
	v_cndmask_b32_e32 v5, v5, v28, vcc
	v_lshlrev_b32_e32 v28, 24, v0
	v_bfrev_b32_e32 v29, 60
	v_lshlrev_b32_e32 v5, 20, v5
	v_and_b32_e32 v28, 0x80000000, v28
	v_lshl_add_u32 v9, v9, 23, v29
	v_or3_b32 v5, v28, v9, v5
.LBB6_3093:                             ;   in Loop: Header=BB6_354 Depth=4
	s_or_b64 exec, exec, s[50:51]
.LBB6_3094:                             ;   in Loop: Header=BB6_354 Depth=4
	s_or_b64 exec, exec, s[48:49]
.LBB6_3095:                             ;   in Loop: Header=BB6_354 Depth=4
	s_or_b64 exec, exec, s[38:39]
	v_max_f32_e32 v5, v5, v5
	v_max_f32_e32 v1, v1, v1
	;; [unrolled: 1-line block ×3, first 2 shown]
	s_mov_b64 s[38:39], 0
.LBB6_3096:                             ;   in Loop: Header=BB6_354 Depth=4
	s_and_b64 vcc, exec, s[38:39]
	s_cbranch_vccz .LBB6_3110
; %bb.3097:                             ;   in Loop: Header=BB6_354 Depth=4
	v_mov_b32_e32 v5, 0
	v_mov_b32_e32 v1, 0
	s_and_saveexec_b64 s[38:39], s[40:41]
	s_cbranch_execz .LBB6_3103
; %bb.3098:                             ;   in Loop: Header=BB6_354 Depth=4
	v_cmp_ne_u16_sdwa vcc, v2, s82 src0_sel:BYTE_0 src1_sel:DWORD
	v_bfrev_b32_e32 v1, 1
	s_and_saveexec_b64 s[40:41], vcc
	s_cbranch_execz .LBB6_3102
; %bb.3099:                             ;   in Loop: Header=BB6_354 Depth=4
	v_bfe_u32 v9, v15, 16, 7
	v_cmp_ne_u32_e32 vcc, s83, v9
	v_mov_b32_e32 v1, 0x7f800001
	s_and_saveexec_b64 s[48:49], vcc
	s_cbranch_execz .LBB6_3101
; %bb.3100:                             ;   in Loop: Header=BB6_354 Depth=4
	v_and_b32_e32 v1, 7, v2
	v_lshrrev_b32_e32 v51, 3, v9
	v_cmp_gt_u32_e32 vcc, 8, v9
	v_ffbh_u32_e32 v9, v1
	v_min_u32_e32 v9, 32, v9
	v_subrev_u32_e32 v28, 28, v9
	v_lshlrev_b64 v[28:29], v28, v[2:3]
	v_sub_u32_e32 v9, 29, v9
	v_and_b32_e32 v28, 7, v28
	v_cndmask_b32_e32 v9, v51, v9, vcc
	v_cndmask_b32_e32 v1, v1, v28, vcc
	v_lshlrev_b32_e32 v2, 24, v2
	v_bfrev_b32_e32 v28, 60
	v_lshlrev_b32_e32 v1, 20, v1
	v_and_b32_e32 v2, 0x80000000, v2
	v_lshl_add_u32 v9, v9, 23, v28
	v_or3_b32 v1, v2, v9, v1
.LBB6_3101:                             ;   in Loop: Header=BB6_354 Depth=4
	s_or_b64 exec, exec, s[48:49]
.LBB6_3102:                             ;   in Loop: Header=BB6_354 Depth=4
	s_or_b64 exec, exec, s[40:41]
.LBB6_3103:                             ;   in Loop: Header=BB6_354 Depth=4
	s_or_b64 exec, exec, s[38:39]
	v_cmp_ne_u16_sdwa vcc, v0, v53 src0_sel:BYTE_0 src1_sel:DWORD
	s_and_saveexec_b64 s[40:41], vcc
	s_cbranch_execz .LBB6_3109
; %bb.3104:                             ;   in Loop: Header=BB6_354 Depth=4
	v_cmp_ne_u16_sdwa vcc, v0, s82 src0_sel:BYTE_0 src1_sel:DWORD
	v_bfrev_b32_e32 v5, 1
	s_and_saveexec_b64 s[38:39], vcc
	s_cbranch_execz .LBB6_3108
; %bb.3105:                             ;   in Loop: Header=BB6_354 Depth=4
	v_bfe_u32 v2, v11, 16, 7
	v_cmp_ne_u32_e32 vcc, s83, v2
	v_mov_b32_e32 v5, 0x7f800001
	s_and_saveexec_b64 s[48:49], vcc
	s_cbranch_execz .LBB6_3107
; %bb.3106:                             ;   in Loop: Header=BB6_354 Depth=4
	v_and_b32_e32 v5, 7, v0
	v_lshrrev_b32_e32 v9, 3, v2
	v_cmp_gt_u32_e32 vcc, 8, v2
	v_ffbh_u32_e32 v2, v5
	v_min_u32_e32 v2, 32, v2
	v_subrev_u32_e32 v28, 28, v2
	v_lshlrev_b64 v[28:29], v28, v[0:1]
	v_sub_u32_e32 v2, 29, v2
	v_and_b32_e32 v28, 7, v28
	v_cndmask_b32_e32 v2, v9, v2, vcc
	v_cndmask_b32_e32 v5, v5, v28, vcc
	v_lshlrev_b32_e32 v0, 24, v0
	v_bfrev_b32_e32 v9, 60
	v_lshlrev_b32_e32 v5, 20, v5
	v_and_b32_e32 v0, 0x80000000, v0
	v_lshl_add_u32 v2, v2, 23, v9
	v_or3_b32 v5, v0, v2, v5
.LBB6_3107:                             ;   in Loop: Header=BB6_354 Depth=4
	s_or_b64 exec, exec, s[48:49]
.LBB6_3108:                             ;   in Loop: Header=BB6_354 Depth=4
	s_or_b64 exec, exec, s[38:39]
.LBB6_3109:                             ;   in Loop: Header=BB6_354 Depth=4
	s_or_b64 exec, exec, s[40:41]
	v_max_f32_e32 v0, v5, v5
	v_max_f32_e32 v1, v1, v1
	v_min_f32_e32 v1, v1, v0
.LBB6_3110:                             ;   in Loop: Header=BB6_354 Depth=4
	v_and_b32_e32 v52, 0x7f800000, v1
	v_cmp_ne_u64_e32 vcc, s[76:77], v[52:53]
                                        ; implicit-def: $vgpr5
	s_and_saveexec_b64 s[40:41], vcc
	s_xor_b64 s[38:39], exec, s[40:41]
	s_cbranch_execz .LBB6_3124
; %bb.3111:                             ;   in Loop: Header=BB6_354 Depth=4
	v_and_b32_e32 v52, 0x7fffffff, v1
	v_cmp_gt_u64_e32 vcc, s[78:79], v[52:53]
	v_and_b32_sdwa v9, v1, s82 dst_sel:DWORD dst_unused:UNUSED_PAD src0_sel:BYTE_3 src1_sel:DWORD
                                        ; implicit-def: $vgpr5
	s_and_saveexec_b64 s[40:41], vcc
	s_xor_b64 s[48:49], exec, s[40:41]
	s_cbranch_execz .LBB6_3121
; %bb.3112:                             ;   in Loop: Header=BB6_354 Depth=4
	v_mov_b32_e32 v5, 0
	v_cmp_ne_u32_e32 vcc, 0, v1
	s_and_saveexec_b64 s[50:51], vcc
	s_cbranch_execz .LBB6_3120
; %bb.3113:                             ;   in Loop: Header=BB6_354 Depth=4
	v_bfe_u32 v5, v1, 23, 8
	v_and_b32_e32 v0, 0x7fffff, v1
	v_cmp_gt_u32_e64 s[40:41], s85, v5
	v_sub_u32_e32 v1, 0x79, v5
	v_cmp_eq_u32_e32 vcc, 0, v5
	v_cndmask_b32_e64 v1, 0, v1, s[40:41]
	v_mov_b32_e32 v28, 0x78
	v_or_b32_e32 v2, 0x800000, v0
	v_cndmask_b32_e32 v51, v1, v28, vcc
	v_cndmask_b32_e32 v52, v2, v0, vcc
	v_add_u32_e32 v0, 20, v51
	v_lshlrev_b64 v[0:1], v0, -1
	v_add_u32_e32 v2, 19, v51
	v_lshlrev_b64 v[28:29], v2, 1
	v_bfi_b32 v1, v1, 0, 0
	v_bfi_b32 v0, v0, 0, v52
	v_cmp_eq_u64_e64 s[40:41], v[0:1], v[28:29]
	v_lshrrev_b64 v[0:1], v51, v[52:53]
	v_mov_b32_e32 v2, v1
	v_mov_b32_e32 v1, v0
	s_and_saveexec_b64 s[52:53], s[40:41]
; %bb.3114:                             ;   in Loop: Header=BB6_354 Depth=4
	v_bfe_u32 v1, v0, 20, 1
	v_add_co_u32_e64 v1, s[40:41], v0, v1
	v_add_co_u32_e64 v1, s[40:41], -1, v1
; %bb.3115:                             ;   in Loop: Header=BB6_354 Depth=4
	s_or_b64 exec, exec, s[52:53]
	v_add_u32_e32 v2, 0xffffff81, v5
	v_mov_b32_e32 v5, 0xffffff82
	v_cndmask_b32_e32 v2, v2, v5, vcc
	v_lshrrev_b32_e32 v5, 23, v0
	v_add3_u32 v51, v51, v2, v5
	v_add_u32_e32 v5, 6, v51
	v_and_b32_e32 v1, 0xfffff, v1
	v_add_u32_e32 v52, v1, v0
	v_cmp_ne_u32_e32 vcc, 0, v5
                                        ; implicit-def: $vgpr0_vgpr1
                                        ; implicit-def: $vgpr2
	s_and_saveexec_b64 s[40:41], vcc
	s_xor_b64 s[40:41], exec, s[40:41]
; %bb.3116:                             ;   in Loop: Header=BB6_354 Depth=4
	v_cmp_lt_u64_e32 vcc, s[88:89], v[52:53]
	v_add_u32_e32 v0, 7, v51
	v_cndmask_b32_e32 v2, v5, v0, vcc
	v_cndmask_b32_e64 v0, 0, 1, vcc
	v_lshrrev_b64 v[0:1], v0, v[52:53]
; %bb.3117:                             ;   in Loop: Header=BB6_354 Depth=4
	s_andn2_saveexec_b64 s[40:41], s[40:41]
; %bb.3118:                             ;   in Loop: Header=BB6_354 Depth=4
	v_mov_b32_e32 v0, v52
	v_bfe_u32 v2, v52, 23, 1
	v_mov_b32_e32 v1, v53
; %bb.3119:                             ;   in Loop: Header=BB6_354 Depth=4
	s_or_b64 exec, exec, s[40:41]
	v_lshrrev_b64 v[0:1], 20, v[0:1]
	v_cmp_gt_i32_e32 vcc, 16, v2
	v_cndmask_b32_e32 v1, 0, v1, vcc
	v_cndmask_b32_e32 v0, 7, v0, vcc
	v_cmp_eq_u64_e64 s[40:41], 0, v[0:1]
	v_min_i32_e32 v1, 15, v2
	v_lshlrev_b32_e32 v1, 3, v1
	v_cmp_eq_u32_e32 vcc, 0, v2
	v_and_b32_e32 v1, 0xf8, v1
	v_and_or_b32 v0, v0, 7, v1
	s_and_b64 s[40:41], vcc, s[40:41]
	v_cndmask_b32_e64 v0, v0, 0, s[40:41]
	v_or_b32_e32 v5, v0, v9
.LBB6_3120:                             ;   in Loop: Header=BB6_354 Depth=4
	s_or_b64 exec, exec, s[50:51]
                                        ; implicit-def: $vgpr9
.LBB6_3121:                             ;   in Loop: Header=BB6_354 Depth=4
	s_andn2_saveexec_b64 s[40:41], s[48:49]
; %bb.3122:                             ;   in Loop: Header=BB6_354 Depth=4
	v_or_b32_e32 v5, 0x7e, v9
; %bb.3123:                             ;   in Loop: Header=BB6_354 Depth=4
	s_or_b64 exec, exec, s[40:41]
                                        ; implicit-def: $vgpr1
.LBB6_3124:                             ;   in Loop: Header=BB6_354 Depth=4
	s_andn2_saveexec_b64 s[40:41], s[38:39]
; %bb.3125:                             ;   in Loop: Header=BB6_354 Depth=4
	v_or_b32_sdwa v5, v1, s83 dst_sel:DWORD dst_unused:UNUSED_PAD src0_sel:BYTE_3 src1_sel:DWORD
; %bb.3126:                             ;   in Loop: Header=BB6_354 Depth=4
	s_or_b64 exec, exec, s[40:41]
	v_cmp_lt_u64_e64 s[40:41], s[62:63], v[14:15]
	v_lshrrev_b32_e32 v2, 24, v15
	v_lshrrev_b32_e32 v0, 24, v11
	s_and_b64 vcc, exec, s[28:29]
	s_mov_b64 s[28:29], -1
                                        ; implicit-def: $vgpr1
	s_cbranch_vccnz .LBB6_3140
; %bb.3127:                             ;   in Loop: Header=BB6_354 Depth=4
	v_mov_b32_e32 v9, 0
	v_mov_b32_e32 v1, 0
	s_and_saveexec_b64 s[28:29], s[40:41]
	s_cbranch_execz .LBB6_3133
; %bb.3128:                             ;   in Loop: Header=BB6_354 Depth=4
	v_cmp_ne_u32_e32 vcc, s82, v2
	v_bfrev_b32_e32 v1, 1
	s_and_saveexec_b64 s[38:39], vcc
	s_cbranch_execz .LBB6_3132
; %bb.3129:                             ;   in Loop: Header=BB6_354 Depth=4
	v_bfe_u32 v14, v15, 24, 7
	v_cmp_ne_u32_e32 vcc, s83, v14
	v_mov_b32_e32 v1, 0x7f800001
	s_and_saveexec_b64 s[48:49], vcc
	s_cbranch_execz .LBB6_3131
; %bb.3130:                             ;   in Loop: Header=BB6_354 Depth=4
	v_and_b32_e32 v1, 7, v2
	v_lshrrev_b32_e32 v51, 3, v14
	v_cmp_gt_u32_e32 vcc, 8, v14
	v_ffbh_u32_e32 v14, v1
	v_min_u32_e32 v14, 32, v14
	v_subrev_u32_e32 v28, 28, v14
	v_lshlrev_b64 v[28:29], v28, v[2:3]
	v_sub_u32_e32 v14, 29, v14
	v_and_b32_e32 v28, 7, v28
	v_cndmask_b32_e32 v14, v51, v14, vcc
	v_cndmask_b32_e32 v1, v1, v28, vcc
	v_lshlrev_b32_e32 v28, 24, v2
	v_bfrev_b32_e32 v29, 60
	v_lshlrev_b32_e32 v1, 20, v1
	v_and_b32_e32 v28, 0x80000000, v28
	v_lshl_add_u32 v14, v14, 23, v29
	v_or3_b32 v1, v28, v14, v1
.LBB6_3131:                             ;   in Loop: Header=BB6_354 Depth=4
	s_or_b64 exec, exec, s[48:49]
.LBB6_3132:                             ;   in Loop: Header=BB6_354 Depth=4
	s_or_b64 exec, exec, s[38:39]
.LBB6_3133:                             ;   in Loop: Header=BB6_354 Depth=4
	s_or_b64 exec, exec, s[28:29]
	v_cmp_lt_u64_e32 vcc, s[62:63], v[10:11]
	s_and_saveexec_b64 s[28:29], vcc
	s_cbranch_execz .LBB6_3139
; %bb.3134:                             ;   in Loop: Header=BB6_354 Depth=4
	v_cmp_ne_u32_e32 vcc, s82, v0
	v_bfrev_b32_e32 v9, 1
	s_and_saveexec_b64 s[38:39], vcc
	s_cbranch_execz .LBB6_3138
; %bb.3135:                             ;   in Loop: Header=BB6_354 Depth=4
	v_bfe_u32 v14, v11, 24, 7
	v_cmp_ne_u32_e32 vcc, s83, v14
	v_mov_b32_e32 v9, 0x7f800001
	s_and_saveexec_b64 s[48:49], vcc
	s_cbranch_execz .LBB6_3137
; %bb.3136:                             ;   in Loop: Header=BB6_354 Depth=4
	v_and_b32_e32 v9, 7, v0
	v_lshrrev_b32_e32 v51, 3, v14
	v_cmp_gt_u32_e32 vcc, 8, v14
	v_ffbh_u32_e32 v14, v9
	v_min_u32_e32 v14, 32, v14
	v_subrev_u32_e32 v28, 28, v14
	v_lshlrev_b64 v[28:29], v28, v[0:1]
	v_sub_u32_e32 v14, 29, v14
	v_and_b32_e32 v28, 7, v28
	v_cndmask_b32_e32 v14, v51, v14, vcc
	v_cndmask_b32_e32 v9, v9, v28, vcc
	v_lshlrev_b32_e32 v28, 24, v0
	v_bfrev_b32_e32 v29, 60
	v_lshlrev_b32_e32 v9, 20, v9
	v_and_b32_e32 v28, 0x80000000, v28
	v_lshl_add_u32 v14, v14, 23, v29
	v_or3_b32 v9, v28, v14, v9
.LBB6_3137:                             ;   in Loop: Header=BB6_354 Depth=4
	s_or_b64 exec, exec, s[48:49]
.LBB6_3138:                             ;   in Loop: Header=BB6_354 Depth=4
	s_or_b64 exec, exec, s[38:39]
.LBB6_3139:                             ;   in Loop: Header=BB6_354 Depth=4
	s_or_b64 exec, exec, s[28:29]
	v_max_f32_e32 v9, v9, v9
	v_max_f32_e32 v1, v1, v1
	;; [unrolled: 1-line block ×3, first 2 shown]
	s_mov_b64 s[28:29], 0
.LBB6_3140:                             ;   in Loop: Header=BB6_354 Depth=4
	s_and_b64 vcc, exec, s[28:29]
	s_cbranch_vccz .LBB6_3154
; %bb.3141:                             ;   in Loop: Header=BB6_354 Depth=4
	v_mov_b32_e32 v9, 0
	v_mov_b32_e32 v1, 0
	s_and_saveexec_b64 s[28:29], s[40:41]
	s_cbranch_execz .LBB6_3147
; %bb.3142:                             ;   in Loop: Header=BB6_354 Depth=4
	v_cmp_ne_u32_e32 vcc, s82, v2
	v_bfrev_b32_e32 v1, 1
	s_and_saveexec_b64 s[40:41], vcc
	s_cbranch_execz .LBB6_3146
; %bb.3143:                             ;   in Loop: Header=BB6_354 Depth=4
	v_bfe_u32 v14, v15, 24, 7
	v_cmp_ne_u32_e32 vcc, s83, v14
	v_mov_b32_e32 v1, 0x7f800001
	s_and_saveexec_b64 s[38:39], vcc
	s_cbranch_execz .LBB6_3145
; %bb.3144:                             ;   in Loop: Header=BB6_354 Depth=4
	v_and_b32_e32 v1, 7, v2
	v_lshrrev_b32_e32 v28, 3, v14
	v_cmp_gt_u32_e32 vcc, 8, v14
	v_ffbh_u32_e32 v14, v1
	v_min_u32_e32 v29, 32, v14
	v_subrev_u32_e32 v14, 28, v29
	v_lshlrev_b64 v[14:15], v14, v[2:3]
	v_sub_u32_e32 v15, 29, v29
	v_and_b32_e32 v14, 7, v14
	v_cndmask_b32_e32 v15, v28, v15, vcc
	v_cndmask_b32_e32 v1, v1, v14, vcc
	v_lshlrev_b32_e32 v2, 24, v2
	v_bfrev_b32_e32 v14, 60
	v_lshlrev_b32_e32 v1, 20, v1
	v_and_b32_e32 v2, 0x80000000, v2
	v_lshl_add_u32 v14, v15, 23, v14
	v_or3_b32 v1, v2, v14, v1
.LBB6_3145:                             ;   in Loop: Header=BB6_354 Depth=4
	s_or_b64 exec, exec, s[38:39]
.LBB6_3146:                             ;   in Loop: Header=BB6_354 Depth=4
	s_or_b64 exec, exec, s[40:41]
.LBB6_3147:                             ;   in Loop: Header=BB6_354 Depth=4
	s_or_b64 exec, exec, s[28:29]
	v_cmp_lt_u64_e32 vcc, s[62:63], v[10:11]
	s_and_saveexec_b64 s[28:29], vcc
	s_cbranch_execz .LBB6_3153
; %bb.3148:                             ;   in Loop: Header=BB6_354 Depth=4
	v_cmp_ne_u32_e32 vcc, s82, v0
	v_bfrev_b32_e32 v9, 1
	s_and_saveexec_b64 s[40:41], vcc
	s_cbranch_execz .LBB6_3152
; %bb.3149:                             ;   in Loop: Header=BB6_354 Depth=4
	v_bfe_u32 v2, v11, 24, 7
	v_cmp_ne_u32_e32 vcc, s83, v2
	v_mov_b32_e32 v9, 0x7f800001
	s_and_saveexec_b64 s[38:39], vcc
	s_cbranch_execz .LBB6_3151
; %bb.3150:                             ;   in Loop: Header=BB6_354 Depth=4
	v_and_b32_e32 v11, 7, v0
	v_lshrrev_b32_e32 v14, 3, v2
	v_cmp_gt_u32_e32 vcc, 8, v2
	v_ffbh_u32_e32 v2, v11
	v_min_u32_e32 v2, 32, v2
	v_subrev_u32_e32 v9, 28, v2
	v_lshlrev_b64 v[9:10], v9, v[0:1]
	v_sub_u32_e32 v2, 29, v2
	v_and_b32_e32 v9, 7, v9
	v_cndmask_b32_e32 v2, v14, v2, vcc
	v_cndmask_b32_e32 v9, v11, v9, vcc
	v_lshlrev_b32_e32 v0, 24, v0
	v_bfrev_b32_e32 v10, 60
	v_lshlrev_b32_e32 v9, 20, v9
	v_and_b32_e32 v0, 0x80000000, v0
	v_lshl_add_u32 v2, v2, 23, v10
	v_or3_b32 v9, v0, v2, v9
.LBB6_3151:                             ;   in Loop: Header=BB6_354 Depth=4
	s_or_b64 exec, exec, s[38:39]
.LBB6_3152:                             ;   in Loop: Header=BB6_354 Depth=4
	s_or_b64 exec, exec, s[40:41]
.LBB6_3153:                             ;   in Loop: Header=BB6_354 Depth=4
	s_or_b64 exec, exec, s[28:29]
	v_max_f32_e32 v0, v9, v9
	v_max_f32_e32 v1, v1, v1
	v_min_f32_e32 v1, v1, v0
.LBB6_3154:                             ;   in Loop: Header=BB6_354 Depth=4
	v_and_b32_e32 v52, 0x7f800000, v1
	v_cmp_ne_u64_e32 vcc, s[76:77], v[52:53]
                                        ; implicit-def: $vgpr0
	s_and_saveexec_b64 s[28:29], vcc
	s_xor_b64 s[40:41], exec, s[28:29]
	s_cbranch_execz .LBB6_3168
; %bb.3155:                             ;   in Loop: Header=BB6_354 Depth=4
	v_and_b32_e32 v52, 0x7fffffff, v1
	v_cmp_gt_u64_e32 vcc, s[78:79], v[52:53]
	v_and_b32_sdwa v9, v1, s82 dst_sel:DWORD dst_unused:UNUSED_PAD src0_sel:BYTE_3 src1_sel:DWORD
                                        ; implicit-def: $vgpr0
	s_and_saveexec_b64 s[28:29], vcc
	s_xor_b64 s[38:39], exec, s[28:29]
	s_cbranch_execz .LBB6_3165
; %bb.3156:                             ;   in Loop: Header=BB6_354 Depth=4
	v_mov_b32_e32 v0, 0
	v_cmp_ne_u32_e32 vcc, 0, v1
	s_and_saveexec_b64 s[48:49], vcc
	s_cbranch_execz .LBB6_3164
; %bb.3157:                             ;   in Loop: Header=BB6_354 Depth=4
	v_bfe_u32 v10, v1, 23, 8
	v_and_b32_e32 v0, 0x7fffff, v1
	v_cmp_gt_u32_e64 s[28:29], s85, v10
	v_sub_u32_e32 v1, 0x79, v10
	v_cmp_eq_u32_e32 vcc, 0, v10
	v_cndmask_b32_e64 v1, 0, v1, s[28:29]
	v_mov_b32_e32 v11, 0x78
	v_or_b32_e32 v2, 0x800000, v0
	v_cndmask_b32_e32 v11, v1, v11, vcc
	v_cndmask_b32_e32 v52, v2, v0, vcc
	v_add_u32_e32 v0, 20, v11
	v_lshlrev_b64 v[0:1], v0, -1
	v_add_u32_e32 v2, 19, v11
	v_lshlrev_b64 v[14:15], v2, 1
	v_bfi_b32 v1, v1, 0, 0
	v_bfi_b32 v0, v0, 0, v52
	v_cmp_eq_u64_e64 s[28:29], v[0:1], v[14:15]
	v_lshrrev_b64 v[0:1], v11, v[52:53]
	v_mov_b32_e32 v2, v1
	v_mov_b32_e32 v1, v0
	s_and_saveexec_b64 s[50:51], s[28:29]
; %bb.3158:                             ;   in Loop: Header=BB6_354 Depth=4
	v_bfe_u32 v1, v0, 20, 1
	v_add_co_u32_e64 v1, s[28:29], v0, v1
	v_add_co_u32_e64 v1, s[28:29], -1, v1
; %bb.3159:                             ;   in Loop: Header=BB6_354 Depth=4
	s_or_b64 exec, exec, s[50:51]
	v_add_u32_e32 v2, 0xffffff81, v10
	v_mov_b32_e32 v10, 0xffffff82
	v_cndmask_b32_e32 v2, v2, v10, vcc
	v_lshrrev_b32_e32 v10, 23, v0
	v_add3_u32 v11, v11, v2, v10
	v_add_u32_e32 v10, 6, v11
	v_and_b32_e32 v1, 0xfffff, v1
	v_add_u32_e32 v52, v1, v0
	v_cmp_ne_u32_e32 vcc, 0, v10
                                        ; implicit-def: $vgpr0_vgpr1
                                        ; implicit-def: $vgpr2
	s_and_saveexec_b64 s[28:29], vcc
	s_xor_b64 s[28:29], exec, s[28:29]
; %bb.3160:                             ;   in Loop: Header=BB6_354 Depth=4
	v_cmp_lt_u64_e32 vcc, s[88:89], v[52:53]
	v_add_u32_e32 v0, 7, v11
	v_cndmask_b32_e32 v2, v10, v0, vcc
	v_cndmask_b32_e64 v0, 0, 1, vcc
	v_lshrrev_b64 v[0:1], v0, v[52:53]
; %bb.3161:                             ;   in Loop: Header=BB6_354 Depth=4
	s_andn2_saveexec_b64 s[28:29], s[28:29]
; %bb.3162:                             ;   in Loop: Header=BB6_354 Depth=4
	v_mov_b32_e32 v0, v52
	v_bfe_u32 v2, v52, 23, 1
	v_mov_b32_e32 v1, v53
; %bb.3163:                             ;   in Loop: Header=BB6_354 Depth=4
	s_or_b64 exec, exec, s[28:29]
	v_lshrrev_b64 v[0:1], 20, v[0:1]
	v_cmp_gt_i32_e32 vcc, 16, v2
	v_cndmask_b32_e32 v1, 0, v1, vcc
	v_cndmask_b32_e32 v0, 7, v0, vcc
	v_cmp_eq_u64_e64 s[28:29], 0, v[0:1]
	v_min_i32_e32 v1, 15, v2
	v_lshlrev_b32_e32 v1, 3, v1
	v_cmp_eq_u32_e32 vcc, 0, v2
	v_and_b32_e32 v1, 0xf8, v1
	v_and_or_b32 v0, v0, 7, v1
	s_and_b64 s[28:29], vcc, s[28:29]
	v_cndmask_b32_e64 v0, v0, 0, s[28:29]
	v_or_b32_e32 v0, v0, v9
.LBB6_3164:                             ;   in Loop: Header=BB6_354 Depth=4
	s_or_b64 exec, exec, s[48:49]
                                        ; implicit-def: $vgpr9
.LBB6_3165:                             ;   in Loop: Header=BB6_354 Depth=4
	s_andn2_saveexec_b64 s[28:29], s[38:39]
; %bb.3166:                             ;   in Loop: Header=BB6_354 Depth=4
	v_or_b32_e32 v0, 0x7e, v9
; %bb.3167:                             ;   in Loop: Header=BB6_354 Depth=4
	s_or_b64 exec, exec, s[28:29]
                                        ; implicit-def: $vgpr1
.LBB6_3168:                             ;   in Loop: Header=BB6_354 Depth=4
	s_or_saveexec_b64 s[28:29], s[40:41]
	buffer_load_dword v15, off, s[0:3], s33 offset:96 ; 4-byte Folded Reload
	buffer_load_dword v28, off, s[0:3], s33 offset:104 ; 4-byte Folded Reload
	;; [unrolled: 1-line block ×5, first 2 shown]
	s_xor_b64 exec, exec, s[28:29]
	s_cbranch_execz .LBB6_353
; %bb.3169:                             ;   in Loop: Header=BB6_354 Depth=4
	v_or_b32_sdwa v0, v1, s83 dst_sel:DWORD dst_unused:UNUSED_PAD src0_sel:BYTE_3 src1_sel:DWORD
	s_branch .LBB6_353
.LBB6_3170:                             ;   in Loop: Header=BB6_272 Depth=3
	s_or_b64 exec, exec, s[44:45]
	buffer_load_dword v38, off, s[0:3], s33 offset:308 ; 4-byte Folded Reload
	buffer_load_dword v49, off, s[0:3], s33 offset:284 ; 4-byte Folded Reload
	;; [unrolled: 1-line block ×12, first 2 shown]
.LBB6_3171:                             ;   in Loop: Header=BB6_272 Depth=3
	s_or_b64 exec, exec, s[42:43]
	s_waitcnt vmcnt(0)
	v_lshlrev_b32_e32 v4, 12, v1
	v_cmp_ne_u32_e32 vcc, v50, v4
	s_mov_b64 s[28:29], 0
	v_mov_b32_e32 v3, 0
                                        ; implicit-def: $vgpr5
                                        ; implicit-def: $vgpr2
	s_and_saveexec_b64 s[38:39], vcc
	s_cbranch_execz .LBB6_3881
; %bb.3172:                             ;   in Loop: Header=BB6_272 Depth=3
	buffer_load_dword v2, off, s[0:3], s33 offset:328 ; 4-byte Folded Reload
	v_lshlrev_b32_e32 v0, 6, v61
	v_sub_u32_e32 v1, v50, v4
	s_waitcnt vmcnt(0)
	v_sub_u32_e32 v0, v2, v0
	v_ashrrev_i32_e32 v2, 31, v0
	v_lshrrev_b32_e32 v2, 26, v2
	v_add_u32_e32 v2, v0, v2
	v_ashrrev_i32_e32 v3, 6, v2
	v_and_b32_e32 v2, 0xffffffc0, v2
	v_sub_u32_e32 v7, v0, v2
	v_ashrrev_i32_e32 v2, 31, v1
	v_lshrrev_b32_e32 v2, 22, v2
	v_add_u32_e32 v2, v1, v2
	v_and_b32_e32 v22, 0xfffffc00, v2
	v_lshlrev_b32_e32 v0, 4, v7
	v_sub_u32_e32 v23, v1, v22
	v_lshl_add_u32 v0, v3, 10, v0
	v_ashrrev_i32_e32 v5, 10, v2
	v_cmp_lt_i32_e64 s[28:29], 15, v23
	v_sub_u32_e32 v25, v1, v0
	v_addc_co_u32_e64 v1, vcc, 0, v5, s[28:29]
	v_sub_u32_e32 v24, v1, v3
	v_cmp_lt_i32_e32 vcc, 15, v25
	s_and_saveexec_b64 s[48:49], vcc
	s_cbranch_execz .LBB6_3880
; %bb.3173:                             ;   in Loop: Header=BB6_272 Depth=3
	v_add_u32_e32 v2, v0, v4
	s_trap 2
	ds_read_b64 v[0:1], v0
	v_ashrrev_i32_e32 v3, 31, v2
	v_add_co_u32_e32 v16, vcc, v2, v42
	v_addc_co_u32_e32 v17, vcc, v3, v43, vcc
	s_waitcnt lgkmcnt(0)
	v_add_co_u32_e32 v18, vcc, v0, v2
	v_addc_co_u32_e32 v19, vcc, v1, v3, vcc
	v_add_co_u32_e32 v20, vcc, v2, v40
	s_bitcmp1_b32 s87, 0
	v_addc_co_u32_e32 v21, vcc, v3, v41, vcc
	s_mov_b64 s[50:51], 0
	s_cselect_b64 s[52:53], -1, 0
	s_branch .LBB6_3175
.LBB6_3174:                             ;   in Loop: Header=BB6_3175 Depth=4
	s_or_b64 exec, exec, s[40:41]
	v_lshl_or_b32 v1, v31, 8, v30
	v_lshlrev_b32_e32 v2, 16, v32
	v_lshlrev_b32_e32 v8, 24, v8
	v_or3_b32 v11, v1, v2, v8
	v_lshl_or_b32 v1, v27, 8, v26
	v_lshlrev_b32_e32 v2, 16, v28
	v_lshlrev_b32_e32 v8, 24, v29
	v_or3_b32 v10, v1, v2, v8
	;; [unrolled: 4-line block ×3, first 2 shown]
	v_lshlrev_b32_e32 v0, 24, v0
	v_lshlrev_b32_e32 v1, 16, v5
	v_lshl_or_b32 v2, v3, 8, v6
	v_or3_b32 v13, v2, v1, v0
	buffer_load_dword v0, off, s[0:3], s33 offset:228 ; 4-byte Folded Reload
	v_sub_u32_e32 v24, v24, v48
	global_store_dwordx4 v[20:21], v[10:13], off glc slc
	s_waitcnt vmcnt(1)
	v_add_co_u32_e32 v16, vcc, v16, v0
	v_addc_co_u32_e32 v17, vcc, 0, v17, vcc
	v_add_co_u32_e32 v18, vcc, v18, v0
	v_addc_co_u32_e32 v19, vcc, 0, v19, vcc
	;; [unrolled: 2-line block ×3, first 2 shown]
	v_sub_u32_e32 v25, v25, v0
	v_cmp_gt_i32_e32 vcc, 16, v25
	s_or_b64 s[50:51], vcc, s[50:51]
	s_andn2_b64 exec, exec, s[50:51]
	s_cbranch_execz .LBB6_3879
.LBB6_3175:                             ;   Parent Loop BB6_47 Depth=1
                                        ;     Parent Loop BB6_269 Depth=2
                                        ;       Parent Loop BB6_272 Depth=3
                                        ; =>      This Inner Loop Header: Depth=4
	global_load_dwordx4 v[8:11], v[16:17], off glc slc
	global_load_dwordx4 v[12:15], v[18:19], off glc slc
	v_bfrev_b32_e32 v3, 60
	s_mov_b64 s[44:45], -1
	s_waitcnt vmcnt(1)
	v_cmp_ne_u16_sdwa s[42:43], v8, v53 src0_sel:BYTE_0 src1_sel:DWORD
	s_waitcnt vmcnt(0)
	v_and_b32_e32 v0, 7, v12
	v_ffbh_u32_e32 v0, v0
	v_and_b32_e32 v1, 0x7f, v12
	v_min_u32_e32 v0, 32, v0
	v_bfe_u32 v2, v12, 3, 4
	v_cmp_eq_u32_e64 s[40:41], s83, v1
	v_cmp_gt_u32_e32 vcc, 8, v1
	v_subrev_u32_e32 v1, 28, v0
	v_sub_u32_e32 v0, 29, v0
	v_cndmask_b32_e32 v2, v2, v0, vcc
	v_cndmask_b32_e32 v0, 0, v1, vcc
	v_lshlrev_b64 v[0:1], v0, v[12:13]
	v_lshlrev_b32_e32 v1, 24, v12
	v_lshlrev_b32_e32 v0, 20, v0
	v_and_b32_e32 v0, 0x700000, v0
	v_and_b32_e32 v1, 0x80000000, v1
	v_lshl_add_u32 v2, v2, 23, v3
	v_or3_b32 v0, v1, v2, v0
	s_and_b64 vcc, exec, s[52:53]
                                        ; implicit-def: $vgpr1
	s_cbranch_vccz .LBB6_3189
; %bb.3176:                             ;   in Loop: Header=BB6_3175 Depth=4
	v_mov_b32_e32 v1, 0
	s_and_saveexec_b64 s[44:45], s[42:43]
	s_cbranch_execz .LBB6_3182
; %bb.3177:                             ;   in Loop: Header=BB6_3175 Depth=4
	v_cmp_ne_u16_sdwa vcc, v8, s82 src0_sel:BYTE_0 src1_sel:DWORD
	v_bfrev_b32_e32 v1, 1
	s_and_saveexec_b64 s[46:47], vcc
	s_cbranch_execz .LBB6_3181
; %bb.3178:                             ;   in Loop: Header=BB6_3175 Depth=4
	v_and_b32_e32 v2, 0x7f, v8
	v_cmp_ne_u32_e32 vcc, s83, v2
	v_mov_b32_e32 v1, 0x7f800001
	s_and_saveexec_b64 s[54:55], vcc
	s_cbranch_execz .LBB6_3180
; %bb.3179:                             ;   in Loop: Header=BB6_3175 Depth=4
	v_and_b32_e32 v1, 7, v8
	v_ffbh_u32_e32 v1, v1
	v_min_u32_e32 v1, 32, v1
	v_lshrrev_b32_e32 v3, 3, v2
	v_cmp_gt_u32_e32 vcc, 8, v2
	v_subrev_u32_e32 v2, 28, v1
	v_sub_u32_e32 v1, 29, v1
	v_cndmask_b32_e32 v3, v3, v1, vcc
	v_cndmask_b32_e32 v1, 0, v2, vcc
	v_lshlrev_b64 v[1:2], v1, v[8:9]
	v_lshlrev_b32_e32 v2, 24, v8
	v_lshlrev_b32_e32 v1, 20, v1
	v_bfrev_b32_e32 v5, 60
	v_and_b32_e32 v1, 0x700000, v1
	v_and_b32_e32 v2, 0x80000000, v2
	v_lshl_add_u32 v3, v3, 23, v5
	v_or3_b32 v1, v2, v3, v1
.LBB6_3180:                             ;   in Loop: Header=BB6_3175 Depth=4
	s_or_b64 exec, exec, s[54:55]
.LBB6_3181:                             ;   in Loop: Header=BB6_3175 Depth=4
	s_or_b64 exec, exec, s[46:47]
.LBB6_3182:                             ;   in Loop: Header=BB6_3175 Depth=4
	s_or_b64 exec, exec, s[44:45]
	v_cmp_gt_i16_sdwa s[46:47], v12, s83 src0_sel:BYTE_0 src1_sel:DWORD
	s_mov_b64 s[44:45], 0
	s_and_saveexec_b64 vcc, s[46:47]
	s_xor_b64 s[46:47], exec, vcc
	s_cbranch_execz .LBB6_3831
; %bb.3183:                             ;   in Loop: Header=BB6_3175 Depth=4
	v_cmp_eq_u16_sdwa s[54:55], v12, s82 src0_sel:BYTE_0 src1_sel:DWORD
	s_mov_b64 s[44:45], -1
	s_and_saveexec_b64 vcc, s[54:55]
; %bb.3184:                             ;   in Loop: Header=BB6_3175 Depth=4
	s_xor_b64 s[44:45], exec, -1
; %bb.3185:                             ;   in Loop: Header=BB6_3175 Depth=4
	s_or_b64 exec, exec, vcc
	s_and_b64 s[44:45], s[44:45], exec
	s_or_saveexec_b64 s[46:47], s[46:47]
	v_bfrev_b32_e32 v2, 1
	s_xor_b64 exec, exec, s[46:47]
	s_cbranch_execnz .LBB6_3832
.LBB6_3186:                             ;   in Loop: Header=BB6_3175 Depth=4
	s_or_b64 exec, exec, s[46:47]
	s_and_saveexec_b64 s[46:47], s[44:45]
.LBB6_3187:                             ;   in Loop: Header=BB6_3175 Depth=4
	v_mov_b32_e32 v2, 0x7f800001
	v_cndmask_b32_e64 v2, v0, v2, s[40:41]
.LBB6_3188:                             ;   in Loop: Header=BB6_3175 Depth=4
	s_or_b64 exec, exec, s[46:47]
	v_max_f32_e32 v2, v2, v2
	v_max_f32_e32 v1, v1, v1
	;; [unrolled: 1-line block ×3, first 2 shown]
	s_mov_b64 s[44:45], 0
.LBB6_3189:                             ;   in Loop: Header=BB6_3175 Depth=4
	s_and_b64 vcc, exec, s[44:45]
	s_cbranch_vccz .LBB6_3203
; %bb.3190:                             ;   in Loop: Header=BB6_3175 Depth=4
	v_mov_b32_e32 v1, 0
	s_and_saveexec_b64 s[44:45], s[42:43]
	s_cbranch_execz .LBB6_3196
; %bb.3191:                             ;   in Loop: Header=BB6_3175 Depth=4
	v_cmp_ne_u16_sdwa s[46:47], v8, s82 src0_sel:BYTE_0 src1_sel:DWORD
	v_bfrev_b32_e32 v1, 1
	s_and_saveexec_b64 s[42:43], s[46:47]
	s_cbranch_execz .LBB6_3195
; %bb.3192:                             ;   in Loop: Header=BB6_3175 Depth=4
	v_and_b32_e32 v2, 0x7f, v8
	v_cmp_ne_u32_e32 vcc, s83, v2
	v_mov_b32_e32 v1, 0x7f800001
	s_and_saveexec_b64 s[46:47], vcc
	s_cbranch_execz .LBB6_3194
; %bb.3193:                             ;   in Loop: Header=BB6_3175 Depth=4
	v_and_b32_e32 v1, 7, v8
	v_ffbh_u32_e32 v1, v1
	v_min_u32_e32 v1, 32, v1
	v_lshrrev_b32_e32 v3, 3, v2
	v_cmp_gt_u32_e32 vcc, 8, v2
	v_subrev_u32_e32 v2, 28, v1
	v_sub_u32_e32 v1, 29, v1
	v_cndmask_b32_e32 v3, v3, v1, vcc
	v_cndmask_b32_e32 v1, 0, v2, vcc
	v_lshlrev_b64 v[1:2], v1, v[8:9]
	v_lshlrev_b32_e32 v2, 24, v8
	v_lshlrev_b32_e32 v1, 20, v1
	v_bfrev_b32_e32 v5, 60
	v_and_b32_e32 v1, 0x700000, v1
	v_and_b32_e32 v2, 0x80000000, v2
	v_lshl_add_u32 v3, v3, 23, v5
	v_or3_b32 v1, v2, v3, v1
.LBB6_3194:                             ;   in Loop: Header=BB6_3175 Depth=4
	s_or_b64 exec, exec, s[46:47]
.LBB6_3195:                             ;   in Loop: Header=BB6_3175 Depth=4
	s_or_b64 exec, exec, s[42:43]
.LBB6_3196:                             ;   in Loop: Header=BB6_3175 Depth=4
	s_or_b64 exec, exec, s[44:45]
	v_cmp_gt_i16_sdwa s[44:45], v12, s83 src0_sel:BYTE_0 src1_sel:DWORD
	s_mov_b64 s[42:43], 0
	s_and_saveexec_b64 s[46:47], s[44:45]
	s_xor_b64 s[44:45], exec, s[46:47]
	s_cbranch_execz .LBB6_3833
; %bb.3197:                             ;   in Loop: Header=BB6_3175 Depth=4
	v_cmp_eq_u16_sdwa vcc, v12, s82 src0_sel:BYTE_0 src1_sel:DWORD
	s_mov_b64 s[42:43], -1
	s_and_saveexec_b64 s[46:47], vcc
; %bb.3198:                             ;   in Loop: Header=BB6_3175 Depth=4
	s_xor_b64 s[42:43], exec, -1
; %bb.3199:                             ;   in Loop: Header=BB6_3175 Depth=4
	s_or_b64 exec, exec, s[46:47]
	s_and_b64 s[42:43], s[42:43], exec
	s_or_saveexec_b64 s[44:45], s[44:45]
	v_bfrev_b32_e32 v2, 1
	s_xor_b64 exec, exec, s[44:45]
	s_cbranch_execnz .LBB6_3834
.LBB6_3200:                             ;   in Loop: Header=BB6_3175 Depth=4
	s_or_b64 exec, exec, s[44:45]
	s_and_saveexec_b64 s[44:45], s[42:43]
.LBB6_3201:                             ;   in Loop: Header=BB6_3175 Depth=4
	v_mov_b32_e32 v2, 0x7f800001
	v_cndmask_b32_e64 v2, v0, v2, s[40:41]
.LBB6_3202:                             ;   in Loop: Header=BB6_3175 Depth=4
	s_or_b64 exec, exec, s[44:45]
	v_max_f32_e32 v0, v2, v2
	v_max_f32_e32 v1, v1, v1
	v_min_f32_e32 v1, v1, v0
.LBB6_3203:                             ;   in Loop: Header=BB6_3175 Depth=4
	v_and_b32_e32 v52, 0x7f800000, v1
	v_cmp_ne_u64_e32 vcc, s[76:77], v[52:53]
                                        ; implicit-def: $vgpr26
	s_and_saveexec_b64 s[40:41], vcc
	s_xor_b64 s[42:43], exec, s[40:41]
	s_cbranch_execz .LBB6_3217
; %bb.3204:                             ;   in Loop: Header=BB6_3175 Depth=4
	v_and_b32_e32 v52, 0x7fffffff, v1
	v_cmp_gt_u64_e32 vcc, s[78:79], v[52:53]
	v_and_b32_sdwa v3, v1, s82 dst_sel:DWORD dst_unused:UNUSED_PAD src0_sel:BYTE_3 src1_sel:DWORD
                                        ; implicit-def: $vgpr26
	s_and_saveexec_b64 s[40:41], vcc
	s_xor_b64 s[44:45], exec, s[40:41]
	s_cbranch_execz .LBB6_3214
; %bb.3205:                             ;   in Loop: Header=BB6_3175 Depth=4
	v_mov_b32_e32 v26, 0
	v_cmp_ne_u32_e32 vcc, 0, v1
	s_and_saveexec_b64 s[46:47], vcc
	s_cbranch_execz .LBB6_3213
; %bb.3206:                             ;   in Loop: Header=BB6_3175 Depth=4
	v_bfe_u32 v5, v1, 23, 8
	v_and_b32_e32 v0, 0x7fffff, v1
	v_cmp_gt_u32_e64 s[40:41], s85, v5
	v_sub_u32_e32 v1, 0x79, v5
	v_cmp_eq_u32_e32 vcc, 0, v5
	v_cndmask_b32_e64 v1, 0, v1, s[40:41]
	v_mov_b32_e32 v6, 0x78
	v_or_b32_e32 v2, 0x800000, v0
	v_cndmask_b32_e32 v6, v1, v6, vcc
	v_cndmask_b32_e32 v52, v2, v0, vcc
	v_add_u32_e32 v0, 20, v6
	v_lshlrev_b64 v[0:1], v0, -1
	v_add_u32_e32 v2, 19, v6
	v_lshlrev_b64 v[26:27], v2, 1
	v_bfi_b32 v1, v1, 0, 0
	v_bfi_b32 v0, v0, 0, v52
	v_cmp_eq_u64_e64 s[40:41], v[0:1], v[26:27]
	v_lshrrev_b64 v[0:1], v6, v[52:53]
	v_mov_b32_e32 v2, v1
	v_mov_b32_e32 v1, v0
	s_and_saveexec_b64 s[54:55], s[40:41]
; %bb.3207:                             ;   in Loop: Header=BB6_3175 Depth=4
	v_bfe_u32 v1, v0, 20, 1
	v_add_co_u32_e64 v1, s[40:41], v0, v1
	v_add_co_u32_e64 v1, s[40:41], -1, v1
; %bb.3208:                             ;   in Loop: Header=BB6_3175 Depth=4
	s_or_b64 exec, exec, s[54:55]
	v_add_u32_e32 v2, 0xffffff81, v5
	v_mov_b32_e32 v5, 0xffffff82
	v_cndmask_b32_e32 v2, v2, v5, vcc
	v_lshrrev_b32_e32 v5, 23, v0
	v_add3_u32 v6, v6, v2, v5
	v_add_u32_e32 v5, 6, v6
	v_and_b32_e32 v1, 0xfffff, v1
	v_add_u32_e32 v52, v1, v0
	v_cmp_ne_u32_e32 vcc, 0, v5
                                        ; implicit-def: $vgpr0_vgpr1
                                        ; implicit-def: $vgpr2
	s_and_saveexec_b64 s[40:41], vcc
	s_xor_b64 s[40:41], exec, s[40:41]
; %bb.3209:                             ;   in Loop: Header=BB6_3175 Depth=4
	v_cmp_lt_u64_e32 vcc, s[88:89], v[52:53]
	v_add_u32_e32 v0, 7, v6
	v_cndmask_b32_e32 v2, v5, v0, vcc
	v_cndmask_b32_e64 v0, 0, 1, vcc
	v_lshrrev_b64 v[0:1], v0, v[52:53]
; %bb.3210:                             ;   in Loop: Header=BB6_3175 Depth=4
	s_andn2_saveexec_b64 s[40:41], s[40:41]
; %bb.3211:                             ;   in Loop: Header=BB6_3175 Depth=4
	v_mov_b32_e32 v0, v52
	v_bfe_u32 v2, v52, 23, 1
	v_mov_b32_e32 v1, v53
; %bb.3212:                             ;   in Loop: Header=BB6_3175 Depth=4
	s_or_b64 exec, exec, s[40:41]
	v_lshrrev_b64 v[0:1], 20, v[0:1]
	v_cmp_gt_i32_e32 vcc, 16, v2
	v_cndmask_b32_e32 v1, 0, v1, vcc
	v_cndmask_b32_e32 v0, 7, v0, vcc
	v_cmp_eq_u64_e64 s[40:41], 0, v[0:1]
	v_min_i32_e32 v1, 15, v2
	v_lshlrev_b32_e32 v1, 3, v1
	v_cmp_eq_u32_e32 vcc, 0, v2
	v_and_b32_e32 v1, 0xf8, v1
	v_and_or_b32 v0, v0, 7, v1
	s_and_b64 s[40:41], vcc, s[40:41]
	v_cndmask_b32_e64 v0, v0, 0, s[40:41]
	v_or_b32_e32 v26, v0, v3
.LBB6_3213:                             ;   in Loop: Header=BB6_3175 Depth=4
	s_or_b64 exec, exec, s[46:47]
                                        ; implicit-def: $vgpr3
.LBB6_3214:                             ;   in Loop: Header=BB6_3175 Depth=4
	s_andn2_saveexec_b64 s[40:41], s[44:45]
; %bb.3215:                             ;   in Loop: Header=BB6_3175 Depth=4
	v_or_b32_e32 v26, 0x7e, v3
; %bb.3216:                             ;   in Loop: Header=BB6_3175 Depth=4
	s_or_b64 exec, exec, s[40:41]
                                        ; implicit-def: $vgpr1
.LBB6_3217:                             ;   in Loop: Header=BB6_3175 Depth=4
	s_andn2_saveexec_b64 s[40:41], s[42:43]
; %bb.3218:                             ;   in Loop: Header=BB6_3175 Depth=4
	v_or_b32_sdwa v26, v1, s83 dst_sel:DWORD dst_unused:UNUSED_PAD src0_sel:BYTE_3 src1_sel:DWORD
; %bb.3219:                             ;   in Loop: Header=BB6_3175 Depth=4
	s_or_b64 exec, exec, s[40:41]
	v_lshrrev_b16_e32 v52, 8, v12
	v_and_b32_e32 v2, 7, v52
	v_and_b32_e32 v0, 0x7f, v52
	v_cmp_eq_u32_e64 s[40:41], s83, v0
	v_cmp_gt_u32_e32 vcc, 8, v0
	v_ffbh_u32_e32 v0, v2
	v_min_u32_e32 v5, 32, v0
	v_subrev_u32_e32 v0, 28, v5
	v_lshlrev_b64 v[0:1], v0, v[52:53]
	v_bfe_u32 v3, v52, 3, 4
	v_sub_u32_e32 v1, 29, v5
	v_and_b32_e32 v0, 7, v0
	v_cndmask_b32_e32 v1, v3, v1, vcc
	v_cndmask_b32_e32 v0, v2, v0, vcc
	v_lshlrev_b32_e32 v2, 24, v52
	v_bfrev_b32_e32 v3, 60
	v_lshlrev_b32_e32 v0, 20, v0
	v_and_b32_e32 v2, 0x80000000, v2
	v_lshl_add_u32 v1, v1, 23, v3
	v_or3_b32 v0, v2, v1, v0
	v_lshrrev_b16_e32 v2, 8, v8
	v_cmp_ne_u16_e64 s[42:43], 0, v2
	s_mov_b64 s[44:45], -1
	s_and_b64 vcc, exec, s[52:53]
                                        ; implicit-def: $vgpr1
	s_cbranch_vccz .LBB6_3233
; %bb.3220:                             ;   in Loop: Header=BB6_3175 Depth=4
	v_mov_b32_e32 v1, 0
	s_and_saveexec_b64 s[44:45], s[42:43]
	s_cbranch_execz .LBB6_3226
; %bb.3221:                             ;   in Loop: Header=BB6_3175 Depth=4
	v_cmp_ne_u16_e32 vcc, s82, v2
	v_bfrev_b32_e32 v1, 1
	s_and_saveexec_b64 s[46:47], vcc
	s_cbranch_execz .LBB6_3225
; %bb.3222:                             ;   in Loop: Header=BB6_3175 Depth=4
	v_and_b32_e32 v3, 0x7f, v2
	v_cmp_ne_u32_e32 vcc, s83, v3
	v_mov_b32_e32 v1, 0x7f800001
	s_and_saveexec_b64 s[54:55], vcc
	s_cbranch_execz .LBB6_3224
; %bb.3223:                             ;   in Loop: Header=BB6_3175 Depth=4
	v_and_b32_e32 v1, 7, v2
	v_lshrrev_b32_e32 v27, 3, v3
	v_cmp_gt_u32_e32 vcc, 8, v3
	v_ffbh_u32_e32 v3, v1
	v_min_u32_e32 v3, 32, v3
	v_subrev_u32_e32 v5, 28, v3
	v_lshlrev_b64 v[5:6], v5, v[2:3]
	v_sub_u32_e32 v3, 29, v3
	v_and_b32_e32 v5, 7, v5
	v_cndmask_b32_e32 v3, v27, v3, vcc
	v_cndmask_b32_e32 v1, v1, v5, vcc
	v_lshlrev_b32_e32 v5, 16, v8
	v_bfrev_b32_e32 v6, 60
	v_lshlrev_b32_e32 v1, 20, v1
	v_and_b32_e32 v5, 0x80000000, v5
	v_lshl_add_u32 v3, v3, 23, v6
	v_or3_b32 v1, v5, v3, v1
.LBB6_3224:                             ;   in Loop: Header=BB6_3175 Depth=4
	s_or_b64 exec, exec, s[54:55]
.LBB6_3225:                             ;   in Loop: Header=BB6_3175 Depth=4
	s_or_b64 exec, exec, s[46:47]
.LBB6_3226:                             ;   in Loop: Header=BB6_3175 Depth=4
	s_or_b64 exec, exec, s[44:45]
	v_cmp_lt_i16_e32 vcc, s83, v52
	s_mov_b64 s[44:45], 0
	s_and_saveexec_b64 s[46:47], vcc
	s_xor_b64 s[46:47], exec, s[46:47]
	s_cbranch_execz .LBB6_3835
; %bb.3227:                             ;   in Loop: Header=BB6_3175 Depth=4
	v_cmp_eq_u16_e32 vcc, s82, v52
	s_mov_b64 s[44:45], -1
	s_and_saveexec_b64 s[54:55], vcc
; %bb.3228:                             ;   in Loop: Header=BB6_3175 Depth=4
	s_xor_b64 s[44:45], exec, -1
; %bb.3229:                             ;   in Loop: Header=BB6_3175 Depth=4
	s_or_b64 exec, exec, s[54:55]
	s_and_b64 s[44:45], s[44:45], exec
	s_or_saveexec_b64 s[46:47], s[46:47]
	v_bfrev_b32_e32 v3, 1
	s_xor_b64 exec, exec, s[46:47]
	s_cbranch_execnz .LBB6_3836
.LBB6_3230:                             ;   in Loop: Header=BB6_3175 Depth=4
	s_or_b64 exec, exec, s[46:47]
	s_and_saveexec_b64 s[46:47], s[44:45]
.LBB6_3231:                             ;   in Loop: Header=BB6_3175 Depth=4
	v_mov_b32_e32 v3, 0x7f800001
	v_cndmask_b32_e64 v3, v0, v3, s[40:41]
.LBB6_3232:                             ;   in Loop: Header=BB6_3175 Depth=4
	s_or_b64 exec, exec, s[46:47]
	v_max_f32_e32 v3, v3, v3
	v_max_f32_e32 v1, v1, v1
	;; [unrolled: 1-line block ×3, first 2 shown]
	s_mov_b64 s[44:45], 0
.LBB6_3233:                             ;   in Loop: Header=BB6_3175 Depth=4
	s_and_b64 vcc, exec, s[44:45]
	s_cbranch_vccz .LBB6_3247
; %bb.3234:                             ;   in Loop: Header=BB6_3175 Depth=4
	v_mov_b32_e32 v1, 0
	s_and_saveexec_b64 s[44:45], s[42:43]
	s_cbranch_execz .LBB6_3240
; %bb.3235:                             ;   in Loop: Header=BB6_3175 Depth=4
	v_cmp_ne_u16_e32 vcc, s82, v2
	v_bfrev_b32_e32 v1, 1
	s_and_saveexec_b64 s[42:43], vcc
	s_cbranch_execz .LBB6_3239
; %bb.3236:                             ;   in Loop: Header=BB6_3175 Depth=4
	v_and_b32_e32 v3, 0x7f, v2
	v_cmp_ne_u32_e32 vcc, s83, v3
	v_mov_b32_e32 v1, 0x7f800001
	s_and_saveexec_b64 s[46:47], vcc
	s_cbranch_execz .LBB6_3238
; %bb.3237:                             ;   in Loop: Header=BB6_3175 Depth=4
	v_and_b32_e32 v5, 7, v2
	v_ffbh_u32_e32 v1, v5
	v_lshrrev_b32_e32 v6, 3, v3
	v_cmp_gt_u32_e32 vcc, 8, v3
	v_min_u32_e32 v3, 32, v1
	v_subrev_u32_e32 v1, 28, v3
	v_lshlrev_b64 v[1:2], v1, v[2:3]
	v_sub_u32_e32 v2, 29, v3
	v_and_b32_e32 v1, 7, v1
	v_cndmask_b32_e32 v2, v6, v2, vcc
	v_cndmask_b32_e32 v1, v5, v1, vcc
	v_lshlrev_b32_e32 v3, 16, v8
	v_bfrev_b32_e32 v5, 60
	v_lshlrev_b32_e32 v1, 20, v1
	v_and_b32_e32 v3, 0x80000000, v3
	v_lshl_add_u32 v2, v2, 23, v5
	v_or3_b32 v1, v3, v2, v1
.LBB6_3238:                             ;   in Loop: Header=BB6_3175 Depth=4
	s_or_b64 exec, exec, s[46:47]
.LBB6_3239:                             ;   in Loop: Header=BB6_3175 Depth=4
	s_or_b64 exec, exec, s[42:43]
.LBB6_3240:                             ;   in Loop: Header=BB6_3175 Depth=4
	s_or_b64 exec, exec, s[44:45]
	v_cmp_lt_i16_e32 vcc, s83, v52
	s_mov_b64 s[42:43], 0
	s_and_saveexec_b64 s[44:45], vcc
	s_xor_b64 s[44:45], exec, s[44:45]
	s_cbranch_execz .LBB6_3837
; %bb.3241:                             ;   in Loop: Header=BB6_3175 Depth=4
	v_cmp_eq_u16_e32 vcc, s82, v52
	s_mov_b64 s[42:43], -1
	s_and_saveexec_b64 s[46:47], vcc
; %bb.3242:                             ;   in Loop: Header=BB6_3175 Depth=4
	s_xor_b64 s[42:43], exec, -1
; %bb.3243:                             ;   in Loop: Header=BB6_3175 Depth=4
	s_or_b64 exec, exec, s[46:47]
	s_and_b64 s[42:43], s[42:43], exec
	s_or_saveexec_b64 s[44:45], s[44:45]
	v_bfrev_b32_e32 v2, 1
	s_xor_b64 exec, exec, s[44:45]
	s_cbranch_execnz .LBB6_3838
.LBB6_3244:                             ;   in Loop: Header=BB6_3175 Depth=4
	s_or_b64 exec, exec, s[44:45]
	s_and_saveexec_b64 s[44:45], s[42:43]
.LBB6_3245:                             ;   in Loop: Header=BB6_3175 Depth=4
	v_mov_b32_e32 v2, 0x7f800001
	v_cndmask_b32_e64 v2, v0, v2, s[40:41]
.LBB6_3246:                             ;   in Loop: Header=BB6_3175 Depth=4
	s_or_b64 exec, exec, s[44:45]
	v_max_f32_e32 v0, v2, v2
	v_max_f32_e32 v1, v1, v1
	v_min_f32_e32 v1, v1, v0
.LBB6_3247:                             ;   in Loop: Header=BB6_3175 Depth=4
	v_and_b32_e32 v52, 0x7f800000, v1
	v_cmp_ne_u64_e32 vcc, s[76:77], v[52:53]
                                        ; implicit-def: $vgpr27
	s_and_saveexec_b64 s[40:41], vcc
	s_xor_b64 s[42:43], exec, s[40:41]
	s_cbranch_execz .LBB6_3261
; %bb.3248:                             ;   in Loop: Header=BB6_3175 Depth=4
	v_and_b32_e32 v52, 0x7fffffff, v1
	v_cmp_gt_u64_e32 vcc, s[78:79], v[52:53]
	v_and_b32_sdwa v3, v1, s82 dst_sel:DWORD dst_unused:UNUSED_PAD src0_sel:BYTE_3 src1_sel:DWORD
                                        ; implicit-def: $vgpr27
	s_and_saveexec_b64 s[40:41], vcc
	s_xor_b64 s[44:45], exec, s[40:41]
	s_cbranch_execz .LBB6_3258
; %bb.3249:                             ;   in Loop: Header=BB6_3175 Depth=4
	v_mov_b32_e32 v27, 0
	v_cmp_ne_u32_e32 vcc, 0, v1
	s_and_saveexec_b64 s[46:47], vcc
	s_cbranch_execz .LBB6_3257
; %bb.3250:                             ;   in Loop: Header=BB6_3175 Depth=4
	v_bfe_u32 v5, v1, 23, 8
	v_and_b32_e32 v0, 0x7fffff, v1
	v_cmp_gt_u32_e64 s[40:41], s85, v5
	v_sub_u32_e32 v1, 0x79, v5
	v_cmp_eq_u32_e32 vcc, 0, v5
	v_cndmask_b32_e64 v1, 0, v1, s[40:41]
	v_mov_b32_e32 v6, 0x78
	v_or_b32_e32 v2, 0x800000, v0
	v_cndmask_b32_e32 v6, v1, v6, vcc
	v_cndmask_b32_e32 v52, v2, v0, vcc
	v_add_u32_e32 v0, 20, v6
	v_lshlrev_b64 v[0:1], v0, -1
	v_add_u32_e32 v2, 19, v6
	v_lshlrev_b64 v[27:28], v2, 1
	v_bfi_b32 v1, v1, 0, 0
	v_bfi_b32 v0, v0, 0, v52
	v_cmp_eq_u64_e64 s[40:41], v[0:1], v[27:28]
	v_lshrrev_b64 v[0:1], v6, v[52:53]
	v_mov_b32_e32 v2, v1
	v_mov_b32_e32 v1, v0
	s_and_saveexec_b64 s[54:55], s[40:41]
; %bb.3251:                             ;   in Loop: Header=BB6_3175 Depth=4
	v_bfe_u32 v1, v0, 20, 1
	v_add_co_u32_e64 v1, s[40:41], v0, v1
	v_add_co_u32_e64 v1, s[40:41], -1, v1
; %bb.3252:                             ;   in Loop: Header=BB6_3175 Depth=4
	s_or_b64 exec, exec, s[54:55]
	v_add_u32_e32 v2, 0xffffff81, v5
	v_mov_b32_e32 v5, 0xffffff82
	v_cndmask_b32_e32 v2, v2, v5, vcc
	v_lshrrev_b32_e32 v5, 23, v0
	v_add3_u32 v6, v6, v2, v5
	v_add_u32_e32 v5, 6, v6
	v_and_b32_e32 v1, 0xfffff, v1
	v_add_u32_e32 v52, v1, v0
	v_cmp_ne_u32_e32 vcc, 0, v5
                                        ; implicit-def: $vgpr0_vgpr1
                                        ; implicit-def: $vgpr2
	s_and_saveexec_b64 s[40:41], vcc
	s_xor_b64 s[40:41], exec, s[40:41]
; %bb.3253:                             ;   in Loop: Header=BB6_3175 Depth=4
	v_cmp_lt_u64_e32 vcc, s[88:89], v[52:53]
	v_add_u32_e32 v0, 7, v6
	v_cndmask_b32_e32 v2, v5, v0, vcc
	v_cndmask_b32_e64 v0, 0, 1, vcc
	v_lshrrev_b64 v[0:1], v0, v[52:53]
; %bb.3254:                             ;   in Loop: Header=BB6_3175 Depth=4
	s_andn2_saveexec_b64 s[40:41], s[40:41]
; %bb.3255:                             ;   in Loop: Header=BB6_3175 Depth=4
	v_mov_b32_e32 v0, v52
	v_bfe_u32 v2, v52, 23, 1
	v_mov_b32_e32 v1, v53
; %bb.3256:                             ;   in Loop: Header=BB6_3175 Depth=4
	s_or_b64 exec, exec, s[40:41]
	v_lshrrev_b64 v[0:1], 20, v[0:1]
	v_cmp_gt_i32_e32 vcc, 16, v2
	v_cndmask_b32_e32 v1, 0, v1, vcc
	v_cndmask_b32_e32 v0, 7, v0, vcc
	v_cmp_eq_u64_e64 s[40:41], 0, v[0:1]
	v_min_i32_e32 v1, 15, v2
	v_lshlrev_b32_e32 v1, 3, v1
	v_cmp_eq_u32_e32 vcc, 0, v2
	v_and_b32_e32 v1, 0xf8, v1
	v_and_or_b32 v0, v0, 7, v1
	s_and_b64 s[40:41], vcc, s[40:41]
	v_cndmask_b32_e64 v0, v0, 0, s[40:41]
	v_or_b32_e32 v27, v0, v3
.LBB6_3257:                             ;   in Loop: Header=BB6_3175 Depth=4
	s_or_b64 exec, exec, s[46:47]
                                        ; implicit-def: $vgpr3
.LBB6_3258:                             ;   in Loop: Header=BB6_3175 Depth=4
	s_andn2_saveexec_b64 s[40:41], s[44:45]
; %bb.3259:                             ;   in Loop: Header=BB6_3175 Depth=4
	v_or_b32_e32 v27, 0x7e, v3
; %bb.3260:                             ;   in Loop: Header=BB6_3175 Depth=4
	s_or_b64 exec, exec, s[40:41]
                                        ; implicit-def: $vgpr1
.LBB6_3261:                             ;   in Loop: Header=BB6_3175 Depth=4
	s_andn2_saveexec_b64 s[40:41], s[42:43]
; %bb.3262:                             ;   in Loop: Header=BB6_3175 Depth=4
	v_or_b32_sdwa v27, v1, s83 dst_sel:DWORD dst_unused:UNUSED_PAD src0_sel:BYTE_3 src1_sel:DWORD
; %bb.3263:                             ;   in Loop: Header=BB6_3175 Depth=4
	s_or_b64 exec, exec, s[40:41]
	v_bfe_u32 v3, v12, 16, 3
	v_bfe_u32 v1, v12, 16, 7
	v_cmp_eq_u32_e64 s[40:41], s83, v1
	v_cmp_gt_u32_e32 vcc, 8, v1
	v_ffbh_u32_e32 v1, v3
	v_min_u32_e32 v6, 32, v1
	v_lshrrev_b32_e32 v0, 16, v12
	v_subrev_u32_e32 v1, 28, v6
	v_lshlrev_b64 v[1:2], v1, v[0:1]
	v_bfe_u32 v5, v0, 3, 4
	v_sub_u32_e32 v2, 29, v6
	v_and_b32_e32 v1, 7, v1
	v_cndmask_b32_e32 v2, v5, v2, vcc
	v_cndmask_b32_e32 v1, v3, v1, vcc
	v_lshlrev_b32_e32 v3, 8, v12
	v_bfrev_b32_e32 v5, 60
	v_lshlrev_b32_e32 v1, 20, v1
	v_and_b32_e32 v3, 0x80000000, v3
	v_lshl_add_u32 v2, v2, 23, v5
	v_or3_b32 v1, v3, v2, v1
	v_lshrrev_b32_e32 v2, 16, v8
	v_cmp_ne_u16_sdwa s[42:43], v2, v53 src0_sel:BYTE_0 src1_sel:DWORD
	s_mov_b64 s[44:45], -1
	s_and_b64 vcc, exec, s[52:53]
                                        ; implicit-def: $vgpr5
	s_cbranch_vccz .LBB6_3277
; %bb.3264:                             ;   in Loop: Header=BB6_3175 Depth=4
	v_mov_b32_e32 v3, 0
	s_and_saveexec_b64 s[44:45], s[42:43]
	s_cbranch_execz .LBB6_3270
; %bb.3265:                             ;   in Loop: Header=BB6_3175 Depth=4
	v_cmp_ne_u16_sdwa vcc, v2, s82 src0_sel:BYTE_0 src1_sel:DWORD
	v_bfrev_b32_e32 v3, 1
	s_and_saveexec_b64 s[46:47], vcc
	s_cbranch_execz .LBB6_3269
; %bb.3266:                             ;   in Loop: Header=BB6_3175 Depth=4
	v_bfe_u32 v5, v8, 16, 7
	v_cmp_ne_u32_e32 vcc, s83, v5
	v_mov_b32_e32 v3, 0x7f800001
	s_and_saveexec_b64 s[54:55], vcc
	s_cbranch_execz .LBB6_3268
; %bb.3267:                             ;   in Loop: Header=BB6_3175 Depth=4
	v_and_b32_e32 v3, 7, v2
	v_lshrrev_b32_e32 v28, 3, v5
	v_cmp_gt_u32_e32 vcc, 8, v5
	v_ffbh_u32_e32 v5, v3
	v_min_u32_e32 v29, 32, v5
	v_subrev_u32_e32 v5, 28, v29
	v_lshlrev_b64 v[5:6], v5, v[2:3]
	v_sub_u32_e32 v6, 29, v29
	v_and_b32_e32 v5, 7, v5
	v_cndmask_b32_e32 v6, v28, v6, vcc
	v_cndmask_b32_e32 v3, v3, v5, vcc
	v_lshlrev_b32_e32 v5, 24, v2
	v_bfrev_b32_e32 v28, 60
	v_lshlrev_b32_e32 v3, 20, v3
	v_and_b32_e32 v5, 0x80000000, v5
	v_lshl_add_u32 v6, v6, 23, v28
	v_or3_b32 v3, v5, v6, v3
.LBB6_3268:                             ;   in Loop: Header=BB6_3175 Depth=4
	s_or_b64 exec, exec, s[54:55]
.LBB6_3269:                             ;   in Loop: Header=BB6_3175 Depth=4
	s_or_b64 exec, exec, s[46:47]
.LBB6_3270:                             ;   in Loop: Header=BB6_3175 Depth=4
	s_or_b64 exec, exec, s[44:45]
	v_cmp_gt_i16_sdwa s[46:47], v0, s83 src0_sel:BYTE_0 src1_sel:DWORD
	s_mov_b64 s[44:45], 0
	s_and_saveexec_b64 vcc, s[46:47]
	s_xor_b64 s[46:47], exec, vcc
	s_cbranch_execz .LBB6_3839
; %bb.3271:                             ;   in Loop: Header=BB6_3175 Depth=4
	v_cmp_eq_u16_sdwa s[54:55], v0, s82 src0_sel:BYTE_0 src1_sel:DWORD
	s_mov_b64 s[44:45], -1
	s_and_saveexec_b64 vcc, s[54:55]
; %bb.3272:                             ;   in Loop: Header=BB6_3175 Depth=4
	s_xor_b64 s[44:45], exec, -1
; %bb.3273:                             ;   in Loop: Header=BB6_3175 Depth=4
	s_or_b64 exec, exec, vcc
	s_and_b64 s[44:45], s[44:45], exec
	s_or_saveexec_b64 s[46:47], s[46:47]
	v_bfrev_b32_e32 v5, 1
	s_xor_b64 exec, exec, s[46:47]
	s_cbranch_execnz .LBB6_3840
.LBB6_3274:                             ;   in Loop: Header=BB6_3175 Depth=4
	s_or_b64 exec, exec, s[46:47]
	s_and_saveexec_b64 s[46:47], s[44:45]
.LBB6_3275:                             ;   in Loop: Header=BB6_3175 Depth=4
	v_mov_b32_e32 v5, 0x7f800001
	v_cndmask_b32_e64 v5, v1, v5, s[40:41]
.LBB6_3276:                             ;   in Loop: Header=BB6_3175 Depth=4
	s_or_b64 exec, exec, s[46:47]
	v_max_f32_e32 v5, v5, v5
	v_max_f32_e32 v3, v3, v3
	;; [unrolled: 1-line block ×3, first 2 shown]
	s_mov_b64 s[44:45], 0
.LBB6_3277:                             ;   in Loop: Header=BB6_3175 Depth=4
	s_and_b64 vcc, exec, s[44:45]
	s_cbranch_vccz .LBB6_3291
; %bb.3278:                             ;   in Loop: Header=BB6_3175 Depth=4
	v_mov_b32_e32 v3, 0
	s_and_saveexec_b64 s[44:45], s[42:43]
	s_cbranch_execz .LBB6_3284
; %bb.3279:                             ;   in Loop: Header=BB6_3175 Depth=4
	v_cmp_ne_u16_sdwa s[46:47], v2, s82 src0_sel:BYTE_0 src1_sel:DWORD
	v_bfrev_b32_e32 v3, 1
	s_and_saveexec_b64 s[42:43], s[46:47]
	s_cbranch_execz .LBB6_3283
; %bb.3280:                             ;   in Loop: Header=BB6_3175 Depth=4
	v_bfe_u32 v5, v8, 16, 7
	v_cmp_ne_u32_e32 vcc, s83, v5
	v_mov_b32_e32 v3, 0x7f800001
	s_and_saveexec_b64 s[46:47], vcc
	s_cbranch_execz .LBB6_3282
; %bb.3281:                             ;   in Loop: Header=BB6_3175 Depth=4
	v_and_b32_e32 v3, 7, v2
	v_lshrrev_b32_e32 v28, 3, v5
	v_cmp_gt_u32_e32 vcc, 8, v5
	v_ffbh_u32_e32 v5, v3
	v_min_u32_e32 v29, 32, v5
	v_subrev_u32_e32 v5, 28, v29
	v_lshlrev_b64 v[5:6], v5, v[2:3]
	v_sub_u32_e32 v6, 29, v29
	v_and_b32_e32 v5, 7, v5
	v_cndmask_b32_e32 v6, v28, v6, vcc
	v_cndmask_b32_e32 v3, v3, v5, vcc
	v_lshlrev_b32_e32 v2, 24, v2
	v_bfrev_b32_e32 v5, 60
	v_lshlrev_b32_e32 v3, 20, v3
	v_and_b32_e32 v2, 0x80000000, v2
	v_lshl_add_u32 v5, v6, 23, v5
	v_or3_b32 v3, v2, v5, v3
.LBB6_3282:                             ;   in Loop: Header=BB6_3175 Depth=4
	s_or_b64 exec, exec, s[46:47]
.LBB6_3283:                             ;   in Loop: Header=BB6_3175 Depth=4
	s_or_b64 exec, exec, s[42:43]
.LBB6_3284:                             ;   in Loop: Header=BB6_3175 Depth=4
	s_or_b64 exec, exec, s[44:45]
	v_cmp_gt_i16_sdwa s[44:45], v0, s83 src0_sel:BYTE_0 src1_sel:DWORD
	s_mov_b64 s[42:43], 0
	s_and_saveexec_b64 s[46:47], s[44:45]
	s_xor_b64 s[44:45], exec, s[46:47]
	s_cbranch_execz .LBB6_3841
; %bb.3285:                             ;   in Loop: Header=BB6_3175 Depth=4
	v_cmp_eq_u16_sdwa vcc, v0, s82 src0_sel:BYTE_0 src1_sel:DWORD
	s_mov_b64 s[42:43], -1
	s_and_saveexec_b64 s[46:47], vcc
; %bb.3286:                             ;   in Loop: Header=BB6_3175 Depth=4
	s_xor_b64 s[42:43], exec, -1
; %bb.3287:                             ;   in Loop: Header=BB6_3175 Depth=4
	s_or_b64 exec, exec, s[46:47]
	s_and_b64 s[42:43], s[42:43], exec
                                        ; implicit-def: $vgpr0
	s_or_saveexec_b64 s[44:45], s[44:45]
	v_bfrev_b32_e32 v2, 1
	s_xor_b64 exec, exec, s[44:45]
	s_cbranch_execnz .LBB6_3842
.LBB6_3288:                             ;   in Loop: Header=BB6_3175 Depth=4
	s_or_b64 exec, exec, s[44:45]
	s_and_saveexec_b64 s[44:45], s[42:43]
.LBB6_3289:                             ;   in Loop: Header=BB6_3175 Depth=4
	v_mov_b32_e32 v0, 0x7f800001
	v_cndmask_b32_e64 v2, v1, v0, s[40:41]
.LBB6_3290:                             ;   in Loop: Header=BB6_3175 Depth=4
	s_or_b64 exec, exec, s[44:45]
	v_max_f32_e32 v0, v2, v2
	v_max_f32_e32 v1, v3, v3
	v_min_f32_e32 v5, v1, v0
.LBB6_3291:                             ;   in Loop: Header=BB6_3175 Depth=4
	v_and_b32_e32 v52, 0x7f800000, v5
	v_cmp_ne_u64_e32 vcc, s[76:77], v[52:53]
                                        ; implicit-def: $vgpr28
	s_and_saveexec_b64 s[40:41], vcc
	s_xor_b64 s[42:43], exec, s[40:41]
	s_cbranch_execz .LBB6_3305
; %bb.3292:                             ;   in Loop: Header=BB6_3175 Depth=4
	v_and_b32_e32 v52, 0x7fffffff, v5
	v_cmp_gt_u64_e32 vcc, s[78:79], v[52:53]
	v_and_b32_sdwa v3, v5, s82 dst_sel:DWORD dst_unused:UNUSED_PAD src0_sel:BYTE_3 src1_sel:DWORD
                                        ; implicit-def: $vgpr28
	s_and_saveexec_b64 s[40:41], vcc
	s_xor_b64 s[44:45], exec, s[40:41]
	s_cbranch_execz .LBB6_3302
; %bb.3293:                             ;   in Loop: Header=BB6_3175 Depth=4
	v_mov_b32_e32 v28, 0
	v_cmp_ne_u32_e32 vcc, 0, v5
	s_and_saveexec_b64 s[46:47], vcc
	s_cbranch_execz .LBB6_3301
; %bb.3294:                             ;   in Loop: Header=BB6_3175 Depth=4
	v_and_b32_e32 v0, 0x7fffff, v5
	v_bfe_u32 v5, v5, 23, 8
	v_cmp_gt_u32_e64 s[40:41], s85, v5
	v_sub_u32_e32 v1, 0x79, v5
	v_cmp_eq_u32_e32 vcc, 0, v5
	v_cndmask_b32_e64 v1, 0, v1, s[40:41]
	v_mov_b32_e32 v6, 0x78
	v_or_b32_e32 v2, 0x800000, v0
	v_cndmask_b32_e32 v6, v1, v6, vcc
	v_cndmask_b32_e32 v52, v2, v0, vcc
	v_add_u32_e32 v0, 20, v6
	v_lshlrev_b64 v[0:1], v0, -1
	v_add_u32_e32 v2, 19, v6
	v_lshlrev_b64 v[28:29], v2, 1
	v_bfi_b32 v1, v1, 0, 0
	v_bfi_b32 v0, v0, 0, v52
	v_cmp_eq_u64_e64 s[40:41], v[0:1], v[28:29]
	v_lshrrev_b64 v[0:1], v6, v[52:53]
	v_mov_b32_e32 v2, v1
	v_mov_b32_e32 v1, v0
	s_and_saveexec_b64 s[54:55], s[40:41]
; %bb.3295:                             ;   in Loop: Header=BB6_3175 Depth=4
	v_bfe_u32 v1, v0, 20, 1
	v_add_co_u32_e64 v1, s[40:41], v0, v1
	v_add_co_u32_e64 v1, s[40:41], -1, v1
; %bb.3296:                             ;   in Loop: Header=BB6_3175 Depth=4
	s_or_b64 exec, exec, s[54:55]
	v_add_u32_e32 v2, 0xffffff81, v5
	v_mov_b32_e32 v5, 0xffffff82
	v_cndmask_b32_e32 v2, v2, v5, vcc
	v_lshrrev_b32_e32 v5, 23, v0
	v_add3_u32 v6, v6, v2, v5
	v_add_u32_e32 v5, 6, v6
	v_and_b32_e32 v1, 0xfffff, v1
	v_add_u32_e32 v52, v1, v0
	v_cmp_ne_u32_e32 vcc, 0, v5
                                        ; implicit-def: $vgpr0_vgpr1
                                        ; implicit-def: $vgpr2
	s_and_saveexec_b64 s[40:41], vcc
	s_xor_b64 s[40:41], exec, s[40:41]
; %bb.3297:                             ;   in Loop: Header=BB6_3175 Depth=4
	v_cmp_lt_u64_e32 vcc, s[88:89], v[52:53]
	v_add_u32_e32 v0, 7, v6
	v_cndmask_b32_e32 v2, v5, v0, vcc
	v_cndmask_b32_e64 v0, 0, 1, vcc
	v_lshrrev_b64 v[0:1], v0, v[52:53]
; %bb.3298:                             ;   in Loop: Header=BB6_3175 Depth=4
	s_andn2_saveexec_b64 s[40:41], s[40:41]
; %bb.3299:                             ;   in Loop: Header=BB6_3175 Depth=4
	v_mov_b32_e32 v0, v52
	v_bfe_u32 v2, v52, 23, 1
	v_mov_b32_e32 v1, v53
; %bb.3300:                             ;   in Loop: Header=BB6_3175 Depth=4
	s_or_b64 exec, exec, s[40:41]
	v_lshrrev_b64 v[0:1], 20, v[0:1]
	v_cmp_gt_i32_e32 vcc, 16, v2
	v_cndmask_b32_e32 v1, 0, v1, vcc
	v_cndmask_b32_e32 v0, 7, v0, vcc
	v_cmp_eq_u64_e64 s[40:41], 0, v[0:1]
	v_min_i32_e32 v1, 15, v2
	v_lshlrev_b32_e32 v1, 3, v1
	v_cmp_eq_u32_e32 vcc, 0, v2
	v_and_b32_e32 v1, 0xf8, v1
	v_and_or_b32 v0, v0, 7, v1
	s_and_b64 s[40:41], vcc, s[40:41]
	v_cndmask_b32_e64 v0, v0, 0, s[40:41]
	v_or_b32_e32 v28, v0, v3
.LBB6_3301:                             ;   in Loop: Header=BB6_3175 Depth=4
	s_or_b64 exec, exec, s[46:47]
                                        ; implicit-def: $vgpr3
.LBB6_3302:                             ;   in Loop: Header=BB6_3175 Depth=4
	s_andn2_saveexec_b64 s[40:41], s[44:45]
; %bb.3303:                             ;   in Loop: Header=BB6_3175 Depth=4
	v_or_b32_e32 v28, 0x7e, v3
; %bb.3304:                             ;   in Loop: Header=BB6_3175 Depth=4
	s_or_b64 exec, exec, s[40:41]
                                        ; implicit-def: $vgpr5
.LBB6_3305:                             ;   in Loop: Header=BB6_3175 Depth=4
	s_andn2_saveexec_b64 s[40:41], s[42:43]
; %bb.3306:                             ;   in Loop: Header=BB6_3175 Depth=4
	v_or_b32_sdwa v28, v5, s83 dst_sel:DWORD dst_unused:UNUSED_PAD src0_sel:BYTE_3 src1_sel:DWORD
; %bb.3307:                             ;   in Loop: Header=BB6_3175 Depth=4
	s_or_b64 exec, exec, s[40:41]
	v_bfe_u32 v3, v12, 24, 3
	v_bfe_u32 v2, v12, 24, 7
	v_cmp_eq_u32_e64 s[44:45], s83, v2
	v_cmp_gt_u32_e32 vcc, 8, v2
	v_ffbh_u32_e32 v2, v3
	v_min_u32_e32 v6, 32, v2
	v_lshrrev_b32_e32 v1, 24, v12
	v_subrev_u32_e32 v2, 28, v6
	v_bfe_u32 v5, v1, 3, 4
	v_cmp_eq_u32_e64 s[42:43], s82, v1
	v_lshlrev_b64 v[1:2], v2, v[1:2]
	v_sub_u32_e32 v2, 29, v6
	v_and_b32_e32 v1, 7, v1
	v_cndmask_b32_e32 v2, v5, v2, vcc
	v_cndmask_b32_e32 v1, v3, v1, vcc
	v_bfrev_b32_e32 v5, 60
	v_lshlrev_b32_e32 v1, 20, v1
	v_and_b32_e32 v3, 0x80000000, v12
	v_lshl_add_u32 v2, v2, 23, v5
	v_lshrrev_b32_e32 v0, 24, v8
	v_cmp_gt_u32_e64 s[40:41], s61, v12
	v_or3_b32 v1, v3, v2, v1
	v_cmp_lt_u32_e64 s[46:47], s63, v8
	s_mov_b64 s[54:55], -1
	s_and_b64 vcc, exec, s[52:53]
                                        ; implicit-def: $vgpr2
	s_cbranch_vccz .LBB6_3315
; %bb.3308:                             ;   in Loop: Header=BB6_3175 Depth=4
	v_mov_b32_e32 v2, 0
	s_and_saveexec_b64 s[54:55], s[46:47]
	s_cbranch_execz .LBB6_3314
; %bb.3309:                             ;   in Loop: Header=BB6_3175 Depth=4
	v_cmp_ne_u32_e32 vcc, s82, v0
	v_bfrev_b32_e32 v2, 1
	s_and_saveexec_b64 s[64:65], vcc
	s_cbranch_execz .LBB6_3313
; %bb.3310:                             ;   in Loop: Header=BB6_3175 Depth=4
	v_bfe_u32 v3, v8, 24, 7
	v_cmp_ne_u32_e32 vcc, s83, v3
	v_mov_b32_e32 v2, 0x7f800001
	s_and_saveexec_b64 s[66:67], vcc
	s_cbranch_execz .LBB6_3312
; %bb.3311:                             ;   in Loop: Header=BB6_3175 Depth=4
	v_and_b32_e32 v5, 7, v0
	v_ffbh_u32_e32 v2, v5
	v_min_u32_e32 v29, 32, v2
	v_subrev_u32_e32 v2, 28, v29
	v_lshrrev_b32_e32 v6, 3, v3
	v_cmp_gt_u32_e32 vcc, 8, v3
	v_lshlrev_b64 v[2:3], v2, v[0:1]
	v_sub_u32_e32 v3, 29, v29
	v_and_b32_e32 v2, 7, v2
	v_cndmask_b32_e32 v3, v6, v3, vcc
	v_cndmask_b32_e32 v2, v5, v2, vcc
	v_lshlrev_b32_e32 v5, 24, v0
	v_bfrev_b32_e32 v6, 60
	v_lshlrev_b32_e32 v2, 20, v2
	v_and_b32_e32 v5, 0x80000000, v5
	v_lshl_add_u32 v3, v3, 23, v6
	v_or3_b32 v2, v5, v3, v2
.LBB6_3312:                             ;   in Loop: Header=BB6_3175 Depth=4
	s_or_b64 exec, exec, s[66:67]
.LBB6_3313:                             ;   in Loop: Header=BB6_3175 Depth=4
	s_or_b64 exec, exec, s[64:65]
.LBB6_3314:                             ;   in Loop: Header=BB6_3175 Depth=4
	s_or_b64 exec, exec, s[54:55]
	v_mov_b32_e32 v3, 0x7f800001
	v_cndmask_b32_e64 v3, v1, v3, s[44:45]
	v_bfrev_b32_e32 v5, 1
	v_cndmask_b32_e64 v3, v3, v5, s[42:43]
	v_cndmask_b32_e64 v3, v3, 0, s[40:41]
	v_max_f32_e32 v3, v3, v3
	v_max_f32_e32 v2, v2, v2
	;; [unrolled: 1-line block ×3, first 2 shown]
	s_mov_b64 s[54:55], 0
.LBB6_3315:                             ;   in Loop: Header=BB6_3175 Depth=4
	s_and_b64 vcc, exec, s[54:55]
	s_cbranch_vccz .LBB6_3323
; %bb.3316:                             ;   in Loop: Header=BB6_3175 Depth=4
	v_mov_b32_e32 v2, 0
	s_and_saveexec_b64 s[54:55], s[46:47]
	s_cbranch_execz .LBB6_3322
; %bb.3317:                             ;   in Loop: Header=BB6_3175 Depth=4
	v_cmp_ne_u32_e32 vcc, s82, v0
	v_bfrev_b32_e32 v2, 1
	s_and_saveexec_b64 s[46:47], vcc
	s_cbranch_execz .LBB6_3321
; %bb.3318:                             ;   in Loop: Header=BB6_3175 Depth=4
	v_bfe_u32 v3, v8, 24, 7
	v_cmp_ne_u32_e32 vcc, s83, v3
	v_mov_b32_e32 v2, 0x7f800001
	s_and_saveexec_b64 s[64:65], vcc
	s_cbranch_execz .LBB6_3320
; %bb.3319:                             ;   in Loop: Header=BB6_3175 Depth=4
	v_and_b32_e32 v5, 7, v0
	v_ffbh_u32_e32 v2, v5
	v_min_u32_e32 v29, 32, v2
	v_subrev_u32_e32 v2, 28, v29
	v_lshrrev_b32_e32 v6, 3, v3
	v_cmp_gt_u32_e32 vcc, 8, v3
	v_lshlrev_b64 v[2:3], v2, v[0:1]
	v_sub_u32_e32 v3, 29, v29
	v_and_b32_e32 v2, 7, v2
	v_cndmask_b32_e32 v3, v6, v3, vcc
	v_cndmask_b32_e32 v2, v5, v2, vcc
	v_lshlrev_b32_e32 v0, 24, v0
	v_bfrev_b32_e32 v5, 60
	v_lshlrev_b32_e32 v2, 20, v2
	v_and_b32_e32 v0, 0x80000000, v0
	v_lshl_add_u32 v3, v3, 23, v5
	v_or3_b32 v2, v0, v3, v2
.LBB6_3320:                             ;   in Loop: Header=BB6_3175 Depth=4
	s_or_b64 exec, exec, s[64:65]
.LBB6_3321:                             ;   in Loop: Header=BB6_3175 Depth=4
	s_or_b64 exec, exec, s[46:47]
.LBB6_3322:                             ;   in Loop: Header=BB6_3175 Depth=4
	s_or_b64 exec, exec, s[54:55]
	v_mov_b32_e32 v0, 0x7f800001
	v_cndmask_b32_e64 v0, v1, v0, s[44:45]
	v_bfrev_b32_e32 v1, 1
	v_cndmask_b32_e64 v0, v0, v1, s[42:43]
	v_cndmask_b32_e64 v0, v0, 0, s[40:41]
	v_max_f32_e32 v0, v0, v0
	v_max_f32_e32 v1, v2, v2
	v_min_f32_e32 v2, v1, v0
.LBB6_3323:                             ;   in Loop: Header=BB6_3175 Depth=4
	v_and_b32_e32 v52, 0x7f800000, v2
	v_cmp_ne_u64_e32 vcc, s[76:77], v[52:53]
                                        ; implicit-def: $vgpr29
	s_and_saveexec_b64 s[40:41], vcc
	s_xor_b64 s[42:43], exec, s[40:41]
	s_cbranch_execz .LBB6_3337
; %bb.3324:                             ;   in Loop: Header=BB6_3175 Depth=4
	v_and_b32_e32 v52, 0x7fffffff, v2
	v_cmp_gt_u64_e32 vcc, s[78:79], v[52:53]
	v_and_b32_sdwa v3, v2, s82 dst_sel:DWORD dst_unused:UNUSED_PAD src0_sel:BYTE_3 src1_sel:DWORD
                                        ; implicit-def: $vgpr29
	s_and_saveexec_b64 s[40:41], vcc
	s_xor_b64 s[44:45], exec, s[40:41]
	s_cbranch_execz .LBB6_3334
; %bb.3325:                             ;   in Loop: Header=BB6_3175 Depth=4
	v_mov_b32_e32 v29, 0
	v_cmp_ne_u32_e32 vcc, 0, v2
	s_and_saveexec_b64 s[46:47], vcc
	s_cbranch_execz .LBB6_3333
; %bb.3326:                             ;   in Loop: Header=BB6_3175 Depth=4
	v_bfe_u32 v5, v2, 23, 8
	v_cmp_gt_u32_e64 s[40:41], s85, v5
	v_sub_u32_e32 v1, 0x79, v5
	v_and_b32_e32 v0, 0x7fffff, v2
	v_cmp_eq_u32_e32 vcc, 0, v5
	v_cndmask_b32_e64 v1, 0, v1, s[40:41]
	v_mov_b32_e32 v6, 0x78
	v_or_b32_e32 v2, 0x800000, v0
	v_cndmask_b32_e32 v6, v1, v6, vcc
	v_cndmask_b32_e32 v52, v2, v0, vcc
	v_add_u32_e32 v0, 20, v6
	v_lshlrev_b64 v[0:1], v0, -1
	v_add_u32_e32 v2, 19, v6
	v_lshlrev_b64 v[29:30], v2, 1
	v_bfi_b32 v1, v1, 0, 0
	v_bfi_b32 v0, v0, 0, v52
	v_cmp_eq_u64_e64 s[40:41], v[0:1], v[29:30]
	v_lshrrev_b64 v[0:1], v6, v[52:53]
	v_mov_b32_e32 v2, v1
	v_mov_b32_e32 v1, v0
	s_and_saveexec_b64 s[54:55], s[40:41]
; %bb.3327:                             ;   in Loop: Header=BB6_3175 Depth=4
	v_bfe_u32 v1, v0, 20, 1
	v_add_co_u32_e64 v1, s[40:41], v0, v1
	v_add_co_u32_e64 v1, s[40:41], -1, v1
; %bb.3328:                             ;   in Loop: Header=BB6_3175 Depth=4
	s_or_b64 exec, exec, s[54:55]
	v_add_u32_e32 v2, 0xffffff81, v5
	v_mov_b32_e32 v5, 0xffffff82
	v_cndmask_b32_e32 v2, v2, v5, vcc
	v_lshrrev_b32_e32 v5, 23, v0
	v_add3_u32 v6, v6, v2, v5
	v_add_u32_e32 v5, 6, v6
	v_and_b32_e32 v1, 0xfffff, v1
	v_add_u32_e32 v52, v1, v0
	v_cmp_ne_u32_e32 vcc, 0, v5
                                        ; implicit-def: $vgpr0_vgpr1
                                        ; implicit-def: $vgpr2
	s_and_saveexec_b64 s[40:41], vcc
	s_xor_b64 s[40:41], exec, s[40:41]
; %bb.3329:                             ;   in Loop: Header=BB6_3175 Depth=4
	v_cmp_lt_u64_e32 vcc, s[88:89], v[52:53]
	v_add_u32_e32 v0, 7, v6
	v_cndmask_b32_e32 v2, v5, v0, vcc
	v_cndmask_b32_e64 v0, 0, 1, vcc
	v_lshrrev_b64 v[0:1], v0, v[52:53]
; %bb.3330:                             ;   in Loop: Header=BB6_3175 Depth=4
	s_andn2_saveexec_b64 s[40:41], s[40:41]
; %bb.3331:                             ;   in Loop: Header=BB6_3175 Depth=4
	v_mov_b32_e32 v0, v52
	v_bfe_u32 v2, v52, 23, 1
	v_mov_b32_e32 v1, v53
; %bb.3332:                             ;   in Loop: Header=BB6_3175 Depth=4
	s_or_b64 exec, exec, s[40:41]
	v_lshrrev_b64 v[0:1], 20, v[0:1]
	v_cmp_gt_i32_e32 vcc, 16, v2
	v_cndmask_b32_e32 v1, 0, v1, vcc
	v_cndmask_b32_e32 v0, 7, v0, vcc
	v_cmp_eq_u64_e64 s[40:41], 0, v[0:1]
	v_min_i32_e32 v1, 15, v2
	v_lshlrev_b32_e32 v1, 3, v1
	v_cmp_eq_u32_e32 vcc, 0, v2
	v_and_b32_e32 v1, 0xf8, v1
	v_and_or_b32 v0, v0, 7, v1
	s_and_b64 s[40:41], vcc, s[40:41]
	v_cndmask_b32_e64 v0, v0, 0, s[40:41]
	v_or_b32_e32 v29, v0, v3
.LBB6_3333:                             ;   in Loop: Header=BB6_3175 Depth=4
	s_or_b64 exec, exec, s[46:47]
                                        ; implicit-def: $vgpr3
.LBB6_3334:                             ;   in Loop: Header=BB6_3175 Depth=4
	s_andn2_saveexec_b64 s[40:41], s[44:45]
; %bb.3335:                             ;   in Loop: Header=BB6_3175 Depth=4
	v_or_b32_e32 v29, 0x7e, v3
; %bb.3336:                             ;   in Loop: Header=BB6_3175 Depth=4
	s_or_b64 exec, exec, s[40:41]
                                        ; implicit-def: $vgpr2
.LBB6_3337:                             ;   in Loop: Header=BB6_3175 Depth=4
	s_andn2_saveexec_b64 s[40:41], s[42:43]
; %bb.3338:                             ;   in Loop: Header=BB6_3175 Depth=4
	v_or_b32_sdwa v29, v2, s83 dst_sel:DWORD dst_unused:UNUSED_PAD src0_sel:BYTE_3 src1_sel:DWORD
; %bb.3339:                             ;   in Loop: Header=BB6_3175 Depth=4
	s_or_b64 exec, exec, s[40:41]
	v_and_b32_e32 v0, 7, v13
	v_ffbh_u32_e32 v0, v0
	v_and_b32_e32 v1, 0x7f, v13
	v_min_u32_e32 v0, 32, v0
	v_bfe_u32 v2, v13, 3, 4
	v_cmp_eq_u32_e64 s[40:41], s83, v1
	v_cmp_gt_u32_e32 vcc, 8, v1
	v_subrev_u32_e32 v1, 28, v0
	v_sub_u32_e32 v0, 29, v0
	v_mov_b32_e32 v52, v13
	v_cndmask_b32_e32 v2, v2, v0, vcc
	v_cndmask_b32_e32 v0, 0, v1, vcc
	v_lshlrev_b64 v[0:1], v0, v[52:53]
	v_lshlrev_b32_e32 v1, 24, v13
	v_lshlrev_b32_e32 v0, 20, v0
	v_bfrev_b32_e32 v3, 60
	v_and_b32_e32 v0, 0x700000, v0
	v_and_b32_e32 v1, 0x80000000, v1
	v_lshl_add_u32 v2, v2, 23, v3
	v_or3_b32 v0, v1, v2, v0
	v_mov_b32_e32 v2, v9
	v_mov_b32_e32 v3, v53
	v_cmp_ne_u16_sdwa s[42:43], v9, v53 src0_sel:BYTE_0 src1_sel:DWORD
	s_mov_b64 s[44:45], -1
	s_and_b64 vcc, exec, s[52:53]
                                        ; implicit-def: $vgpr1
	s_cbranch_vccz .LBB6_3353
; %bb.3340:                             ;   in Loop: Header=BB6_3175 Depth=4
	v_mov_b32_e32 v1, 0
	s_and_saveexec_b64 s[44:45], s[42:43]
	s_cbranch_execz .LBB6_3346
; %bb.3341:                             ;   in Loop: Header=BB6_3175 Depth=4
	v_cmp_ne_u16_sdwa vcc, v9, s82 src0_sel:BYTE_0 src1_sel:DWORD
	v_bfrev_b32_e32 v1, 1
	s_and_saveexec_b64 s[46:47], vcc
	s_cbranch_execz .LBB6_3345
; %bb.3342:                             ;   in Loop: Header=BB6_3175 Depth=4
	v_and_b32_e32 v5, 0x7f, v9
	v_cmp_ne_u32_e32 vcc, s83, v5
	v_mov_b32_e32 v1, 0x7f800001
	s_and_saveexec_b64 s[54:55], vcc
	s_cbranch_execz .LBB6_3344
; %bb.3343:                             ;   in Loop: Header=BB6_3175 Depth=4
	v_and_b32_e32 v1, 7, v9
	v_ffbh_u32_e32 v1, v1
	v_min_u32_e32 v1, 32, v1
	v_lshrrev_b32_e32 v6, 3, v5
	v_cmp_gt_u32_e32 vcc, 8, v5
	v_subrev_u32_e32 v5, 28, v1
	v_sub_u32_e32 v1, 29, v1
	v_cndmask_b32_e32 v5, 0, v5, vcc
	v_cndmask_b32_e32 v1, v6, v1, vcc
	v_lshlrev_b64 v[5:6], v5, v[2:3]
	v_lshlrev_b32_e32 v6, 24, v2
	v_lshlrev_b32_e32 v5, 20, v5
	v_bfrev_b32_e32 v30, 60
	v_and_b32_e32 v5, 0x700000, v5
	v_and_b32_e32 v6, 0x80000000, v6
	v_lshl_add_u32 v1, v1, 23, v30
	v_or3_b32 v1, v6, v1, v5
.LBB6_3344:                             ;   in Loop: Header=BB6_3175 Depth=4
	s_or_b64 exec, exec, s[54:55]
.LBB6_3345:                             ;   in Loop: Header=BB6_3175 Depth=4
	s_or_b64 exec, exec, s[46:47]
.LBB6_3346:                             ;   in Loop: Header=BB6_3175 Depth=4
	s_or_b64 exec, exec, s[44:45]
	v_cmp_gt_i16_sdwa s[46:47], v13, s83 src0_sel:BYTE_0 src1_sel:DWORD
	s_mov_b64 s[44:45], 0
	s_and_saveexec_b64 vcc, s[46:47]
	s_xor_b64 s[46:47], exec, vcc
	s_cbranch_execz .LBB6_3843
; %bb.3347:                             ;   in Loop: Header=BB6_3175 Depth=4
	v_cmp_eq_u16_sdwa s[54:55], v13, s82 src0_sel:BYTE_0 src1_sel:DWORD
	s_mov_b64 s[44:45], -1
	s_and_saveexec_b64 vcc, s[54:55]
; %bb.3348:                             ;   in Loop: Header=BB6_3175 Depth=4
	s_xor_b64 s[44:45], exec, -1
; %bb.3349:                             ;   in Loop: Header=BB6_3175 Depth=4
	s_or_b64 exec, exec, vcc
	s_and_b64 s[44:45], s[44:45], exec
	s_or_saveexec_b64 s[46:47], s[46:47]
	v_bfrev_b32_e32 v5, 1
	s_xor_b64 exec, exec, s[46:47]
	s_cbranch_execnz .LBB6_3844
.LBB6_3350:                             ;   in Loop: Header=BB6_3175 Depth=4
	s_or_b64 exec, exec, s[46:47]
	s_and_saveexec_b64 s[46:47], s[44:45]
.LBB6_3351:                             ;   in Loop: Header=BB6_3175 Depth=4
	v_mov_b32_e32 v5, 0x7f800001
	v_cndmask_b32_e64 v5, v0, v5, s[40:41]
.LBB6_3352:                             ;   in Loop: Header=BB6_3175 Depth=4
	s_or_b64 exec, exec, s[46:47]
	v_max_f32_e32 v5, v5, v5
	v_max_f32_e32 v1, v1, v1
	;; [unrolled: 1-line block ×3, first 2 shown]
	s_mov_b64 s[44:45], 0
.LBB6_3353:                             ;   in Loop: Header=BB6_3175 Depth=4
	s_and_b64 vcc, exec, s[44:45]
	s_cbranch_vccz .LBB6_3367
; %bb.3354:                             ;   in Loop: Header=BB6_3175 Depth=4
	v_mov_b32_e32 v1, 0
	s_and_saveexec_b64 s[44:45], s[42:43]
	s_cbranch_execz .LBB6_3360
; %bb.3355:                             ;   in Loop: Header=BB6_3175 Depth=4
	v_cmp_ne_u16_sdwa s[46:47], v9, s82 src0_sel:BYTE_0 src1_sel:DWORD
	v_bfrev_b32_e32 v1, 1
	s_and_saveexec_b64 s[42:43], s[46:47]
	s_cbranch_execz .LBB6_3359
; %bb.3356:                             ;   in Loop: Header=BB6_3175 Depth=4
	v_and_b32_e32 v5, 0x7f, v9
	v_cmp_ne_u32_e32 vcc, s83, v5
	v_mov_b32_e32 v1, 0x7f800001
	s_and_saveexec_b64 s[46:47], vcc
	s_cbranch_execz .LBB6_3358
; %bb.3357:                             ;   in Loop: Header=BB6_3175 Depth=4
	v_and_b32_e32 v1, 7, v9
	v_ffbh_u32_e32 v1, v1
	v_min_u32_e32 v1, 32, v1
	v_lshrrev_b32_e32 v6, 3, v5
	v_cmp_gt_u32_e32 vcc, 8, v5
	v_subrev_u32_e32 v5, 28, v1
	v_sub_u32_e32 v1, 29, v1
	v_cndmask_b32_e32 v5, 0, v5, vcc
	v_cndmask_b32_e32 v1, v6, v1, vcc
	v_lshlrev_b64 v[5:6], v5, v[2:3]
	v_bfrev_b32_e32 v6, 60
	v_lshlrev_b32_e32 v3, 20, v5
	v_lshlrev_b32_e32 v5, 24, v2
	v_and_b32_e32 v3, 0x700000, v3
	v_and_b32_e32 v5, 0x80000000, v5
	v_lshl_add_u32 v1, v1, 23, v6
	v_or3_b32 v1, v5, v1, v3
.LBB6_3358:                             ;   in Loop: Header=BB6_3175 Depth=4
	s_or_b64 exec, exec, s[46:47]
.LBB6_3359:                             ;   in Loop: Header=BB6_3175 Depth=4
	s_or_b64 exec, exec, s[42:43]
.LBB6_3360:                             ;   in Loop: Header=BB6_3175 Depth=4
	s_or_b64 exec, exec, s[44:45]
	v_cmp_gt_i16_sdwa s[44:45], v13, s83 src0_sel:BYTE_0 src1_sel:DWORD
	s_mov_b64 s[42:43], 0
	s_and_saveexec_b64 s[46:47], s[44:45]
	s_xor_b64 s[44:45], exec, s[46:47]
	s_cbranch_execz .LBB6_3845
; %bb.3361:                             ;   in Loop: Header=BB6_3175 Depth=4
	v_cmp_eq_u16_sdwa vcc, v13, s82 src0_sel:BYTE_0 src1_sel:DWORD
	s_mov_b64 s[42:43], -1
	s_and_saveexec_b64 s[46:47], vcc
; %bb.3362:                             ;   in Loop: Header=BB6_3175 Depth=4
	s_xor_b64 s[42:43], exec, -1
; %bb.3363:                             ;   in Loop: Header=BB6_3175 Depth=4
	s_or_b64 exec, exec, s[46:47]
	s_and_b64 s[42:43], s[42:43], exec
	s_or_saveexec_b64 s[44:45], s[44:45]
	v_bfrev_b32_e32 v3, 1
	s_xor_b64 exec, exec, s[44:45]
	s_cbranch_execnz .LBB6_3846
.LBB6_3364:                             ;   in Loop: Header=BB6_3175 Depth=4
	s_or_b64 exec, exec, s[44:45]
	s_and_saveexec_b64 s[44:45], s[42:43]
.LBB6_3365:                             ;   in Loop: Header=BB6_3175 Depth=4
	v_mov_b32_e32 v3, 0x7f800001
	v_cndmask_b32_e64 v3, v0, v3, s[40:41]
.LBB6_3366:                             ;   in Loop: Header=BB6_3175 Depth=4
	s_or_b64 exec, exec, s[44:45]
	v_max_f32_e32 v0, v3, v3
	v_max_f32_e32 v1, v1, v1
	v_min_f32_e32 v1, v1, v0
.LBB6_3367:                             ;   in Loop: Header=BB6_3175 Depth=4
	v_and_b32_e32 v5, 0x7f800000, v1
	v_mov_b32_e32 v6, v53
	v_cmp_ne_u64_e32 vcc, s[76:77], v[5:6]
                                        ; implicit-def: $vgpr30
	s_and_saveexec_b64 s[40:41], vcc
	s_xor_b64 s[42:43], exec, s[40:41]
	s_cbranch_execz .LBB6_3381
; %bb.3368:                             ;   in Loop: Header=BB6_3175 Depth=4
	v_and_b32_e32 v5, 0x7fffffff, v1
	v_mov_b32_e32 v6, v53
	v_cmp_gt_u64_e32 vcc, s[78:79], v[5:6]
	v_and_b32_sdwa v3, v1, s82 dst_sel:DWORD dst_unused:UNUSED_PAD src0_sel:BYTE_3 src1_sel:DWORD
                                        ; implicit-def: $vgpr30
	s_and_saveexec_b64 s[40:41], vcc
	s_xor_b64 s[44:45], exec, s[40:41]
	s_cbranch_execz .LBB6_3378
; %bb.3369:                             ;   in Loop: Header=BB6_3175 Depth=4
	v_mov_b32_e32 v30, 0
	v_cmp_ne_u32_e32 vcc, 0, v1
	s_and_saveexec_b64 s[46:47], vcc
	s_cbranch_execz .LBB6_3377
; %bb.3370:                             ;   in Loop: Header=BB6_3175 Depth=4
	v_bfe_u32 v30, v1, 23, 8
	v_and_b32_e32 v0, 0x7fffff, v1
	v_cmp_gt_u32_e64 s[40:41], s85, v30
	v_sub_u32_e32 v1, 0x79, v30
	v_cmp_eq_u32_e32 vcc, 0, v30
	v_cndmask_b32_e64 v1, 0, v1, s[40:41]
	v_mov_b32_e32 v6, 0x78
	v_or_b32_e32 v5, 0x800000, v0
	v_cndmask_b32_e32 v31, v1, v6, vcc
	v_cndmask_b32_e32 v0, v5, v0, vcc
	v_add_u32_e32 v5, 20, v31
	v_lshlrev_b64 v[5:6], v5, -1
	v_mov_b32_e32 v1, v53
	v_add_u32_e32 v32, 19, v31
	v_bfi_b32 v5, v5, 0, v0
	v_lshlrev_b64 v[32:33], v32, 1
	v_lshrrev_b64 v[0:1], v31, v[0:1]
	v_bfi_b32 v6, v6, 0, 0
	v_cmp_eq_u64_e64 s[40:41], v[5:6], v[32:33]
	v_mov_b32_e32 v6, v1
	v_mov_b32_e32 v5, v0
	s_and_saveexec_b64 s[54:55], s[40:41]
; %bb.3371:                             ;   in Loop: Header=BB6_3175 Depth=4
	v_bfe_u32 v1, v0, 20, 1
	v_add_co_u32_e64 v1, s[40:41], v0, v1
	v_add_co_u32_e64 v5, s[40:41], -1, v1
; %bb.3372:                             ;   in Loop: Header=BB6_3175 Depth=4
	s_or_b64 exec, exec, s[54:55]
	v_add_u32_e32 v1, 0xffffff81, v30
	v_mov_b32_e32 v6, 0xffffff82
	v_cndmask_b32_e32 v1, v1, v6, vcc
	v_lshrrev_b32_e32 v6, 23, v0
	v_add3_u32 v30, v31, v1, v6
	v_add_u32_e32 v6, 6, v30
	v_and_b32_e32 v1, 0xfffff, v5
	v_add_u32_e32 v0, v1, v0
	v_mov_b32_e32 v1, v53
	v_cmp_ne_u32_e32 vcc, 0, v6
                                        ; implicit-def: $vgpr5
	s_and_saveexec_b64 s[40:41], vcc
	s_xor_b64 s[40:41], exec, s[40:41]
; %bb.3373:                             ;   in Loop: Header=BB6_3175 Depth=4
	v_cmp_lt_u64_e32 vcc, s[88:89], v[0:1]
	v_add_u32_e32 v5, 7, v30
	v_cndmask_b32_e32 v5, v6, v5, vcc
	v_cndmask_b32_e64 v6, 0, 1, vcc
	v_lshrrev_b64 v[0:1], v6, v[0:1]
; %bb.3374:                             ;   in Loop: Header=BB6_3175 Depth=4
	s_andn2_saveexec_b64 s[40:41], s[40:41]
; %bb.3375:                             ;   in Loop: Header=BB6_3175 Depth=4
	v_bfe_u32 v5, v0, 23, 1
; %bb.3376:                             ;   in Loop: Header=BB6_3175 Depth=4
	s_or_b64 exec, exec, s[40:41]
	v_lshrrev_b64 v[0:1], 20, v[0:1]
	v_cmp_gt_i32_e32 vcc, 16, v5
	v_cndmask_b32_e32 v1, 0, v1, vcc
	v_cndmask_b32_e32 v0, 7, v0, vcc
	v_cmp_eq_u64_e64 s[40:41], 0, v[0:1]
	v_min_i32_e32 v1, 15, v5
	v_lshlrev_b32_e32 v1, 3, v1
	v_cmp_eq_u32_e32 vcc, 0, v5
	v_and_b32_e32 v1, 0xf8, v1
	v_and_or_b32 v0, v0, 7, v1
	s_and_b64 s[40:41], vcc, s[40:41]
	v_cndmask_b32_e64 v0, v0, 0, s[40:41]
	v_or_b32_e32 v30, v0, v3
.LBB6_3377:                             ;   in Loop: Header=BB6_3175 Depth=4
	s_or_b64 exec, exec, s[46:47]
                                        ; implicit-def: $vgpr3
.LBB6_3378:                             ;   in Loop: Header=BB6_3175 Depth=4
	s_andn2_saveexec_b64 s[40:41], s[44:45]
; %bb.3379:                             ;   in Loop: Header=BB6_3175 Depth=4
	v_or_b32_e32 v30, 0x7e, v3
; %bb.3380:                             ;   in Loop: Header=BB6_3175 Depth=4
	s_or_b64 exec, exec, s[40:41]
                                        ; implicit-def: $vgpr1
.LBB6_3381:                             ;   in Loop: Header=BB6_3175 Depth=4
	s_andn2_saveexec_b64 s[40:41], s[42:43]
; %bb.3382:                             ;   in Loop: Header=BB6_3175 Depth=4
	v_or_b32_sdwa v30, v1, s83 dst_sel:DWORD dst_unused:UNUSED_PAD src0_sel:BYTE_3 src1_sel:DWORD
; %bb.3383:                             ;   in Loop: Header=BB6_3175 Depth=4
	s_or_b64 exec, exec, s[40:41]
	v_lshrrev_b16_e32 v52, 8, v52
	v_and_b32_e32 v5, 7, v52
	v_and_b32_e32 v0, 0x7f, v52
	v_cmp_eq_u32_e64 s[40:41], s83, v0
	v_cmp_gt_u32_e32 vcc, 8, v0
	v_ffbh_u32_e32 v0, v5
	v_min_u32_e32 v31, 32, v0
	v_subrev_u32_e32 v0, 28, v31
	v_lshlrev_b64 v[0:1], v0, v[52:53]
	v_bfe_u32 v6, v52, 3, 4
	v_sub_u32_e32 v1, 29, v31
	v_and_b32_e32 v0, 7, v0
	v_cndmask_b32_e32 v1, v6, v1, vcc
	v_cndmask_b32_e32 v0, v5, v0, vcc
	v_lshlrev_b32_e32 v5, 24, v52
	v_bfrev_b32_e32 v6, 60
	v_lshrrev_b16_e32 v3, 8, v2
	v_lshlrev_b32_e32 v0, 20, v0
	v_and_b32_e32 v5, 0x80000000, v5
	v_lshl_add_u32 v1, v1, 23, v6
	v_or3_b32 v0, v5, v1, v0
	v_cmp_ne_u16_e64 s[42:43], 0, v3
	s_mov_b64 s[44:45], -1
	s_and_b64 vcc, exec, s[52:53]
                                        ; implicit-def: $vgpr1
	s_cbranch_vccz .LBB6_3397
; %bb.3384:                             ;   in Loop: Header=BB6_3175 Depth=4
	v_mov_b32_e32 v1, 0
	s_and_saveexec_b64 s[44:45], s[42:43]
	s_cbranch_execz .LBB6_3390
; %bb.3385:                             ;   in Loop: Header=BB6_3175 Depth=4
	v_cmp_ne_u16_e32 vcc, s82, v3
	v_bfrev_b32_e32 v1, 1
	s_and_saveexec_b64 s[46:47], vcc
	s_cbranch_execz .LBB6_3389
; %bb.3386:                             ;   in Loop: Header=BB6_3175 Depth=4
	v_and_b32_e32 v5, 0x7f, v3
	v_cmp_ne_u32_e32 vcc, s83, v5
	v_mov_b32_e32 v1, 0x7f800001
	s_and_saveexec_b64 s[54:55], vcc
	s_cbranch_execz .LBB6_3388
; %bb.3387:                             ;   in Loop: Header=BB6_3175 Depth=4
	v_and_b32_e32 v1, 7, v3
	v_lshrrev_b32_e32 v31, 3, v5
	v_cmp_gt_u32_e32 vcc, 8, v5
	v_ffbh_u32_e32 v5, v1
	v_min_u32_e32 v32, 32, v5
	v_subrev_u32_e32 v5, 28, v32
	v_lshlrev_b64 v[5:6], v5, v[3:4]
	v_sub_u32_e32 v6, 29, v32
	v_and_b32_e32 v5, 7, v5
	v_cndmask_b32_e32 v6, v31, v6, vcc
	v_cndmask_b32_e32 v1, v1, v5, vcc
	v_lshlrev_b32_e32 v5, 16, v2
	v_bfrev_b32_e32 v31, 60
	v_lshlrev_b32_e32 v1, 20, v1
	v_and_b32_e32 v5, 0x80000000, v5
	v_lshl_add_u32 v6, v6, 23, v31
	v_or3_b32 v1, v5, v6, v1
.LBB6_3388:                             ;   in Loop: Header=BB6_3175 Depth=4
	s_or_b64 exec, exec, s[54:55]
.LBB6_3389:                             ;   in Loop: Header=BB6_3175 Depth=4
	s_or_b64 exec, exec, s[46:47]
.LBB6_3390:                             ;   in Loop: Header=BB6_3175 Depth=4
	s_or_b64 exec, exec, s[44:45]
	v_cmp_lt_i16_e32 vcc, s83, v52
	s_mov_b64 s[44:45], 0
	s_and_saveexec_b64 s[46:47], vcc
	s_xor_b64 s[46:47], exec, s[46:47]
	s_cbranch_execz .LBB6_3847
; %bb.3391:                             ;   in Loop: Header=BB6_3175 Depth=4
	v_cmp_eq_u16_e32 vcc, s82, v52
	s_mov_b64 s[44:45], -1
	s_and_saveexec_b64 s[54:55], vcc
; %bb.3392:                             ;   in Loop: Header=BB6_3175 Depth=4
	s_xor_b64 s[44:45], exec, -1
; %bb.3393:                             ;   in Loop: Header=BB6_3175 Depth=4
	s_or_b64 exec, exec, s[54:55]
	s_and_b64 s[44:45], s[44:45], exec
	s_or_saveexec_b64 s[46:47], s[46:47]
	v_bfrev_b32_e32 v5, 1
	s_xor_b64 exec, exec, s[46:47]
	s_cbranch_execnz .LBB6_3848
.LBB6_3394:                             ;   in Loop: Header=BB6_3175 Depth=4
	s_or_b64 exec, exec, s[46:47]
	s_and_saveexec_b64 s[46:47], s[44:45]
.LBB6_3395:                             ;   in Loop: Header=BB6_3175 Depth=4
	v_mov_b32_e32 v5, 0x7f800001
	v_cndmask_b32_e64 v5, v0, v5, s[40:41]
.LBB6_3396:                             ;   in Loop: Header=BB6_3175 Depth=4
	s_or_b64 exec, exec, s[46:47]
	v_max_f32_e32 v5, v5, v5
	v_max_f32_e32 v1, v1, v1
	;; [unrolled: 1-line block ×3, first 2 shown]
	s_mov_b64 s[44:45], 0
.LBB6_3397:                             ;   in Loop: Header=BB6_3175 Depth=4
	s_and_b64 vcc, exec, s[44:45]
	s_cbranch_vccz .LBB6_3411
; %bb.3398:                             ;   in Loop: Header=BB6_3175 Depth=4
	v_mov_b32_e32 v1, 0
	s_and_saveexec_b64 s[44:45], s[42:43]
	s_cbranch_execz .LBB6_3404
; %bb.3399:                             ;   in Loop: Header=BB6_3175 Depth=4
	v_cmp_ne_u16_e32 vcc, s82, v3
	v_bfrev_b32_e32 v1, 1
	s_and_saveexec_b64 s[42:43], vcc
	s_cbranch_execz .LBB6_3403
; %bb.3400:                             ;   in Loop: Header=BB6_3175 Depth=4
	v_and_b32_e32 v5, 0x7f, v3
	v_cmp_ne_u32_e32 vcc, s83, v5
	v_mov_b32_e32 v1, 0x7f800001
	s_and_saveexec_b64 s[46:47], vcc
	s_cbranch_execz .LBB6_3402
; %bb.3401:                             ;   in Loop: Header=BB6_3175 Depth=4
	v_and_b32_e32 v1, 7, v3
	v_lshrrev_b32_e32 v31, 3, v5
	v_cmp_gt_u32_e32 vcc, 8, v5
	v_ffbh_u32_e32 v5, v1
	v_min_u32_e32 v32, 32, v5
	v_subrev_u32_e32 v5, 28, v32
	v_lshlrev_b64 v[5:6], v5, v[3:4]
	v_sub_u32_e32 v3, 29, v32
	v_and_b32_e32 v5, 7, v5
	v_cndmask_b32_e32 v3, v31, v3, vcc
	v_cndmask_b32_e32 v1, v1, v5, vcc
	v_lshlrev_b32_e32 v2, 16, v2
	v_bfrev_b32_e32 v5, 60
	v_lshlrev_b32_e32 v1, 20, v1
	v_and_b32_e32 v2, 0x80000000, v2
	v_lshl_add_u32 v3, v3, 23, v5
	v_or3_b32 v1, v2, v3, v1
.LBB6_3402:                             ;   in Loop: Header=BB6_3175 Depth=4
	s_or_b64 exec, exec, s[46:47]
.LBB6_3403:                             ;   in Loop: Header=BB6_3175 Depth=4
	s_or_b64 exec, exec, s[42:43]
.LBB6_3404:                             ;   in Loop: Header=BB6_3175 Depth=4
	s_or_b64 exec, exec, s[44:45]
	v_cmp_lt_i16_e32 vcc, s83, v52
	s_mov_b64 s[42:43], 0
	s_and_saveexec_b64 s[44:45], vcc
	s_xor_b64 s[44:45], exec, s[44:45]
	s_cbranch_execz .LBB6_3849
; %bb.3405:                             ;   in Loop: Header=BB6_3175 Depth=4
	v_cmp_eq_u16_e32 vcc, s82, v52
	s_mov_b64 s[42:43], -1
	s_and_saveexec_b64 s[46:47], vcc
; %bb.3406:                             ;   in Loop: Header=BB6_3175 Depth=4
	s_xor_b64 s[42:43], exec, -1
; %bb.3407:                             ;   in Loop: Header=BB6_3175 Depth=4
	s_or_b64 exec, exec, s[46:47]
	s_and_b64 s[42:43], s[42:43], exec
	s_or_saveexec_b64 s[44:45], s[44:45]
	v_bfrev_b32_e32 v2, 1
	s_xor_b64 exec, exec, s[44:45]
	s_cbranch_execnz .LBB6_3850
.LBB6_3408:                             ;   in Loop: Header=BB6_3175 Depth=4
	s_or_b64 exec, exec, s[44:45]
	s_and_saveexec_b64 s[44:45], s[42:43]
.LBB6_3409:                             ;   in Loop: Header=BB6_3175 Depth=4
	v_mov_b32_e32 v2, 0x7f800001
	v_cndmask_b32_e64 v2, v0, v2, s[40:41]
.LBB6_3410:                             ;   in Loop: Header=BB6_3175 Depth=4
	s_or_b64 exec, exec, s[44:45]
	v_max_f32_e32 v0, v2, v2
	v_max_f32_e32 v1, v1, v1
	v_min_f32_e32 v1, v1, v0
.LBB6_3411:                             ;   in Loop: Header=BB6_3175 Depth=4
	v_and_b32_e32 v52, 0x7f800000, v1
	v_cmp_ne_u64_e32 vcc, s[76:77], v[52:53]
                                        ; implicit-def: $vgpr31
	s_and_saveexec_b64 s[40:41], vcc
	s_xor_b64 s[42:43], exec, s[40:41]
	s_cbranch_execz .LBB6_3425
; %bb.3412:                             ;   in Loop: Header=BB6_3175 Depth=4
	v_and_b32_e32 v52, 0x7fffffff, v1
	v_cmp_gt_u64_e32 vcc, s[78:79], v[52:53]
	v_and_b32_sdwa v3, v1, s82 dst_sel:DWORD dst_unused:UNUSED_PAD src0_sel:BYTE_3 src1_sel:DWORD
                                        ; implicit-def: $vgpr31
	s_and_saveexec_b64 s[40:41], vcc
	s_xor_b64 s[44:45], exec, s[40:41]
	s_cbranch_execz .LBB6_3422
; %bb.3413:                             ;   in Loop: Header=BB6_3175 Depth=4
	v_mov_b32_e32 v31, 0
	v_cmp_ne_u32_e32 vcc, 0, v1
	s_and_saveexec_b64 s[46:47], vcc
	s_cbranch_execz .LBB6_3421
; %bb.3414:                             ;   in Loop: Header=BB6_3175 Depth=4
	v_bfe_u32 v5, v1, 23, 8
	v_and_b32_e32 v0, 0x7fffff, v1
	v_cmp_gt_u32_e64 s[40:41], s85, v5
	v_sub_u32_e32 v1, 0x79, v5
	v_cmp_eq_u32_e32 vcc, 0, v5
	v_cndmask_b32_e64 v1, 0, v1, s[40:41]
	v_mov_b32_e32 v6, 0x78
	v_or_b32_e32 v2, 0x800000, v0
	v_cndmask_b32_e32 v6, v1, v6, vcc
	v_cndmask_b32_e32 v52, v2, v0, vcc
	v_add_u32_e32 v0, 20, v6
	v_lshlrev_b64 v[0:1], v0, -1
	v_add_u32_e32 v2, 19, v6
	v_lshlrev_b64 v[31:32], v2, 1
	v_bfi_b32 v1, v1, 0, 0
	v_bfi_b32 v0, v0, 0, v52
	v_cmp_eq_u64_e64 s[40:41], v[0:1], v[31:32]
	v_lshrrev_b64 v[0:1], v6, v[52:53]
	v_mov_b32_e32 v2, v1
	v_mov_b32_e32 v1, v0
	s_and_saveexec_b64 s[54:55], s[40:41]
; %bb.3415:                             ;   in Loop: Header=BB6_3175 Depth=4
	v_bfe_u32 v1, v0, 20, 1
	v_add_co_u32_e64 v1, s[40:41], v0, v1
	v_add_co_u32_e64 v1, s[40:41], -1, v1
; %bb.3416:                             ;   in Loop: Header=BB6_3175 Depth=4
	s_or_b64 exec, exec, s[54:55]
	v_add_u32_e32 v2, 0xffffff81, v5
	v_mov_b32_e32 v5, 0xffffff82
	v_cndmask_b32_e32 v2, v2, v5, vcc
	v_lshrrev_b32_e32 v5, 23, v0
	v_add3_u32 v6, v6, v2, v5
	v_add_u32_e32 v5, 6, v6
	v_and_b32_e32 v1, 0xfffff, v1
	v_add_u32_e32 v52, v1, v0
	v_cmp_ne_u32_e32 vcc, 0, v5
                                        ; implicit-def: $vgpr0_vgpr1
                                        ; implicit-def: $vgpr2
	s_and_saveexec_b64 s[40:41], vcc
	s_xor_b64 s[40:41], exec, s[40:41]
; %bb.3417:                             ;   in Loop: Header=BB6_3175 Depth=4
	v_cmp_lt_u64_e32 vcc, s[88:89], v[52:53]
	v_add_u32_e32 v0, 7, v6
	v_cndmask_b32_e32 v2, v5, v0, vcc
	v_cndmask_b32_e64 v0, 0, 1, vcc
	v_lshrrev_b64 v[0:1], v0, v[52:53]
; %bb.3418:                             ;   in Loop: Header=BB6_3175 Depth=4
	s_andn2_saveexec_b64 s[40:41], s[40:41]
; %bb.3419:                             ;   in Loop: Header=BB6_3175 Depth=4
	v_mov_b32_e32 v0, v52
	v_bfe_u32 v2, v52, 23, 1
	v_mov_b32_e32 v1, v53
; %bb.3420:                             ;   in Loop: Header=BB6_3175 Depth=4
	s_or_b64 exec, exec, s[40:41]
	v_lshrrev_b64 v[0:1], 20, v[0:1]
	v_cmp_gt_i32_e32 vcc, 16, v2
	v_cndmask_b32_e32 v1, 0, v1, vcc
	v_cndmask_b32_e32 v0, 7, v0, vcc
	v_cmp_eq_u64_e64 s[40:41], 0, v[0:1]
	v_min_i32_e32 v1, 15, v2
	v_lshlrev_b32_e32 v1, 3, v1
	v_cmp_eq_u32_e32 vcc, 0, v2
	v_and_b32_e32 v1, 0xf8, v1
	v_and_or_b32 v0, v0, 7, v1
	s_and_b64 s[40:41], vcc, s[40:41]
	v_cndmask_b32_e64 v0, v0, 0, s[40:41]
	v_or_b32_e32 v31, v0, v3
.LBB6_3421:                             ;   in Loop: Header=BB6_3175 Depth=4
	s_or_b64 exec, exec, s[46:47]
                                        ; implicit-def: $vgpr3
.LBB6_3422:                             ;   in Loop: Header=BB6_3175 Depth=4
	s_andn2_saveexec_b64 s[40:41], s[44:45]
; %bb.3423:                             ;   in Loop: Header=BB6_3175 Depth=4
	v_or_b32_e32 v31, 0x7e, v3
; %bb.3424:                             ;   in Loop: Header=BB6_3175 Depth=4
	s_or_b64 exec, exec, s[40:41]
                                        ; implicit-def: $vgpr1
.LBB6_3425:                             ;   in Loop: Header=BB6_3175 Depth=4
	s_andn2_saveexec_b64 s[40:41], s[42:43]
; %bb.3426:                             ;   in Loop: Header=BB6_3175 Depth=4
	v_or_b32_sdwa v31, v1, s83 dst_sel:DWORD dst_unused:UNUSED_PAD src0_sel:BYTE_3 src1_sel:DWORD
; %bb.3427:                             ;   in Loop: Header=BB6_3175 Depth=4
	s_or_b64 exec, exec, s[40:41]
	v_bfe_u32 v3, v13, 16, 3
	v_bfe_u32 v1, v13, 16, 7
	v_cmp_eq_u32_e64 s[40:41], s83, v1
	v_cmp_gt_u32_e32 vcc, 8, v1
	v_ffbh_u32_e32 v1, v3
	v_min_u32_e32 v6, 32, v1
	v_lshrrev_b32_e32 v0, 16, v13
	v_subrev_u32_e32 v1, 28, v6
	v_lshlrev_b64 v[1:2], v1, v[0:1]
	v_bfe_u32 v5, v0, 3, 4
	v_sub_u32_e32 v2, 29, v6
	v_and_b32_e32 v1, 7, v1
	v_cndmask_b32_e32 v2, v5, v2, vcc
	v_cndmask_b32_e32 v1, v3, v1, vcc
	v_lshlrev_b32_e32 v3, 8, v13
	v_bfrev_b32_e32 v5, 60
	v_lshlrev_b32_e32 v1, 20, v1
	v_and_b32_e32 v3, 0x80000000, v3
	v_lshl_add_u32 v2, v2, 23, v5
	v_or3_b32 v1, v3, v2, v1
	v_lshrrev_b32_e32 v2, 16, v9
	v_cmp_ne_u16_sdwa s[42:43], v2, v53 src0_sel:BYTE_0 src1_sel:DWORD
	s_mov_b64 s[44:45], -1
	s_and_b64 vcc, exec, s[52:53]
                                        ; implicit-def: $vgpr5
	s_cbranch_vccz .LBB6_3441
; %bb.3428:                             ;   in Loop: Header=BB6_3175 Depth=4
	v_mov_b32_e32 v3, 0
	s_and_saveexec_b64 s[44:45], s[42:43]
	s_cbranch_execz .LBB6_3434
; %bb.3429:                             ;   in Loop: Header=BB6_3175 Depth=4
	v_cmp_ne_u16_sdwa vcc, v2, s82 src0_sel:BYTE_0 src1_sel:DWORD
	v_bfrev_b32_e32 v3, 1
	s_and_saveexec_b64 s[46:47], vcc
	s_cbranch_execz .LBB6_3433
; %bb.3430:                             ;   in Loop: Header=BB6_3175 Depth=4
	v_bfe_u32 v5, v9, 16, 7
	v_cmp_ne_u32_e32 vcc, s83, v5
	v_mov_b32_e32 v3, 0x7f800001
	s_and_saveexec_b64 s[54:55], vcc
	s_cbranch_execz .LBB6_3432
; %bb.3431:                             ;   in Loop: Header=BB6_3175 Depth=4
	v_and_b32_e32 v3, 7, v2
	v_lshrrev_b32_e32 v32, 3, v5
	v_cmp_gt_u32_e32 vcc, 8, v5
	v_ffbh_u32_e32 v5, v3
	v_min_u32_e32 v33, 32, v5
	v_subrev_u32_e32 v5, 28, v33
	v_lshlrev_b64 v[5:6], v5, v[2:3]
	v_sub_u32_e32 v6, 29, v33
	v_and_b32_e32 v5, 7, v5
	v_cndmask_b32_e32 v6, v32, v6, vcc
	v_cndmask_b32_e32 v3, v3, v5, vcc
	v_lshlrev_b32_e32 v5, 24, v2
	v_bfrev_b32_e32 v32, 60
	v_lshlrev_b32_e32 v3, 20, v3
	v_and_b32_e32 v5, 0x80000000, v5
	v_lshl_add_u32 v6, v6, 23, v32
	v_or3_b32 v3, v5, v6, v3
.LBB6_3432:                             ;   in Loop: Header=BB6_3175 Depth=4
	s_or_b64 exec, exec, s[54:55]
.LBB6_3433:                             ;   in Loop: Header=BB6_3175 Depth=4
	s_or_b64 exec, exec, s[46:47]
.LBB6_3434:                             ;   in Loop: Header=BB6_3175 Depth=4
	s_or_b64 exec, exec, s[44:45]
	v_cmp_gt_i16_sdwa s[46:47], v0, s83 src0_sel:BYTE_0 src1_sel:DWORD
	s_mov_b64 s[44:45], 0
	s_and_saveexec_b64 vcc, s[46:47]
	s_xor_b64 s[46:47], exec, vcc
	s_cbranch_execz .LBB6_3851
; %bb.3435:                             ;   in Loop: Header=BB6_3175 Depth=4
	v_cmp_eq_u16_sdwa s[54:55], v0, s82 src0_sel:BYTE_0 src1_sel:DWORD
	s_mov_b64 s[44:45], -1
	s_and_saveexec_b64 vcc, s[54:55]
; %bb.3436:                             ;   in Loop: Header=BB6_3175 Depth=4
	s_xor_b64 s[44:45], exec, -1
; %bb.3437:                             ;   in Loop: Header=BB6_3175 Depth=4
	s_or_b64 exec, exec, vcc
	s_and_b64 s[44:45], s[44:45], exec
	s_or_saveexec_b64 s[46:47], s[46:47]
	v_bfrev_b32_e32 v5, 1
	s_xor_b64 exec, exec, s[46:47]
	s_cbranch_execnz .LBB6_3852
.LBB6_3438:                             ;   in Loop: Header=BB6_3175 Depth=4
	s_or_b64 exec, exec, s[46:47]
	s_and_saveexec_b64 s[46:47], s[44:45]
.LBB6_3439:                             ;   in Loop: Header=BB6_3175 Depth=4
	v_mov_b32_e32 v5, 0x7f800001
	v_cndmask_b32_e64 v5, v1, v5, s[40:41]
.LBB6_3440:                             ;   in Loop: Header=BB6_3175 Depth=4
	s_or_b64 exec, exec, s[46:47]
	v_max_f32_e32 v5, v5, v5
	v_max_f32_e32 v3, v3, v3
	;; [unrolled: 1-line block ×3, first 2 shown]
	s_mov_b64 s[44:45], 0
.LBB6_3441:                             ;   in Loop: Header=BB6_3175 Depth=4
	s_and_b64 vcc, exec, s[44:45]
	s_cbranch_vccz .LBB6_3455
; %bb.3442:                             ;   in Loop: Header=BB6_3175 Depth=4
	v_mov_b32_e32 v3, 0
	s_and_saveexec_b64 s[44:45], s[42:43]
	s_cbranch_execz .LBB6_3448
; %bb.3443:                             ;   in Loop: Header=BB6_3175 Depth=4
	v_cmp_ne_u16_sdwa s[46:47], v2, s82 src0_sel:BYTE_0 src1_sel:DWORD
	v_bfrev_b32_e32 v3, 1
	s_and_saveexec_b64 s[42:43], s[46:47]
	s_cbranch_execz .LBB6_3447
; %bb.3444:                             ;   in Loop: Header=BB6_3175 Depth=4
	v_bfe_u32 v5, v9, 16, 7
	v_cmp_ne_u32_e32 vcc, s83, v5
	v_mov_b32_e32 v3, 0x7f800001
	s_and_saveexec_b64 s[46:47], vcc
	s_cbranch_execz .LBB6_3446
; %bb.3445:                             ;   in Loop: Header=BB6_3175 Depth=4
	v_and_b32_e32 v3, 7, v2
	v_lshrrev_b32_e32 v32, 3, v5
	v_cmp_gt_u32_e32 vcc, 8, v5
	v_ffbh_u32_e32 v5, v3
	v_min_u32_e32 v33, 32, v5
	v_subrev_u32_e32 v5, 28, v33
	v_lshlrev_b64 v[5:6], v5, v[2:3]
	v_sub_u32_e32 v6, 29, v33
	v_and_b32_e32 v5, 7, v5
	v_cndmask_b32_e32 v6, v32, v6, vcc
	v_cndmask_b32_e32 v3, v3, v5, vcc
	v_lshlrev_b32_e32 v2, 24, v2
	v_bfrev_b32_e32 v5, 60
	v_lshlrev_b32_e32 v3, 20, v3
	v_and_b32_e32 v2, 0x80000000, v2
	v_lshl_add_u32 v5, v6, 23, v5
	v_or3_b32 v3, v2, v5, v3
.LBB6_3446:                             ;   in Loop: Header=BB6_3175 Depth=4
	s_or_b64 exec, exec, s[46:47]
.LBB6_3447:                             ;   in Loop: Header=BB6_3175 Depth=4
	s_or_b64 exec, exec, s[42:43]
.LBB6_3448:                             ;   in Loop: Header=BB6_3175 Depth=4
	s_or_b64 exec, exec, s[44:45]
	v_cmp_gt_i16_sdwa s[44:45], v0, s83 src0_sel:BYTE_0 src1_sel:DWORD
	s_mov_b64 s[42:43], 0
	s_and_saveexec_b64 s[46:47], s[44:45]
	s_xor_b64 s[44:45], exec, s[46:47]
	s_cbranch_execz .LBB6_3853
; %bb.3449:                             ;   in Loop: Header=BB6_3175 Depth=4
	v_cmp_eq_u16_sdwa vcc, v0, s82 src0_sel:BYTE_0 src1_sel:DWORD
	s_mov_b64 s[42:43], -1
	s_and_saveexec_b64 s[46:47], vcc
; %bb.3450:                             ;   in Loop: Header=BB6_3175 Depth=4
	s_xor_b64 s[42:43], exec, -1
; %bb.3451:                             ;   in Loop: Header=BB6_3175 Depth=4
	s_or_b64 exec, exec, s[46:47]
	s_and_b64 s[42:43], s[42:43], exec
                                        ; implicit-def: $vgpr0
	s_or_saveexec_b64 s[44:45], s[44:45]
	v_bfrev_b32_e32 v2, 1
	s_xor_b64 exec, exec, s[44:45]
	s_cbranch_execnz .LBB6_3854
.LBB6_3452:                             ;   in Loop: Header=BB6_3175 Depth=4
	s_or_b64 exec, exec, s[44:45]
	s_and_saveexec_b64 s[44:45], s[42:43]
.LBB6_3453:                             ;   in Loop: Header=BB6_3175 Depth=4
	v_mov_b32_e32 v0, 0x7f800001
	v_cndmask_b32_e64 v2, v1, v0, s[40:41]
.LBB6_3454:                             ;   in Loop: Header=BB6_3175 Depth=4
	s_or_b64 exec, exec, s[44:45]
	v_max_f32_e32 v0, v2, v2
	v_max_f32_e32 v1, v3, v3
	v_min_f32_e32 v5, v1, v0
.LBB6_3455:                             ;   in Loop: Header=BB6_3175 Depth=4
	v_and_b32_e32 v52, 0x7f800000, v5
	v_cmp_ne_u64_e32 vcc, s[76:77], v[52:53]
                                        ; implicit-def: $vgpr32
	s_and_saveexec_b64 s[40:41], vcc
	s_xor_b64 s[42:43], exec, s[40:41]
	s_cbranch_execz .LBB6_3469
; %bb.3456:                             ;   in Loop: Header=BB6_3175 Depth=4
	v_and_b32_e32 v52, 0x7fffffff, v5
	v_cmp_gt_u64_e32 vcc, s[78:79], v[52:53]
	v_and_b32_sdwa v3, v5, s82 dst_sel:DWORD dst_unused:UNUSED_PAD src0_sel:BYTE_3 src1_sel:DWORD
                                        ; implicit-def: $vgpr32
	s_and_saveexec_b64 s[40:41], vcc
	s_xor_b64 s[44:45], exec, s[40:41]
	s_cbranch_execz .LBB6_3466
; %bb.3457:                             ;   in Loop: Header=BB6_3175 Depth=4
	v_mov_b32_e32 v32, 0
	v_cmp_ne_u32_e32 vcc, 0, v5
	s_and_saveexec_b64 s[46:47], vcc
	s_cbranch_execz .LBB6_3465
; %bb.3458:                             ;   in Loop: Header=BB6_3175 Depth=4
	v_and_b32_e32 v0, 0x7fffff, v5
	v_bfe_u32 v5, v5, 23, 8
	v_cmp_gt_u32_e64 s[40:41], s85, v5
	v_sub_u32_e32 v1, 0x79, v5
	v_cmp_eq_u32_e32 vcc, 0, v5
	v_cndmask_b32_e64 v1, 0, v1, s[40:41]
	v_mov_b32_e32 v6, 0x78
	v_or_b32_e32 v2, 0x800000, v0
	v_cndmask_b32_e32 v6, v1, v6, vcc
	v_cndmask_b32_e32 v52, v2, v0, vcc
	v_add_u32_e32 v0, 20, v6
	v_lshlrev_b64 v[0:1], v0, -1
	v_add_u32_e32 v2, 19, v6
	v_lshlrev_b64 v[32:33], v2, 1
	v_bfi_b32 v1, v1, 0, 0
	v_bfi_b32 v0, v0, 0, v52
	v_cmp_eq_u64_e64 s[40:41], v[0:1], v[32:33]
	v_lshrrev_b64 v[0:1], v6, v[52:53]
	v_mov_b32_e32 v2, v1
	v_mov_b32_e32 v1, v0
	s_and_saveexec_b64 s[54:55], s[40:41]
; %bb.3459:                             ;   in Loop: Header=BB6_3175 Depth=4
	v_bfe_u32 v1, v0, 20, 1
	v_add_co_u32_e64 v1, s[40:41], v0, v1
	v_add_co_u32_e64 v1, s[40:41], -1, v1
; %bb.3460:                             ;   in Loop: Header=BB6_3175 Depth=4
	s_or_b64 exec, exec, s[54:55]
	v_add_u32_e32 v2, 0xffffff81, v5
	v_mov_b32_e32 v5, 0xffffff82
	v_cndmask_b32_e32 v2, v2, v5, vcc
	v_lshrrev_b32_e32 v5, 23, v0
	v_add3_u32 v6, v6, v2, v5
	v_add_u32_e32 v5, 6, v6
	v_and_b32_e32 v1, 0xfffff, v1
	v_add_u32_e32 v52, v1, v0
	v_cmp_ne_u32_e32 vcc, 0, v5
                                        ; implicit-def: $vgpr0_vgpr1
                                        ; implicit-def: $vgpr2
	s_and_saveexec_b64 s[40:41], vcc
	s_xor_b64 s[40:41], exec, s[40:41]
; %bb.3461:                             ;   in Loop: Header=BB6_3175 Depth=4
	v_cmp_lt_u64_e32 vcc, s[88:89], v[52:53]
	v_add_u32_e32 v0, 7, v6
	v_cndmask_b32_e32 v2, v5, v0, vcc
	v_cndmask_b32_e64 v0, 0, 1, vcc
	v_lshrrev_b64 v[0:1], v0, v[52:53]
; %bb.3462:                             ;   in Loop: Header=BB6_3175 Depth=4
	s_andn2_saveexec_b64 s[40:41], s[40:41]
; %bb.3463:                             ;   in Loop: Header=BB6_3175 Depth=4
	v_mov_b32_e32 v0, v52
	v_bfe_u32 v2, v52, 23, 1
	v_mov_b32_e32 v1, v53
; %bb.3464:                             ;   in Loop: Header=BB6_3175 Depth=4
	s_or_b64 exec, exec, s[40:41]
	v_lshrrev_b64 v[0:1], 20, v[0:1]
	v_cmp_gt_i32_e32 vcc, 16, v2
	v_cndmask_b32_e32 v1, 0, v1, vcc
	v_cndmask_b32_e32 v0, 7, v0, vcc
	v_cmp_eq_u64_e64 s[40:41], 0, v[0:1]
	v_min_i32_e32 v1, 15, v2
	v_lshlrev_b32_e32 v1, 3, v1
	v_cmp_eq_u32_e32 vcc, 0, v2
	v_and_b32_e32 v1, 0xf8, v1
	v_and_or_b32 v0, v0, 7, v1
	s_and_b64 s[40:41], vcc, s[40:41]
	v_cndmask_b32_e64 v0, v0, 0, s[40:41]
	v_or_b32_e32 v32, v0, v3
.LBB6_3465:                             ;   in Loop: Header=BB6_3175 Depth=4
	s_or_b64 exec, exec, s[46:47]
                                        ; implicit-def: $vgpr3
.LBB6_3466:                             ;   in Loop: Header=BB6_3175 Depth=4
	s_andn2_saveexec_b64 s[40:41], s[44:45]
; %bb.3467:                             ;   in Loop: Header=BB6_3175 Depth=4
	v_or_b32_e32 v32, 0x7e, v3
; %bb.3468:                             ;   in Loop: Header=BB6_3175 Depth=4
	s_or_b64 exec, exec, s[40:41]
                                        ; implicit-def: $vgpr5
.LBB6_3469:                             ;   in Loop: Header=BB6_3175 Depth=4
	s_andn2_saveexec_b64 s[40:41], s[42:43]
; %bb.3470:                             ;   in Loop: Header=BB6_3175 Depth=4
	v_or_b32_sdwa v32, v5, s83 dst_sel:DWORD dst_unused:UNUSED_PAD src0_sel:BYTE_3 src1_sel:DWORD
; %bb.3471:                             ;   in Loop: Header=BB6_3175 Depth=4
	s_or_b64 exec, exec, s[40:41]
	v_bfe_u32 v3, v13, 24, 3
	v_bfe_u32 v2, v13, 24, 7
	v_cmp_eq_u32_e64 s[44:45], s83, v2
	v_cmp_gt_u32_e32 vcc, 8, v2
	v_ffbh_u32_e32 v2, v3
	v_min_u32_e32 v6, 32, v2
	v_lshrrev_b32_e32 v1, 24, v13
	v_subrev_u32_e32 v2, 28, v6
	v_bfe_u32 v5, v1, 3, 4
	v_cmp_eq_u32_e64 s[42:43], s82, v1
	v_lshlrev_b64 v[1:2], v2, v[1:2]
	v_sub_u32_e32 v2, 29, v6
	v_and_b32_e32 v1, 7, v1
	v_cndmask_b32_e32 v2, v5, v2, vcc
	v_cndmask_b32_e32 v1, v3, v1, vcc
	v_bfrev_b32_e32 v5, 60
	v_cmp_gt_u64_e64 s[40:41], s[60:61], v[12:13]
	v_lshlrev_b32_e32 v1, 20, v1
	v_and_b32_e32 v3, 0x80000000, v13
	v_lshl_add_u32 v2, v2, 23, v5
	v_cmp_lt_u64_e64 s[46:47], s[62:63], v[8:9]
	v_lshrrev_b32_e32 v0, 24, v9
	v_or3_b32 v1, v3, v2, v1
	s_mov_b64 s[54:55], -1
	s_and_b64 vcc, exec, s[52:53]
                                        ; implicit-def: $vgpr2
	s_cbranch_vccz .LBB6_3479
; %bb.3472:                             ;   in Loop: Header=BB6_3175 Depth=4
	v_mov_b32_e32 v2, 0
	s_and_saveexec_b64 s[54:55], s[46:47]
	s_cbranch_execz .LBB6_3478
; %bb.3473:                             ;   in Loop: Header=BB6_3175 Depth=4
	v_cmp_ne_u32_e32 vcc, s82, v0
	v_bfrev_b32_e32 v2, 1
	s_and_saveexec_b64 s[64:65], vcc
	s_cbranch_execz .LBB6_3477
; %bb.3474:                             ;   in Loop: Header=BB6_3175 Depth=4
	v_bfe_u32 v3, v9, 24, 7
	v_cmp_ne_u32_e32 vcc, s83, v3
	v_mov_b32_e32 v2, 0x7f800001
	s_and_saveexec_b64 s[66:67], vcc
	s_cbranch_execz .LBB6_3476
; %bb.3475:                             ;   in Loop: Header=BB6_3175 Depth=4
	v_and_b32_e32 v5, 7, v0
	v_ffbh_u32_e32 v2, v5
	v_min_u32_e32 v8, 32, v2
	v_subrev_u32_e32 v2, 28, v8
	v_lshrrev_b32_e32 v6, 3, v3
	v_cmp_gt_u32_e32 vcc, 8, v3
	v_lshlrev_b64 v[2:3], v2, v[0:1]
	v_sub_u32_e32 v3, 29, v8
	v_and_b32_e32 v2, 7, v2
	v_cndmask_b32_e32 v3, v6, v3, vcc
	v_cndmask_b32_e32 v2, v5, v2, vcc
	v_lshlrev_b32_e32 v5, 24, v0
	v_bfrev_b32_e32 v6, 60
	v_lshlrev_b32_e32 v2, 20, v2
	v_and_b32_e32 v5, 0x80000000, v5
	v_lshl_add_u32 v3, v3, 23, v6
	v_or3_b32 v2, v5, v3, v2
.LBB6_3476:                             ;   in Loop: Header=BB6_3175 Depth=4
	s_or_b64 exec, exec, s[66:67]
.LBB6_3477:                             ;   in Loop: Header=BB6_3175 Depth=4
	s_or_b64 exec, exec, s[64:65]
.LBB6_3478:                             ;   in Loop: Header=BB6_3175 Depth=4
	s_or_b64 exec, exec, s[54:55]
	v_mov_b32_e32 v3, 0x7f800001
	v_cndmask_b32_e64 v3, v1, v3, s[44:45]
	v_bfrev_b32_e32 v5, 1
	v_cndmask_b32_e64 v3, v3, v5, s[42:43]
	v_cndmask_b32_e64 v3, v3, 0, s[40:41]
	v_max_f32_e32 v3, v3, v3
	v_max_f32_e32 v2, v2, v2
	;; [unrolled: 1-line block ×3, first 2 shown]
	s_mov_b64 s[54:55], 0
.LBB6_3479:                             ;   in Loop: Header=BB6_3175 Depth=4
	s_and_b64 vcc, exec, s[54:55]
	s_cbranch_vccz .LBB6_3487
; %bb.3480:                             ;   in Loop: Header=BB6_3175 Depth=4
	v_mov_b32_e32 v2, 0
	s_and_saveexec_b64 s[54:55], s[46:47]
	s_cbranch_execz .LBB6_3486
; %bb.3481:                             ;   in Loop: Header=BB6_3175 Depth=4
	v_cmp_ne_u32_e32 vcc, s82, v0
	v_bfrev_b32_e32 v2, 1
	s_and_saveexec_b64 s[46:47], vcc
	s_cbranch_execz .LBB6_3485
; %bb.3482:                             ;   in Loop: Header=BB6_3175 Depth=4
	v_bfe_u32 v3, v9, 24, 7
	v_cmp_ne_u32_e32 vcc, s83, v3
	v_mov_b32_e32 v2, 0x7f800001
	s_and_saveexec_b64 s[64:65], vcc
	s_cbranch_execz .LBB6_3484
; %bb.3483:                             ;   in Loop: Header=BB6_3175 Depth=4
	v_and_b32_e32 v5, 7, v0
	v_ffbh_u32_e32 v2, v5
	v_min_u32_e32 v8, 32, v2
	v_subrev_u32_e32 v2, 28, v8
	v_lshrrev_b32_e32 v6, 3, v3
	v_cmp_gt_u32_e32 vcc, 8, v3
	v_lshlrev_b64 v[2:3], v2, v[0:1]
	v_sub_u32_e32 v3, 29, v8
	v_and_b32_e32 v2, 7, v2
	v_cndmask_b32_e32 v3, v6, v3, vcc
	v_cndmask_b32_e32 v2, v5, v2, vcc
	v_lshlrev_b32_e32 v0, 24, v0
	v_bfrev_b32_e32 v5, 60
	v_lshlrev_b32_e32 v2, 20, v2
	v_and_b32_e32 v0, 0x80000000, v0
	v_lshl_add_u32 v3, v3, 23, v5
	v_or3_b32 v2, v0, v3, v2
.LBB6_3484:                             ;   in Loop: Header=BB6_3175 Depth=4
	s_or_b64 exec, exec, s[64:65]
.LBB6_3485:                             ;   in Loop: Header=BB6_3175 Depth=4
	s_or_b64 exec, exec, s[46:47]
.LBB6_3486:                             ;   in Loop: Header=BB6_3175 Depth=4
	s_or_b64 exec, exec, s[54:55]
	v_mov_b32_e32 v0, 0x7f800001
	v_cndmask_b32_e64 v0, v1, v0, s[44:45]
	v_bfrev_b32_e32 v1, 1
	v_cndmask_b32_e64 v0, v0, v1, s[42:43]
	v_cndmask_b32_e64 v0, v0, 0, s[40:41]
	v_max_f32_e32 v0, v0, v0
	v_max_f32_e32 v1, v2, v2
	v_min_f32_e32 v2, v1, v0
.LBB6_3487:                             ;   in Loop: Header=BB6_3175 Depth=4
	v_and_b32_e32 v52, 0x7f800000, v2
	v_cmp_ne_u64_e32 vcc, s[76:77], v[52:53]
                                        ; implicit-def: $vgpr8
	s_and_saveexec_b64 s[40:41], vcc
	s_xor_b64 s[42:43], exec, s[40:41]
	s_cbranch_execz .LBB6_3501
; %bb.3488:                             ;   in Loop: Header=BB6_3175 Depth=4
	v_and_b32_e32 v52, 0x7fffffff, v2
	v_cmp_gt_u64_e32 vcc, s[78:79], v[52:53]
	v_and_b32_sdwa v3, v2, s82 dst_sel:DWORD dst_unused:UNUSED_PAD src0_sel:BYTE_3 src1_sel:DWORD
                                        ; implicit-def: $vgpr8
	s_and_saveexec_b64 s[40:41], vcc
	s_xor_b64 s[44:45], exec, s[40:41]
	s_cbranch_execz .LBB6_3498
; %bb.3489:                             ;   in Loop: Header=BB6_3175 Depth=4
	v_mov_b32_e32 v8, 0
	v_cmp_ne_u32_e32 vcc, 0, v2
	s_and_saveexec_b64 s[46:47], vcc
	s_cbranch_execz .LBB6_3497
; %bb.3490:                             ;   in Loop: Header=BB6_3175 Depth=4
	v_bfe_u32 v5, v2, 23, 8
	v_cmp_gt_u32_e64 s[40:41], s85, v5
	v_sub_u32_e32 v1, 0x79, v5
	v_and_b32_e32 v0, 0x7fffff, v2
	v_cmp_eq_u32_e32 vcc, 0, v5
	v_cndmask_b32_e64 v1, 0, v1, s[40:41]
	v_mov_b32_e32 v6, 0x78
	v_or_b32_e32 v2, 0x800000, v0
	v_cndmask_b32_e32 v6, v1, v6, vcc
	v_cndmask_b32_e32 v52, v2, v0, vcc
	v_add_u32_e32 v0, 20, v6
	v_lshlrev_b64 v[0:1], v0, -1
	v_add_u32_e32 v2, 19, v6
	v_lshlrev_b64 v[8:9], v2, 1
	v_bfi_b32 v1, v1, 0, 0
	v_bfi_b32 v0, v0, 0, v52
	v_cmp_eq_u64_e64 s[40:41], v[0:1], v[8:9]
	v_lshrrev_b64 v[0:1], v6, v[52:53]
	v_mov_b32_e32 v2, v1
	v_mov_b32_e32 v1, v0
	s_and_saveexec_b64 s[54:55], s[40:41]
; %bb.3491:                             ;   in Loop: Header=BB6_3175 Depth=4
	v_bfe_u32 v1, v0, 20, 1
	v_add_co_u32_e64 v1, s[40:41], v0, v1
	v_add_co_u32_e64 v1, s[40:41], -1, v1
; %bb.3492:                             ;   in Loop: Header=BB6_3175 Depth=4
	s_or_b64 exec, exec, s[54:55]
	v_add_u32_e32 v2, 0xffffff81, v5
	v_mov_b32_e32 v5, 0xffffff82
	v_cndmask_b32_e32 v2, v2, v5, vcc
	v_lshrrev_b32_e32 v5, 23, v0
	v_add3_u32 v6, v6, v2, v5
	v_add_u32_e32 v5, 6, v6
	v_and_b32_e32 v1, 0xfffff, v1
	v_add_u32_e32 v52, v1, v0
	v_cmp_ne_u32_e32 vcc, 0, v5
                                        ; implicit-def: $vgpr0_vgpr1
                                        ; implicit-def: $vgpr2
	s_and_saveexec_b64 s[40:41], vcc
	s_xor_b64 s[40:41], exec, s[40:41]
; %bb.3493:                             ;   in Loop: Header=BB6_3175 Depth=4
	v_cmp_lt_u64_e32 vcc, s[88:89], v[52:53]
	v_add_u32_e32 v0, 7, v6
	v_cndmask_b32_e32 v2, v5, v0, vcc
	v_cndmask_b32_e64 v0, 0, 1, vcc
	v_lshrrev_b64 v[0:1], v0, v[52:53]
; %bb.3494:                             ;   in Loop: Header=BB6_3175 Depth=4
	s_andn2_saveexec_b64 s[40:41], s[40:41]
; %bb.3495:                             ;   in Loop: Header=BB6_3175 Depth=4
	v_mov_b32_e32 v0, v52
	v_bfe_u32 v2, v52, 23, 1
	v_mov_b32_e32 v1, v53
; %bb.3496:                             ;   in Loop: Header=BB6_3175 Depth=4
	s_or_b64 exec, exec, s[40:41]
	v_lshrrev_b64 v[0:1], 20, v[0:1]
	v_cmp_gt_i32_e32 vcc, 16, v2
	v_cndmask_b32_e32 v1, 0, v1, vcc
	v_cndmask_b32_e32 v0, 7, v0, vcc
	v_cmp_eq_u64_e64 s[40:41], 0, v[0:1]
	v_min_i32_e32 v1, 15, v2
	v_lshlrev_b32_e32 v1, 3, v1
	v_cmp_eq_u32_e32 vcc, 0, v2
	v_and_b32_e32 v1, 0xf8, v1
	v_and_or_b32 v0, v0, 7, v1
	s_and_b64 s[40:41], vcc, s[40:41]
	v_cndmask_b32_e64 v0, v0, 0, s[40:41]
	v_or_b32_e32 v8, v0, v3
.LBB6_3497:                             ;   in Loop: Header=BB6_3175 Depth=4
	s_or_b64 exec, exec, s[46:47]
                                        ; implicit-def: $vgpr3
.LBB6_3498:                             ;   in Loop: Header=BB6_3175 Depth=4
	s_andn2_saveexec_b64 s[40:41], s[44:45]
; %bb.3499:                             ;   in Loop: Header=BB6_3175 Depth=4
	v_or_b32_e32 v8, 0x7e, v3
; %bb.3500:                             ;   in Loop: Header=BB6_3175 Depth=4
	s_or_b64 exec, exec, s[40:41]
                                        ; implicit-def: $vgpr2
.LBB6_3501:                             ;   in Loop: Header=BB6_3175 Depth=4
	s_andn2_saveexec_b64 s[40:41], s[42:43]
; %bb.3502:                             ;   in Loop: Header=BB6_3175 Depth=4
	v_or_b32_sdwa v8, v2, s83 dst_sel:DWORD dst_unused:UNUSED_PAD src0_sel:BYTE_3 src1_sel:DWORD
; %bb.3503:                             ;   in Loop: Header=BB6_3175 Depth=4
	s_or_b64 exec, exec, s[40:41]
	v_and_b32_e32 v0, 7, v14
	v_ffbh_u32_e32 v0, v0
	v_and_b32_e32 v1, 0x7f, v14
	v_min_u32_e32 v0, 32, v0
	v_bfe_u32 v2, v14, 3, 4
	v_cmp_eq_u32_e64 s[40:41], s83, v1
	v_cmp_gt_u32_e32 vcc, 8, v1
	v_subrev_u32_e32 v1, 28, v0
	v_sub_u32_e32 v0, 29, v0
	v_cndmask_b32_e32 v2, v2, v0, vcc
	v_cndmask_b32_e32 v0, 0, v1, vcc
	v_lshlrev_b64 v[0:1], v0, v[14:15]
	v_lshlrev_b32_e32 v1, 24, v14
	v_lshlrev_b32_e32 v0, 20, v0
	v_bfrev_b32_e32 v3, 60
	v_and_b32_e32 v0, 0x700000, v0
	v_and_b32_e32 v1, 0x80000000, v1
	v_lshl_add_u32 v2, v2, 23, v3
	v_or3_b32 v0, v1, v2, v0
	v_cmp_ne_u16_sdwa s[42:43], v10, v53 src0_sel:BYTE_0 src1_sel:DWORD
	s_mov_b64 s[44:45], -1
	s_and_b64 vcc, exec, s[52:53]
                                        ; implicit-def: $vgpr1
	s_cbranch_vccz .LBB6_3517
; %bb.3504:                             ;   in Loop: Header=BB6_3175 Depth=4
	v_mov_b32_e32 v1, 0
	s_and_saveexec_b64 s[44:45], s[42:43]
	s_cbranch_execz .LBB6_3510
; %bb.3505:                             ;   in Loop: Header=BB6_3175 Depth=4
	v_cmp_ne_u16_sdwa vcc, v10, s82 src0_sel:BYTE_0 src1_sel:DWORD
	v_bfrev_b32_e32 v1, 1
	s_and_saveexec_b64 s[46:47], vcc
	s_cbranch_execz .LBB6_3509
; %bb.3506:                             ;   in Loop: Header=BB6_3175 Depth=4
	v_and_b32_e32 v2, 0x7f, v10
	v_cmp_ne_u32_e32 vcc, s83, v2
	v_mov_b32_e32 v1, 0x7f800001
	s_and_saveexec_b64 s[54:55], vcc
	s_cbranch_execz .LBB6_3508
; %bb.3507:                             ;   in Loop: Header=BB6_3175 Depth=4
	v_and_b32_e32 v1, 7, v10
	v_ffbh_u32_e32 v1, v1
	v_min_u32_e32 v1, 32, v1
	v_lshrrev_b32_e32 v3, 3, v2
	v_cmp_gt_u32_e32 vcc, 8, v2
	v_subrev_u32_e32 v2, 28, v1
	v_sub_u32_e32 v1, 29, v1
	v_cndmask_b32_e32 v3, v3, v1, vcc
	v_cndmask_b32_e32 v1, 0, v2, vcc
	v_lshlrev_b64 v[1:2], v1, v[10:11]
	v_lshlrev_b32_e32 v2, 24, v10
	v_lshlrev_b32_e32 v1, 20, v1
	v_bfrev_b32_e32 v5, 60
	v_and_b32_e32 v1, 0x700000, v1
	v_and_b32_e32 v2, 0x80000000, v2
	v_lshl_add_u32 v3, v3, 23, v5
	v_or3_b32 v1, v2, v3, v1
.LBB6_3508:                             ;   in Loop: Header=BB6_3175 Depth=4
	s_or_b64 exec, exec, s[54:55]
.LBB6_3509:                             ;   in Loop: Header=BB6_3175 Depth=4
	s_or_b64 exec, exec, s[46:47]
.LBB6_3510:                             ;   in Loop: Header=BB6_3175 Depth=4
	s_or_b64 exec, exec, s[44:45]
	v_cmp_gt_i16_sdwa s[46:47], v14, s83 src0_sel:BYTE_0 src1_sel:DWORD
	s_mov_b64 s[44:45], 0
	s_and_saveexec_b64 vcc, s[46:47]
	s_xor_b64 s[46:47], exec, vcc
	s_cbranch_execz .LBB6_3855
; %bb.3511:                             ;   in Loop: Header=BB6_3175 Depth=4
	v_cmp_eq_u16_sdwa s[54:55], v14, s82 src0_sel:BYTE_0 src1_sel:DWORD
	s_mov_b64 s[44:45], -1
	s_and_saveexec_b64 vcc, s[54:55]
; %bb.3512:                             ;   in Loop: Header=BB6_3175 Depth=4
	s_xor_b64 s[44:45], exec, -1
; %bb.3513:                             ;   in Loop: Header=BB6_3175 Depth=4
	s_or_b64 exec, exec, vcc
	s_and_b64 s[44:45], s[44:45], exec
	s_or_saveexec_b64 s[46:47], s[46:47]
	v_bfrev_b32_e32 v2, 1
	s_xor_b64 exec, exec, s[46:47]
	s_cbranch_execnz .LBB6_3856
.LBB6_3514:                             ;   in Loop: Header=BB6_3175 Depth=4
	s_or_b64 exec, exec, s[46:47]
	s_and_saveexec_b64 s[46:47], s[44:45]
.LBB6_3515:                             ;   in Loop: Header=BB6_3175 Depth=4
	v_mov_b32_e32 v2, 0x7f800001
	v_cndmask_b32_e64 v2, v0, v2, s[40:41]
.LBB6_3516:                             ;   in Loop: Header=BB6_3175 Depth=4
	s_or_b64 exec, exec, s[46:47]
	v_max_f32_e32 v2, v2, v2
	v_max_f32_e32 v1, v1, v1
	;; [unrolled: 1-line block ×3, first 2 shown]
	s_mov_b64 s[44:45], 0
.LBB6_3517:                             ;   in Loop: Header=BB6_3175 Depth=4
	s_and_b64 vcc, exec, s[44:45]
	s_cbranch_vccz .LBB6_3531
; %bb.3518:                             ;   in Loop: Header=BB6_3175 Depth=4
	v_mov_b32_e32 v1, 0
	s_and_saveexec_b64 s[44:45], s[42:43]
	s_cbranch_execz .LBB6_3524
; %bb.3519:                             ;   in Loop: Header=BB6_3175 Depth=4
	v_cmp_ne_u16_sdwa s[46:47], v10, s82 src0_sel:BYTE_0 src1_sel:DWORD
	v_bfrev_b32_e32 v1, 1
	s_and_saveexec_b64 s[42:43], s[46:47]
	s_cbranch_execz .LBB6_3523
; %bb.3520:                             ;   in Loop: Header=BB6_3175 Depth=4
	v_and_b32_e32 v2, 0x7f, v10
	v_cmp_ne_u32_e32 vcc, s83, v2
	v_mov_b32_e32 v1, 0x7f800001
	s_and_saveexec_b64 s[46:47], vcc
	s_cbranch_execz .LBB6_3522
; %bb.3521:                             ;   in Loop: Header=BB6_3175 Depth=4
	v_and_b32_e32 v1, 7, v10
	v_ffbh_u32_e32 v1, v1
	v_min_u32_e32 v1, 32, v1
	v_lshrrev_b32_e32 v3, 3, v2
	v_cmp_gt_u32_e32 vcc, 8, v2
	v_subrev_u32_e32 v2, 28, v1
	v_sub_u32_e32 v1, 29, v1
	v_cndmask_b32_e32 v3, v3, v1, vcc
	v_cndmask_b32_e32 v1, 0, v2, vcc
	v_lshlrev_b64 v[1:2], v1, v[10:11]
	v_lshlrev_b32_e32 v2, 24, v10
	v_lshlrev_b32_e32 v1, 20, v1
	v_bfrev_b32_e32 v5, 60
	v_and_b32_e32 v1, 0x700000, v1
	v_and_b32_e32 v2, 0x80000000, v2
	v_lshl_add_u32 v3, v3, 23, v5
	v_or3_b32 v1, v2, v3, v1
.LBB6_3522:                             ;   in Loop: Header=BB6_3175 Depth=4
	s_or_b64 exec, exec, s[46:47]
.LBB6_3523:                             ;   in Loop: Header=BB6_3175 Depth=4
	s_or_b64 exec, exec, s[42:43]
.LBB6_3524:                             ;   in Loop: Header=BB6_3175 Depth=4
	s_or_b64 exec, exec, s[44:45]
	v_cmp_gt_i16_sdwa s[44:45], v14, s83 src0_sel:BYTE_0 src1_sel:DWORD
	s_mov_b64 s[42:43], 0
	s_and_saveexec_b64 s[46:47], s[44:45]
	s_xor_b64 s[44:45], exec, s[46:47]
	s_cbranch_execz .LBB6_3857
; %bb.3525:                             ;   in Loop: Header=BB6_3175 Depth=4
	v_cmp_eq_u16_sdwa vcc, v14, s82 src0_sel:BYTE_0 src1_sel:DWORD
	s_mov_b64 s[42:43], -1
	s_and_saveexec_b64 s[46:47], vcc
; %bb.3526:                             ;   in Loop: Header=BB6_3175 Depth=4
	s_xor_b64 s[42:43], exec, -1
; %bb.3527:                             ;   in Loop: Header=BB6_3175 Depth=4
	s_or_b64 exec, exec, s[46:47]
	s_and_b64 s[42:43], s[42:43], exec
	s_or_saveexec_b64 s[44:45], s[44:45]
	v_bfrev_b32_e32 v2, 1
	s_xor_b64 exec, exec, s[44:45]
	s_cbranch_execnz .LBB6_3858
.LBB6_3528:                             ;   in Loop: Header=BB6_3175 Depth=4
	s_or_b64 exec, exec, s[44:45]
	s_and_saveexec_b64 s[44:45], s[42:43]
.LBB6_3529:                             ;   in Loop: Header=BB6_3175 Depth=4
	v_mov_b32_e32 v2, 0x7f800001
	v_cndmask_b32_e64 v2, v0, v2, s[40:41]
.LBB6_3530:                             ;   in Loop: Header=BB6_3175 Depth=4
	s_or_b64 exec, exec, s[44:45]
	v_max_f32_e32 v0, v2, v2
	v_max_f32_e32 v1, v1, v1
	v_min_f32_e32 v1, v1, v0
.LBB6_3531:                             ;   in Loop: Header=BB6_3175 Depth=4
	v_and_b32_e32 v52, 0x7f800000, v1
	v_cmp_ne_u64_e32 vcc, s[76:77], v[52:53]
                                        ; implicit-def: $vgpr9
	s_and_saveexec_b64 s[40:41], vcc
	s_xor_b64 s[42:43], exec, s[40:41]
	s_cbranch_execz .LBB6_3545
; %bb.3532:                             ;   in Loop: Header=BB6_3175 Depth=4
	v_and_b32_e32 v52, 0x7fffffff, v1
	v_cmp_gt_u64_e32 vcc, s[78:79], v[52:53]
	v_and_b32_sdwa v3, v1, s82 dst_sel:DWORD dst_unused:UNUSED_PAD src0_sel:BYTE_3 src1_sel:DWORD
                                        ; implicit-def: $vgpr9
	s_and_saveexec_b64 s[40:41], vcc
	s_xor_b64 s[44:45], exec, s[40:41]
	s_cbranch_execz .LBB6_3542
; %bb.3533:                             ;   in Loop: Header=BB6_3175 Depth=4
	v_mov_b32_e32 v9, 0
	v_cmp_ne_u32_e32 vcc, 0, v1
	s_and_saveexec_b64 s[46:47], vcc
	s_cbranch_execz .LBB6_3541
; %bb.3534:                             ;   in Loop: Header=BB6_3175 Depth=4
	v_bfe_u32 v5, v1, 23, 8
	v_and_b32_e32 v0, 0x7fffff, v1
	v_cmp_gt_u32_e64 s[40:41], s85, v5
	v_sub_u32_e32 v1, 0x79, v5
	v_cmp_eq_u32_e32 vcc, 0, v5
	v_cndmask_b32_e64 v1, 0, v1, s[40:41]
	v_mov_b32_e32 v6, 0x78
	v_or_b32_e32 v2, 0x800000, v0
	v_cndmask_b32_e32 v6, v1, v6, vcc
	v_cndmask_b32_e32 v52, v2, v0, vcc
	v_add_u32_e32 v0, 20, v6
	v_lshlrev_b64 v[0:1], v0, -1
	v_add_u32_e32 v2, 19, v6
	v_lshlrev_b64 v[12:13], v2, 1
	v_bfi_b32 v1, v1, 0, 0
	v_bfi_b32 v0, v0, 0, v52
	v_cmp_eq_u64_e64 s[40:41], v[0:1], v[12:13]
	v_lshrrev_b64 v[0:1], v6, v[52:53]
	v_mov_b32_e32 v2, v1
	v_mov_b32_e32 v1, v0
	s_and_saveexec_b64 s[54:55], s[40:41]
; %bb.3535:                             ;   in Loop: Header=BB6_3175 Depth=4
	v_bfe_u32 v1, v0, 20, 1
	v_add_co_u32_e64 v1, s[40:41], v0, v1
	v_add_co_u32_e64 v1, s[40:41], -1, v1
; %bb.3536:                             ;   in Loop: Header=BB6_3175 Depth=4
	s_or_b64 exec, exec, s[54:55]
	v_add_u32_e32 v2, 0xffffff81, v5
	v_mov_b32_e32 v5, 0xffffff82
	v_cndmask_b32_e32 v2, v2, v5, vcc
	v_lshrrev_b32_e32 v5, 23, v0
	v_add3_u32 v6, v6, v2, v5
	v_add_u32_e32 v5, 6, v6
	v_and_b32_e32 v1, 0xfffff, v1
	v_add_u32_e32 v52, v1, v0
	v_cmp_ne_u32_e32 vcc, 0, v5
                                        ; implicit-def: $vgpr0_vgpr1
                                        ; implicit-def: $vgpr2
	s_and_saveexec_b64 s[40:41], vcc
	s_xor_b64 s[40:41], exec, s[40:41]
; %bb.3537:                             ;   in Loop: Header=BB6_3175 Depth=4
	v_cmp_lt_u64_e32 vcc, s[88:89], v[52:53]
	v_add_u32_e32 v0, 7, v6
	v_cndmask_b32_e32 v2, v5, v0, vcc
	v_cndmask_b32_e64 v0, 0, 1, vcc
	v_lshrrev_b64 v[0:1], v0, v[52:53]
; %bb.3538:                             ;   in Loop: Header=BB6_3175 Depth=4
	s_andn2_saveexec_b64 s[40:41], s[40:41]
; %bb.3539:                             ;   in Loop: Header=BB6_3175 Depth=4
	v_mov_b32_e32 v0, v52
	v_bfe_u32 v2, v52, 23, 1
	v_mov_b32_e32 v1, v53
; %bb.3540:                             ;   in Loop: Header=BB6_3175 Depth=4
	s_or_b64 exec, exec, s[40:41]
	v_lshrrev_b64 v[0:1], 20, v[0:1]
	v_cmp_gt_i32_e32 vcc, 16, v2
	v_cndmask_b32_e32 v1, 0, v1, vcc
	v_cndmask_b32_e32 v0, 7, v0, vcc
	v_cmp_eq_u64_e64 s[40:41], 0, v[0:1]
	v_min_i32_e32 v1, 15, v2
	v_lshlrev_b32_e32 v1, 3, v1
	v_cmp_eq_u32_e32 vcc, 0, v2
	v_and_b32_e32 v1, 0xf8, v1
	v_and_or_b32 v0, v0, 7, v1
	s_and_b64 s[40:41], vcc, s[40:41]
	v_cndmask_b32_e64 v0, v0, 0, s[40:41]
	v_or_b32_e32 v9, v0, v3
.LBB6_3541:                             ;   in Loop: Header=BB6_3175 Depth=4
	s_or_b64 exec, exec, s[46:47]
                                        ; implicit-def: $vgpr3
.LBB6_3542:                             ;   in Loop: Header=BB6_3175 Depth=4
	s_andn2_saveexec_b64 s[40:41], s[44:45]
; %bb.3543:                             ;   in Loop: Header=BB6_3175 Depth=4
	v_or_b32_e32 v9, 0x7e, v3
; %bb.3544:                             ;   in Loop: Header=BB6_3175 Depth=4
	s_or_b64 exec, exec, s[40:41]
                                        ; implicit-def: $vgpr1
.LBB6_3545:                             ;   in Loop: Header=BB6_3175 Depth=4
	s_andn2_saveexec_b64 s[40:41], s[42:43]
; %bb.3546:                             ;   in Loop: Header=BB6_3175 Depth=4
	v_or_b32_sdwa v9, v1, s83 dst_sel:DWORD dst_unused:UNUSED_PAD src0_sel:BYTE_3 src1_sel:DWORD
; %bb.3547:                             ;   in Loop: Header=BB6_3175 Depth=4
	s_or_b64 exec, exec, s[40:41]
	v_lshrrev_b16_e32 v52, 8, v14
	v_and_b32_e32 v3, 7, v52
	v_and_b32_e32 v0, 0x7f, v52
	v_cmp_eq_u32_e64 s[40:41], s83, v0
	v_cmp_gt_u32_e32 vcc, 8, v0
	v_ffbh_u32_e32 v0, v3
	v_min_u32_e32 v6, 32, v0
	v_subrev_u32_e32 v0, 28, v6
	v_lshlrev_b64 v[0:1], v0, v[52:53]
	v_bfe_u32 v5, v52, 3, 4
	v_sub_u32_e32 v1, 29, v6
	v_and_b32_e32 v0, 7, v0
	v_cndmask_b32_e32 v1, v5, v1, vcc
	v_cndmask_b32_e32 v0, v3, v0, vcc
	v_lshlrev_b32_e32 v3, 24, v52
	v_bfrev_b32_e32 v5, 60
	v_lshrrev_b16_e32 v2, 8, v10
	v_lshlrev_b32_e32 v0, 20, v0
	v_and_b32_e32 v3, 0x80000000, v3
	v_lshl_add_u32 v1, v1, 23, v5
	v_or3_b32 v0, v3, v1, v0
	v_cmp_ne_u16_e64 s[42:43], 0, v2
	s_mov_b64 s[44:45], -1
	s_and_b64 vcc, exec, s[52:53]
                                        ; implicit-def: $vgpr1
	s_cbranch_vccz .LBB6_3561
; %bb.3548:                             ;   in Loop: Header=BB6_3175 Depth=4
	v_mov_b32_e32 v1, 0
	s_and_saveexec_b64 s[44:45], s[42:43]
	s_cbranch_execz .LBB6_3554
; %bb.3549:                             ;   in Loop: Header=BB6_3175 Depth=4
	v_cmp_ne_u16_e32 vcc, s82, v2
	v_bfrev_b32_e32 v1, 1
	s_and_saveexec_b64 s[46:47], vcc
	s_cbranch_execz .LBB6_3553
; %bb.3550:                             ;   in Loop: Header=BB6_3175 Depth=4
	v_and_b32_e32 v3, 0x7f, v2
	v_cmp_ne_u32_e32 vcc, s83, v3
	v_mov_b32_e32 v1, 0x7f800001
	s_and_saveexec_b64 s[54:55], vcc
	s_cbranch_execz .LBB6_3552
; %bb.3551:                             ;   in Loop: Header=BB6_3175 Depth=4
	v_and_b32_e32 v1, 7, v2
	v_lshrrev_b32_e32 v12, 3, v3
	v_cmp_gt_u32_e32 vcc, 8, v3
	v_ffbh_u32_e32 v3, v1
	v_min_u32_e32 v3, 32, v3
	v_subrev_u32_e32 v5, 28, v3
	v_lshlrev_b64 v[5:6], v5, v[2:3]
	v_sub_u32_e32 v3, 29, v3
	v_and_b32_e32 v5, 7, v5
	v_cndmask_b32_e32 v3, v12, v3, vcc
	v_cndmask_b32_e32 v1, v1, v5, vcc
	v_lshlrev_b32_e32 v5, 16, v10
	v_bfrev_b32_e32 v6, 60
	v_lshlrev_b32_e32 v1, 20, v1
	v_and_b32_e32 v5, 0x80000000, v5
	v_lshl_add_u32 v3, v3, 23, v6
	v_or3_b32 v1, v5, v3, v1
.LBB6_3552:                             ;   in Loop: Header=BB6_3175 Depth=4
	s_or_b64 exec, exec, s[54:55]
.LBB6_3553:                             ;   in Loop: Header=BB6_3175 Depth=4
	s_or_b64 exec, exec, s[46:47]
.LBB6_3554:                             ;   in Loop: Header=BB6_3175 Depth=4
	s_or_b64 exec, exec, s[44:45]
	v_cmp_lt_i16_e32 vcc, s83, v52
	s_mov_b64 s[44:45], 0
	s_and_saveexec_b64 s[46:47], vcc
	s_xor_b64 s[46:47], exec, s[46:47]
	s_cbranch_execz .LBB6_3859
; %bb.3555:                             ;   in Loop: Header=BB6_3175 Depth=4
	v_cmp_eq_u16_e32 vcc, s82, v52
	s_mov_b64 s[44:45], -1
	s_and_saveexec_b64 s[54:55], vcc
; %bb.3556:                             ;   in Loop: Header=BB6_3175 Depth=4
	s_xor_b64 s[44:45], exec, -1
; %bb.3557:                             ;   in Loop: Header=BB6_3175 Depth=4
	s_or_b64 exec, exec, s[54:55]
	s_and_b64 s[44:45], s[44:45], exec
	s_or_saveexec_b64 s[46:47], s[46:47]
	v_bfrev_b32_e32 v3, 1
	s_xor_b64 exec, exec, s[46:47]
	s_cbranch_execnz .LBB6_3860
.LBB6_3558:                             ;   in Loop: Header=BB6_3175 Depth=4
	s_or_b64 exec, exec, s[46:47]
	s_and_saveexec_b64 s[46:47], s[44:45]
.LBB6_3559:                             ;   in Loop: Header=BB6_3175 Depth=4
	v_mov_b32_e32 v3, 0x7f800001
	v_cndmask_b32_e64 v3, v0, v3, s[40:41]
.LBB6_3560:                             ;   in Loop: Header=BB6_3175 Depth=4
	s_or_b64 exec, exec, s[46:47]
	v_max_f32_e32 v3, v3, v3
	v_max_f32_e32 v1, v1, v1
	;; [unrolled: 1-line block ×3, first 2 shown]
	s_mov_b64 s[44:45], 0
.LBB6_3561:                             ;   in Loop: Header=BB6_3175 Depth=4
	s_and_b64 vcc, exec, s[44:45]
	s_cbranch_vccz .LBB6_3575
; %bb.3562:                             ;   in Loop: Header=BB6_3175 Depth=4
	v_mov_b32_e32 v1, 0
	s_and_saveexec_b64 s[44:45], s[42:43]
	s_cbranch_execz .LBB6_3568
; %bb.3563:                             ;   in Loop: Header=BB6_3175 Depth=4
	v_cmp_ne_u16_e32 vcc, s82, v2
	v_bfrev_b32_e32 v1, 1
	s_and_saveexec_b64 s[42:43], vcc
	s_cbranch_execz .LBB6_3567
; %bb.3564:                             ;   in Loop: Header=BB6_3175 Depth=4
	v_and_b32_e32 v3, 0x7f, v2
	v_cmp_ne_u32_e32 vcc, s83, v3
	v_mov_b32_e32 v1, 0x7f800001
	s_and_saveexec_b64 s[46:47], vcc
	s_cbranch_execz .LBB6_3566
; %bb.3565:                             ;   in Loop: Header=BB6_3175 Depth=4
	v_and_b32_e32 v5, 7, v2
	v_ffbh_u32_e32 v1, v5
	v_lshrrev_b32_e32 v6, 3, v3
	v_cmp_gt_u32_e32 vcc, 8, v3
	v_min_u32_e32 v3, 32, v1
	v_subrev_u32_e32 v1, 28, v3
	v_lshlrev_b64 v[1:2], v1, v[2:3]
	v_sub_u32_e32 v2, 29, v3
	v_and_b32_e32 v1, 7, v1
	v_cndmask_b32_e32 v2, v6, v2, vcc
	v_cndmask_b32_e32 v1, v5, v1, vcc
	v_lshlrev_b32_e32 v3, 16, v10
	v_bfrev_b32_e32 v5, 60
	v_lshlrev_b32_e32 v1, 20, v1
	v_and_b32_e32 v3, 0x80000000, v3
	v_lshl_add_u32 v2, v2, 23, v5
	v_or3_b32 v1, v3, v2, v1
.LBB6_3566:                             ;   in Loop: Header=BB6_3175 Depth=4
	s_or_b64 exec, exec, s[46:47]
.LBB6_3567:                             ;   in Loop: Header=BB6_3175 Depth=4
	s_or_b64 exec, exec, s[42:43]
.LBB6_3568:                             ;   in Loop: Header=BB6_3175 Depth=4
	s_or_b64 exec, exec, s[44:45]
	v_cmp_lt_i16_e32 vcc, s83, v52
	s_mov_b64 s[42:43], 0
	s_and_saveexec_b64 s[44:45], vcc
	s_xor_b64 s[44:45], exec, s[44:45]
	s_cbranch_execz .LBB6_3861
; %bb.3569:                             ;   in Loop: Header=BB6_3175 Depth=4
	v_cmp_eq_u16_e32 vcc, s82, v52
	s_mov_b64 s[42:43], -1
	s_and_saveexec_b64 s[46:47], vcc
; %bb.3570:                             ;   in Loop: Header=BB6_3175 Depth=4
	s_xor_b64 s[42:43], exec, -1
; %bb.3571:                             ;   in Loop: Header=BB6_3175 Depth=4
	s_or_b64 exec, exec, s[46:47]
	s_and_b64 s[42:43], s[42:43], exec
	s_or_saveexec_b64 s[44:45], s[44:45]
	v_bfrev_b32_e32 v2, 1
	s_xor_b64 exec, exec, s[44:45]
	s_cbranch_execnz .LBB6_3862
.LBB6_3572:                             ;   in Loop: Header=BB6_3175 Depth=4
	s_or_b64 exec, exec, s[44:45]
	s_and_saveexec_b64 s[44:45], s[42:43]
.LBB6_3573:                             ;   in Loop: Header=BB6_3175 Depth=4
	v_mov_b32_e32 v2, 0x7f800001
	v_cndmask_b32_e64 v2, v0, v2, s[40:41]
.LBB6_3574:                             ;   in Loop: Header=BB6_3175 Depth=4
	s_or_b64 exec, exec, s[44:45]
	v_max_f32_e32 v0, v2, v2
	v_max_f32_e32 v1, v1, v1
	v_min_f32_e32 v1, v1, v0
.LBB6_3575:                             ;   in Loop: Header=BB6_3175 Depth=4
	v_and_b32_e32 v52, 0x7f800000, v1
	v_cmp_ne_u64_e32 vcc, s[76:77], v[52:53]
                                        ; implicit-def: $vgpr12
	s_and_saveexec_b64 s[40:41], vcc
	s_xor_b64 s[42:43], exec, s[40:41]
	s_cbranch_execz .LBB6_3589
; %bb.3576:                             ;   in Loop: Header=BB6_3175 Depth=4
	v_and_b32_e32 v52, 0x7fffffff, v1
	v_cmp_gt_u64_e32 vcc, s[78:79], v[52:53]
	v_and_b32_sdwa v3, v1, s82 dst_sel:DWORD dst_unused:UNUSED_PAD src0_sel:BYTE_3 src1_sel:DWORD
                                        ; implicit-def: $vgpr12
	s_and_saveexec_b64 s[40:41], vcc
	s_xor_b64 s[44:45], exec, s[40:41]
	s_cbranch_execz .LBB6_3586
; %bb.3577:                             ;   in Loop: Header=BB6_3175 Depth=4
	v_mov_b32_e32 v12, 0
	v_cmp_ne_u32_e32 vcc, 0, v1
	s_and_saveexec_b64 s[46:47], vcc
	s_cbranch_execz .LBB6_3585
; %bb.3578:                             ;   in Loop: Header=BB6_3175 Depth=4
	v_bfe_u32 v5, v1, 23, 8
	v_and_b32_e32 v0, 0x7fffff, v1
	v_cmp_gt_u32_e64 s[40:41], s85, v5
	v_sub_u32_e32 v1, 0x79, v5
	v_cmp_eq_u32_e32 vcc, 0, v5
	v_cndmask_b32_e64 v1, 0, v1, s[40:41]
	v_mov_b32_e32 v6, 0x78
	v_or_b32_e32 v2, 0x800000, v0
	v_cndmask_b32_e32 v6, v1, v6, vcc
	v_cndmask_b32_e32 v52, v2, v0, vcc
	v_add_u32_e32 v0, 20, v6
	v_lshlrev_b64 v[0:1], v0, -1
	v_add_u32_e32 v2, 19, v6
	v_lshlrev_b64 v[12:13], v2, 1
	v_bfi_b32 v1, v1, 0, 0
	v_bfi_b32 v0, v0, 0, v52
	v_cmp_eq_u64_e64 s[40:41], v[0:1], v[12:13]
	v_lshrrev_b64 v[0:1], v6, v[52:53]
	v_mov_b32_e32 v2, v1
	v_mov_b32_e32 v1, v0
	s_and_saveexec_b64 s[54:55], s[40:41]
; %bb.3579:                             ;   in Loop: Header=BB6_3175 Depth=4
	v_bfe_u32 v1, v0, 20, 1
	v_add_co_u32_e64 v1, s[40:41], v0, v1
	v_add_co_u32_e64 v1, s[40:41], -1, v1
; %bb.3580:                             ;   in Loop: Header=BB6_3175 Depth=4
	s_or_b64 exec, exec, s[54:55]
	v_add_u32_e32 v2, 0xffffff81, v5
	v_mov_b32_e32 v5, 0xffffff82
	v_cndmask_b32_e32 v2, v2, v5, vcc
	v_lshrrev_b32_e32 v5, 23, v0
	v_add3_u32 v6, v6, v2, v5
	v_add_u32_e32 v5, 6, v6
	v_and_b32_e32 v1, 0xfffff, v1
	v_add_u32_e32 v52, v1, v0
	v_cmp_ne_u32_e32 vcc, 0, v5
                                        ; implicit-def: $vgpr0_vgpr1
                                        ; implicit-def: $vgpr2
	s_and_saveexec_b64 s[40:41], vcc
	s_xor_b64 s[40:41], exec, s[40:41]
; %bb.3581:                             ;   in Loop: Header=BB6_3175 Depth=4
	v_cmp_lt_u64_e32 vcc, s[88:89], v[52:53]
	v_add_u32_e32 v0, 7, v6
	v_cndmask_b32_e32 v2, v5, v0, vcc
	v_cndmask_b32_e64 v0, 0, 1, vcc
	v_lshrrev_b64 v[0:1], v0, v[52:53]
; %bb.3582:                             ;   in Loop: Header=BB6_3175 Depth=4
	s_andn2_saveexec_b64 s[40:41], s[40:41]
; %bb.3583:                             ;   in Loop: Header=BB6_3175 Depth=4
	v_mov_b32_e32 v0, v52
	v_bfe_u32 v2, v52, 23, 1
	v_mov_b32_e32 v1, v53
; %bb.3584:                             ;   in Loop: Header=BB6_3175 Depth=4
	s_or_b64 exec, exec, s[40:41]
	v_lshrrev_b64 v[0:1], 20, v[0:1]
	v_cmp_gt_i32_e32 vcc, 16, v2
	v_cndmask_b32_e32 v1, 0, v1, vcc
	v_cndmask_b32_e32 v0, 7, v0, vcc
	v_cmp_eq_u64_e64 s[40:41], 0, v[0:1]
	v_min_i32_e32 v1, 15, v2
	v_lshlrev_b32_e32 v1, 3, v1
	v_cmp_eq_u32_e32 vcc, 0, v2
	v_and_b32_e32 v1, 0xf8, v1
	v_and_or_b32 v0, v0, 7, v1
	s_and_b64 s[40:41], vcc, s[40:41]
	v_cndmask_b32_e64 v0, v0, 0, s[40:41]
	v_or_b32_e32 v12, v0, v3
.LBB6_3585:                             ;   in Loop: Header=BB6_3175 Depth=4
	s_or_b64 exec, exec, s[46:47]
                                        ; implicit-def: $vgpr3
.LBB6_3586:                             ;   in Loop: Header=BB6_3175 Depth=4
	s_andn2_saveexec_b64 s[40:41], s[44:45]
; %bb.3587:                             ;   in Loop: Header=BB6_3175 Depth=4
	v_or_b32_e32 v12, 0x7e, v3
; %bb.3588:                             ;   in Loop: Header=BB6_3175 Depth=4
	s_or_b64 exec, exec, s[40:41]
                                        ; implicit-def: $vgpr1
.LBB6_3589:                             ;   in Loop: Header=BB6_3175 Depth=4
	s_andn2_saveexec_b64 s[40:41], s[42:43]
; %bb.3590:                             ;   in Loop: Header=BB6_3175 Depth=4
	v_or_b32_sdwa v12, v1, s83 dst_sel:DWORD dst_unused:UNUSED_PAD src0_sel:BYTE_3 src1_sel:DWORD
; %bb.3591:                             ;   in Loop: Header=BB6_3175 Depth=4
	s_or_b64 exec, exec, s[40:41]
	v_bfe_u32 v3, v14, 16, 3
	v_bfe_u32 v1, v14, 16, 7
	v_cmp_eq_u32_e64 s[40:41], s83, v1
	v_cmp_gt_u32_e32 vcc, 8, v1
	v_ffbh_u32_e32 v1, v3
	v_min_u32_e32 v6, 32, v1
	v_lshrrev_b32_e32 v0, 16, v14
	v_subrev_u32_e32 v1, 28, v6
	v_lshlrev_b64 v[1:2], v1, v[0:1]
	v_bfe_u32 v5, v0, 3, 4
	v_sub_u32_e32 v2, 29, v6
	v_and_b32_e32 v1, 7, v1
	v_cndmask_b32_e32 v2, v5, v2, vcc
	v_cndmask_b32_e32 v1, v3, v1, vcc
	v_lshlrev_b32_e32 v3, 8, v14
	v_bfrev_b32_e32 v5, 60
	v_lshlrev_b32_e32 v1, 20, v1
	v_and_b32_e32 v3, 0x80000000, v3
	v_lshl_add_u32 v2, v2, 23, v5
	v_or3_b32 v1, v3, v2, v1
	v_lshrrev_b32_e32 v2, 16, v10
	v_cmp_ne_u16_sdwa s[42:43], v2, v53 src0_sel:BYTE_0 src1_sel:DWORD
	s_mov_b64 s[44:45], -1
	s_and_b64 vcc, exec, s[52:53]
                                        ; implicit-def: $vgpr5
	s_cbranch_vccz .LBB6_3605
; %bb.3592:                             ;   in Loop: Header=BB6_3175 Depth=4
	v_mov_b32_e32 v3, 0
	s_and_saveexec_b64 s[44:45], s[42:43]
	s_cbranch_execz .LBB6_3598
; %bb.3593:                             ;   in Loop: Header=BB6_3175 Depth=4
	v_cmp_ne_u16_sdwa vcc, v2, s82 src0_sel:BYTE_0 src1_sel:DWORD
	v_bfrev_b32_e32 v3, 1
	s_and_saveexec_b64 s[46:47], vcc
	s_cbranch_execz .LBB6_3597
; %bb.3594:                             ;   in Loop: Header=BB6_3175 Depth=4
	v_bfe_u32 v5, v10, 16, 7
	v_cmp_ne_u32_e32 vcc, s83, v5
	v_mov_b32_e32 v3, 0x7f800001
	s_and_saveexec_b64 s[54:55], vcc
	s_cbranch_execz .LBB6_3596
; %bb.3595:                             ;   in Loop: Header=BB6_3175 Depth=4
	v_and_b32_e32 v3, 7, v2
	v_lshrrev_b32_e32 v13, 3, v5
	v_cmp_gt_u32_e32 vcc, 8, v5
	v_ffbh_u32_e32 v5, v3
	v_min_u32_e32 v33, 32, v5
	v_subrev_u32_e32 v5, 28, v33
	v_lshlrev_b64 v[5:6], v5, v[2:3]
	v_sub_u32_e32 v6, 29, v33
	v_and_b32_e32 v5, 7, v5
	v_cndmask_b32_e32 v6, v13, v6, vcc
	v_cndmask_b32_e32 v3, v3, v5, vcc
	v_lshlrev_b32_e32 v5, 24, v2
	v_bfrev_b32_e32 v13, 60
	v_lshlrev_b32_e32 v3, 20, v3
	v_and_b32_e32 v5, 0x80000000, v5
	v_lshl_add_u32 v6, v6, 23, v13
	v_or3_b32 v3, v5, v6, v3
.LBB6_3596:                             ;   in Loop: Header=BB6_3175 Depth=4
	s_or_b64 exec, exec, s[54:55]
.LBB6_3597:                             ;   in Loop: Header=BB6_3175 Depth=4
	s_or_b64 exec, exec, s[46:47]
.LBB6_3598:                             ;   in Loop: Header=BB6_3175 Depth=4
	s_or_b64 exec, exec, s[44:45]
	v_cmp_gt_i16_sdwa s[46:47], v0, s83 src0_sel:BYTE_0 src1_sel:DWORD
	s_mov_b64 s[44:45], 0
	s_and_saveexec_b64 vcc, s[46:47]
	s_xor_b64 s[46:47], exec, vcc
	s_cbranch_execz .LBB6_3863
; %bb.3599:                             ;   in Loop: Header=BB6_3175 Depth=4
	v_cmp_eq_u16_sdwa s[54:55], v0, s82 src0_sel:BYTE_0 src1_sel:DWORD
	s_mov_b64 s[44:45], -1
	s_and_saveexec_b64 vcc, s[54:55]
; %bb.3600:                             ;   in Loop: Header=BB6_3175 Depth=4
	s_xor_b64 s[44:45], exec, -1
; %bb.3601:                             ;   in Loop: Header=BB6_3175 Depth=4
	s_or_b64 exec, exec, vcc
	s_and_b64 s[44:45], s[44:45], exec
	s_or_saveexec_b64 s[46:47], s[46:47]
	v_bfrev_b32_e32 v5, 1
	s_xor_b64 exec, exec, s[46:47]
	s_cbranch_execnz .LBB6_3864
.LBB6_3602:                             ;   in Loop: Header=BB6_3175 Depth=4
	s_or_b64 exec, exec, s[46:47]
	s_and_saveexec_b64 s[46:47], s[44:45]
.LBB6_3603:                             ;   in Loop: Header=BB6_3175 Depth=4
	v_mov_b32_e32 v5, 0x7f800001
	v_cndmask_b32_e64 v5, v1, v5, s[40:41]
.LBB6_3604:                             ;   in Loop: Header=BB6_3175 Depth=4
	s_or_b64 exec, exec, s[46:47]
	v_max_f32_e32 v5, v5, v5
	v_max_f32_e32 v3, v3, v3
	v_max_f32_e32 v5, v3, v5
	s_mov_b64 s[44:45], 0
.LBB6_3605:                             ;   in Loop: Header=BB6_3175 Depth=4
	s_and_b64 vcc, exec, s[44:45]
	s_cbranch_vccz .LBB6_3619
; %bb.3606:                             ;   in Loop: Header=BB6_3175 Depth=4
	v_mov_b32_e32 v3, 0
	s_and_saveexec_b64 s[44:45], s[42:43]
	s_cbranch_execz .LBB6_3612
; %bb.3607:                             ;   in Loop: Header=BB6_3175 Depth=4
	v_cmp_ne_u16_sdwa s[46:47], v2, s82 src0_sel:BYTE_0 src1_sel:DWORD
	v_bfrev_b32_e32 v3, 1
	s_and_saveexec_b64 s[42:43], s[46:47]
	s_cbranch_execz .LBB6_3611
; %bb.3608:                             ;   in Loop: Header=BB6_3175 Depth=4
	v_bfe_u32 v5, v10, 16, 7
	v_cmp_ne_u32_e32 vcc, s83, v5
	v_mov_b32_e32 v3, 0x7f800001
	s_and_saveexec_b64 s[46:47], vcc
	s_cbranch_execz .LBB6_3610
; %bb.3609:                             ;   in Loop: Header=BB6_3175 Depth=4
	v_and_b32_e32 v3, 7, v2
	v_lshrrev_b32_e32 v13, 3, v5
	v_cmp_gt_u32_e32 vcc, 8, v5
	v_ffbh_u32_e32 v5, v3
	v_min_u32_e32 v33, 32, v5
	v_subrev_u32_e32 v5, 28, v33
	v_lshlrev_b64 v[5:6], v5, v[2:3]
	v_sub_u32_e32 v6, 29, v33
	v_and_b32_e32 v5, 7, v5
	v_cndmask_b32_e32 v6, v13, v6, vcc
	v_cndmask_b32_e32 v3, v3, v5, vcc
	v_lshlrev_b32_e32 v2, 24, v2
	v_bfrev_b32_e32 v5, 60
	v_lshlrev_b32_e32 v3, 20, v3
	v_and_b32_e32 v2, 0x80000000, v2
	v_lshl_add_u32 v5, v6, 23, v5
	v_or3_b32 v3, v2, v5, v3
.LBB6_3610:                             ;   in Loop: Header=BB6_3175 Depth=4
	s_or_b64 exec, exec, s[46:47]
.LBB6_3611:                             ;   in Loop: Header=BB6_3175 Depth=4
	s_or_b64 exec, exec, s[42:43]
.LBB6_3612:                             ;   in Loop: Header=BB6_3175 Depth=4
	s_or_b64 exec, exec, s[44:45]
	v_cmp_gt_i16_sdwa s[44:45], v0, s83 src0_sel:BYTE_0 src1_sel:DWORD
	s_mov_b64 s[42:43], 0
	s_and_saveexec_b64 s[46:47], s[44:45]
	s_xor_b64 s[44:45], exec, s[46:47]
	s_cbranch_execz .LBB6_3865
; %bb.3613:                             ;   in Loop: Header=BB6_3175 Depth=4
	v_cmp_eq_u16_sdwa vcc, v0, s82 src0_sel:BYTE_0 src1_sel:DWORD
	s_mov_b64 s[42:43], -1
	s_and_saveexec_b64 s[46:47], vcc
; %bb.3614:                             ;   in Loop: Header=BB6_3175 Depth=4
	s_xor_b64 s[42:43], exec, -1
; %bb.3615:                             ;   in Loop: Header=BB6_3175 Depth=4
	s_or_b64 exec, exec, s[46:47]
	s_and_b64 s[42:43], s[42:43], exec
                                        ; implicit-def: $vgpr0
	s_or_saveexec_b64 s[44:45], s[44:45]
	v_bfrev_b32_e32 v2, 1
	s_xor_b64 exec, exec, s[44:45]
	s_cbranch_execnz .LBB6_3866
.LBB6_3616:                             ;   in Loop: Header=BB6_3175 Depth=4
	s_or_b64 exec, exec, s[44:45]
	s_and_saveexec_b64 s[44:45], s[42:43]
.LBB6_3617:                             ;   in Loop: Header=BB6_3175 Depth=4
	v_mov_b32_e32 v0, 0x7f800001
	v_cndmask_b32_e64 v2, v1, v0, s[40:41]
.LBB6_3618:                             ;   in Loop: Header=BB6_3175 Depth=4
	s_or_b64 exec, exec, s[44:45]
	v_max_f32_e32 v0, v2, v2
	v_max_f32_e32 v1, v3, v3
	v_min_f32_e32 v5, v1, v0
.LBB6_3619:                             ;   in Loop: Header=BB6_3175 Depth=4
	v_and_b32_e32 v52, 0x7f800000, v5
	v_cmp_ne_u64_e32 vcc, s[76:77], v[52:53]
                                        ; implicit-def: $vgpr13
	s_and_saveexec_b64 s[40:41], vcc
	s_xor_b64 s[42:43], exec, s[40:41]
	s_cbranch_execz .LBB6_3633
; %bb.3620:                             ;   in Loop: Header=BB6_3175 Depth=4
	v_and_b32_e32 v52, 0x7fffffff, v5
	v_cmp_gt_u64_e32 vcc, s[78:79], v[52:53]
	v_and_b32_sdwa v3, v5, s82 dst_sel:DWORD dst_unused:UNUSED_PAD src0_sel:BYTE_3 src1_sel:DWORD
                                        ; implicit-def: $vgpr13
	s_and_saveexec_b64 s[40:41], vcc
	s_xor_b64 s[44:45], exec, s[40:41]
	s_cbranch_execz .LBB6_3630
; %bb.3621:                             ;   in Loop: Header=BB6_3175 Depth=4
	v_mov_b32_e32 v13, 0
	v_cmp_ne_u32_e32 vcc, 0, v5
	s_and_saveexec_b64 s[46:47], vcc
	s_cbranch_execz .LBB6_3629
; %bb.3622:                             ;   in Loop: Header=BB6_3175 Depth=4
	v_and_b32_e32 v0, 0x7fffff, v5
	v_bfe_u32 v5, v5, 23, 8
	v_cmp_gt_u32_e64 s[40:41], s85, v5
	v_sub_u32_e32 v1, 0x79, v5
	v_cmp_eq_u32_e32 vcc, 0, v5
	v_cndmask_b32_e64 v1, 0, v1, s[40:41]
	v_mov_b32_e32 v6, 0x78
	v_or_b32_e32 v2, 0x800000, v0
	v_cndmask_b32_e32 v6, v1, v6, vcc
	v_cndmask_b32_e32 v52, v2, v0, vcc
	v_add_u32_e32 v0, 20, v6
	v_lshlrev_b64 v[0:1], v0, -1
	v_add_u32_e32 v2, 19, v6
	v_lshlrev_b64 v[33:34], v2, 1
	v_bfi_b32 v1, v1, 0, 0
	v_bfi_b32 v0, v0, 0, v52
	v_cmp_eq_u64_e64 s[40:41], v[0:1], v[33:34]
	v_lshrrev_b64 v[0:1], v6, v[52:53]
	v_mov_b32_e32 v2, v1
	v_mov_b32_e32 v1, v0
	s_and_saveexec_b64 s[54:55], s[40:41]
; %bb.3623:                             ;   in Loop: Header=BB6_3175 Depth=4
	v_bfe_u32 v1, v0, 20, 1
	v_add_co_u32_e64 v1, s[40:41], v0, v1
	v_add_co_u32_e64 v1, s[40:41], -1, v1
; %bb.3624:                             ;   in Loop: Header=BB6_3175 Depth=4
	s_or_b64 exec, exec, s[54:55]
	v_add_u32_e32 v2, 0xffffff81, v5
	v_mov_b32_e32 v5, 0xffffff82
	v_cndmask_b32_e32 v2, v2, v5, vcc
	v_lshrrev_b32_e32 v5, 23, v0
	v_add3_u32 v6, v6, v2, v5
	v_add_u32_e32 v5, 6, v6
	v_and_b32_e32 v1, 0xfffff, v1
	v_add_u32_e32 v52, v1, v0
	v_cmp_ne_u32_e32 vcc, 0, v5
                                        ; implicit-def: $vgpr0_vgpr1
                                        ; implicit-def: $vgpr2
	s_and_saveexec_b64 s[40:41], vcc
	s_xor_b64 s[40:41], exec, s[40:41]
; %bb.3625:                             ;   in Loop: Header=BB6_3175 Depth=4
	v_cmp_lt_u64_e32 vcc, s[88:89], v[52:53]
	v_add_u32_e32 v0, 7, v6
	v_cndmask_b32_e32 v2, v5, v0, vcc
	v_cndmask_b32_e64 v0, 0, 1, vcc
	v_lshrrev_b64 v[0:1], v0, v[52:53]
; %bb.3626:                             ;   in Loop: Header=BB6_3175 Depth=4
	s_andn2_saveexec_b64 s[40:41], s[40:41]
; %bb.3627:                             ;   in Loop: Header=BB6_3175 Depth=4
	v_mov_b32_e32 v0, v52
	v_bfe_u32 v2, v52, 23, 1
	v_mov_b32_e32 v1, v53
; %bb.3628:                             ;   in Loop: Header=BB6_3175 Depth=4
	s_or_b64 exec, exec, s[40:41]
	v_lshrrev_b64 v[0:1], 20, v[0:1]
	v_cmp_gt_i32_e32 vcc, 16, v2
	v_cndmask_b32_e32 v1, 0, v1, vcc
	v_cndmask_b32_e32 v0, 7, v0, vcc
	v_cmp_eq_u64_e64 s[40:41], 0, v[0:1]
	v_min_i32_e32 v1, 15, v2
	v_lshlrev_b32_e32 v1, 3, v1
	v_cmp_eq_u32_e32 vcc, 0, v2
	v_and_b32_e32 v1, 0xf8, v1
	v_and_or_b32 v0, v0, 7, v1
	s_and_b64 s[40:41], vcc, s[40:41]
	v_cndmask_b32_e64 v0, v0, 0, s[40:41]
	v_or_b32_e32 v13, v0, v3
.LBB6_3629:                             ;   in Loop: Header=BB6_3175 Depth=4
	s_or_b64 exec, exec, s[46:47]
                                        ; implicit-def: $vgpr3
.LBB6_3630:                             ;   in Loop: Header=BB6_3175 Depth=4
	s_andn2_saveexec_b64 s[40:41], s[44:45]
; %bb.3631:                             ;   in Loop: Header=BB6_3175 Depth=4
	v_or_b32_e32 v13, 0x7e, v3
; %bb.3632:                             ;   in Loop: Header=BB6_3175 Depth=4
	s_or_b64 exec, exec, s[40:41]
                                        ; implicit-def: $vgpr5
.LBB6_3633:                             ;   in Loop: Header=BB6_3175 Depth=4
	s_andn2_saveexec_b64 s[40:41], s[42:43]
; %bb.3634:                             ;   in Loop: Header=BB6_3175 Depth=4
	v_or_b32_sdwa v13, v5, s83 dst_sel:DWORD dst_unused:UNUSED_PAD src0_sel:BYTE_3 src1_sel:DWORD
; %bb.3635:                             ;   in Loop: Header=BB6_3175 Depth=4
	s_or_b64 exec, exec, s[40:41]
	v_bfe_u32 v3, v14, 24, 3
	v_bfe_u32 v2, v14, 24, 7
	v_cmp_eq_u32_e64 s[44:45], s83, v2
	v_cmp_gt_u32_e32 vcc, 8, v2
	v_ffbh_u32_e32 v2, v3
	v_min_u32_e32 v6, 32, v2
	v_lshrrev_b32_e32 v1, 24, v14
	v_subrev_u32_e32 v2, 28, v6
	v_bfe_u32 v5, v1, 3, 4
	v_cmp_eq_u32_e64 s[42:43], s82, v1
	v_lshlrev_b64 v[1:2], v2, v[1:2]
	v_sub_u32_e32 v2, 29, v6
	v_and_b32_e32 v1, 7, v1
	v_cndmask_b32_e32 v2, v5, v2, vcc
	v_cndmask_b32_e32 v1, v3, v1, vcc
	v_bfrev_b32_e32 v5, 60
	v_lshlrev_b32_e32 v1, 20, v1
	v_and_b32_e32 v3, 0x80000000, v14
	v_lshl_add_u32 v2, v2, 23, v5
	v_lshrrev_b32_e32 v0, 24, v10
	v_cmp_gt_u32_e64 s[40:41], s61, v14
	v_or3_b32 v1, v3, v2, v1
	v_cmp_lt_u32_e64 s[46:47], s63, v10
	s_mov_b64 s[54:55], -1
	s_and_b64 vcc, exec, s[52:53]
                                        ; implicit-def: $vgpr2
	s_cbranch_vccz .LBB6_3643
; %bb.3636:                             ;   in Loop: Header=BB6_3175 Depth=4
	v_mov_b32_e32 v2, 0
	s_and_saveexec_b64 s[54:55], s[46:47]
	s_cbranch_execz .LBB6_3642
; %bb.3637:                             ;   in Loop: Header=BB6_3175 Depth=4
	v_cmp_ne_u32_e32 vcc, s82, v0
	v_bfrev_b32_e32 v2, 1
	s_and_saveexec_b64 s[64:65], vcc
	s_cbranch_execz .LBB6_3641
; %bb.3638:                             ;   in Loop: Header=BB6_3175 Depth=4
	v_bfe_u32 v3, v10, 24, 7
	v_cmp_ne_u32_e32 vcc, s83, v3
	v_mov_b32_e32 v2, 0x7f800001
	s_and_saveexec_b64 s[66:67], vcc
	s_cbranch_execz .LBB6_3640
; %bb.3639:                             ;   in Loop: Header=BB6_3175 Depth=4
	v_and_b32_e32 v5, 7, v0
	v_ffbh_u32_e32 v2, v5
	v_min_u32_e32 v33, 32, v2
	v_subrev_u32_e32 v2, 28, v33
	v_lshrrev_b32_e32 v6, 3, v3
	v_cmp_gt_u32_e32 vcc, 8, v3
	v_lshlrev_b64 v[2:3], v2, v[0:1]
	v_sub_u32_e32 v3, 29, v33
	v_and_b32_e32 v2, 7, v2
	v_cndmask_b32_e32 v3, v6, v3, vcc
	v_cndmask_b32_e32 v2, v5, v2, vcc
	v_lshlrev_b32_e32 v5, 24, v0
	v_bfrev_b32_e32 v6, 60
	v_lshlrev_b32_e32 v2, 20, v2
	v_and_b32_e32 v5, 0x80000000, v5
	v_lshl_add_u32 v3, v3, 23, v6
	v_or3_b32 v2, v5, v3, v2
.LBB6_3640:                             ;   in Loop: Header=BB6_3175 Depth=4
	s_or_b64 exec, exec, s[66:67]
.LBB6_3641:                             ;   in Loop: Header=BB6_3175 Depth=4
	s_or_b64 exec, exec, s[64:65]
.LBB6_3642:                             ;   in Loop: Header=BB6_3175 Depth=4
	s_or_b64 exec, exec, s[54:55]
	v_mov_b32_e32 v3, 0x7f800001
	v_cndmask_b32_e64 v3, v1, v3, s[44:45]
	v_bfrev_b32_e32 v5, 1
	v_cndmask_b32_e64 v3, v3, v5, s[42:43]
	v_cndmask_b32_e64 v3, v3, 0, s[40:41]
	v_max_f32_e32 v3, v3, v3
	v_max_f32_e32 v2, v2, v2
	;; [unrolled: 1-line block ×3, first 2 shown]
	s_mov_b64 s[54:55], 0
.LBB6_3643:                             ;   in Loop: Header=BB6_3175 Depth=4
	s_and_b64 vcc, exec, s[54:55]
	s_cbranch_vccz .LBB6_3651
; %bb.3644:                             ;   in Loop: Header=BB6_3175 Depth=4
	v_mov_b32_e32 v2, 0
	s_and_saveexec_b64 s[54:55], s[46:47]
	s_cbranch_execz .LBB6_3650
; %bb.3645:                             ;   in Loop: Header=BB6_3175 Depth=4
	v_cmp_ne_u32_e32 vcc, s82, v0
	v_bfrev_b32_e32 v2, 1
	s_and_saveexec_b64 s[46:47], vcc
	s_cbranch_execz .LBB6_3649
; %bb.3646:                             ;   in Loop: Header=BB6_3175 Depth=4
	v_bfe_u32 v3, v10, 24, 7
	v_cmp_ne_u32_e32 vcc, s83, v3
	v_mov_b32_e32 v2, 0x7f800001
	s_and_saveexec_b64 s[64:65], vcc
	s_cbranch_execz .LBB6_3648
; %bb.3647:                             ;   in Loop: Header=BB6_3175 Depth=4
	v_and_b32_e32 v5, 7, v0
	v_ffbh_u32_e32 v2, v5
	v_min_u32_e32 v33, 32, v2
	v_subrev_u32_e32 v2, 28, v33
	v_lshrrev_b32_e32 v6, 3, v3
	v_cmp_gt_u32_e32 vcc, 8, v3
	v_lshlrev_b64 v[2:3], v2, v[0:1]
	v_sub_u32_e32 v3, 29, v33
	v_and_b32_e32 v2, 7, v2
	v_cndmask_b32_e32 v3, v6, v3, vcc
	v_cndmask_b32_e32 v2, v5, v2, vcc
	v_lshlrev_b32_e32 v0, 24, v0
	v_bfrev_b32_e32 v5, 60
	v_lshlrev_b32_e32 v2, 20, v2
	v_and_b32_e32 v0, 0x80000000, v0
	v_lshl_add_u32 v3, v3, 23, v5
	v_or3_b32 v2, v0, v3, v2
.LBB6_3648:                             ;   in Loop: Header=BB6_3175 Depth=4
	s_or_b64 exec, exec, s[64:65]
.LBB6_3649:                             ;   in Loop: Header=BB6_3175 Depth=4
	s_or_b64 exec, exec, s[46:47]
.LBB6_3650:                             ;   in Loop: Header=BB6_3175 Depth=4
	s_or_b64 exec, exec, s[54:55]
	v_mov_b32_e32 v0, 0x7f800001
	v_cndmask_b32_e64 v0, v1, v0, s[44:45]
	v_bfrev_b32_e32 v1, 1
	v_cndmask_b32_e64 v0, v0, v1, s[42:43]
	v_cndmask_b32_e64 v0, v0, 0, s[40:41]
	v_max_f32_e32 v0, v0, v0
	v_max_f32_e32 v1, v2, v2
	v_min_f32_e32 v2, v1, v0
.LBB6_3651:                             ;   in Loop: Header=BB6_3175 Depth=4
	v_and_b32_e32 v52, 0x7f800000, v2
	v_cmp_ne_u64_e32 vcc, s[76:77], v[52:53]
                                        ; implicit-def: $vgpr33
	s_and_saveexec_b64 s[40:41], vcc
	s_xor_b64 s[42:43], exec, s[40:41]
	s_cbranch_execz .LBB6_3665
; %bb.3652:                             ;   in Loop: Header=BB6_3175 Depth=4
	v_and_b32_e32 v52, 0x7fffffff, v2
	v_cmp_gt_u64_e32 vcc, s[78:79], v[52:53]
	v_and_b32_sdwa v3, v2, s82 dst_sel:DWORD dst_unused:UNUSED_PAD src0_sel:BYTE_3 src1_sel:DWORD
                                        ; implicit-def: $vgpr33
	s_and_saveexec_b64 s[40:41], vcc
	s_xor_b64 s[44:45], exec, s[40:41]
	s_cbranch_execz .LBB6_3662
; %bb.3653:                             ;   in Loop: Header=BB6_3175 Depth=4
	v_mov_b32_e32 v33, 0
	v_cmp_ne_u32_e32 vcc, 0, v2
	s_and_saveexec_b64 s[46:47], vcc
	s_cbranch_execz .LBB6_3661
; %bb.3654:                             ;   in Loop: Header=BB6_3175 Depth=4
	v_bfe_u32 v5, v2, 23, 8
	v_cmp_gt_u32_e64 s[40:41], s85, v5
	v_sub_u32_e32 v1, 0x79, v5
	v_and_b32_e32 v0, 0x7fffff, v2
	v_cmp_eq_u32_e32 vcc, 0, v5
	v_cndmask_b32_e64 v1, 0, v1, s[40:41]
	v_mov_b32_e32 v6, 0x78
	v_or_b32_e32 v2, 0x800000, v0
	v_cndmask_b32_e32 v6, v1, v6, vcc
	v_cndmask_b32_e32 v52, v2, v0, vcc
	v_add_u32_e32 v0, 20, v6
	v_lshlrev_b64 v[0:1], v0, -1
	v_add_u32_e32 v2, 19, v6
	v_lshlrev_b64 v[33:34], v2, 1
	v_bfi_b32 v1, v1, 0, 0
	v_bfi_b32 v0, v0, 0, v52
	v_cmp_eq_u64_e64 s[40:41], v[0:1], v[33:34]
	v_lshrrev_b64 v[0:1], v6, v[52:53]
	v_mov_b32_e32 v2, v1
	v_mov_b32_e32 v1, v0
	s_and_saveexec_b64 s[54:55], s[40:41]
; %bb.3655:                             ;   in Loop: Header=BB6_3175 Depth=4
	v_bfe_u32 v1, v0, 20, 1
	v_add_co_u32_e64 v1, s[40:41], v0, v1
	v_add_co_u32_e64 v1, s[40:41], -1, v1
; %bb.3656:                             ;   in Loop: Header=BB6_3175 Depth=4
	s_or_b64 exec, exec, s[54:55]
	v_add_u32_e32 v2, 0xffffff81, v5
	v_mov_b32_e32 v5, 0xffffff82
	v_cndmask_b32_e32 v2, v2, v5, vcc
	v_lshrrev_b32_e32 v5, 23, v0
	v_add3_u32 v6, v6, v2, v5
	v_add_u32_e32 v5, 6, v6
	v_and_b32_e32 v1, 0xfffff, v1
	v_add_u32_e32 v52, v1, v0
	v_cmp_ne_u32_e32 vcc, 0, v5
                                        ; implicit-def: $vgpr0_vgpr1
                                        ; implicit-def: $vgpr2
	s_and_saveexec_b64 s[40:41], vcc
	s_xor_b64 s[40:41], exec, s[40:41]
; %bb.3657:                             ;   in Loop: Header=BB6_3175 Depth=4
	v_cmp_lt_u64_e32 vcc, s[88:89], v[52:53]
	v_add_u32_e32 v0, 7, v6
	v_cndmask_b32_e32 v2, v5, v0, vcc
	v_cndmask_b32_e64 v0, 0, 1, vcc
	v_lshrrev_b64 v[0:1], v0, v[52:53]
; %bb.3658:                             ;   in Loop: Header=BB6_3175 Depth=4
	s_andn2_saveexec_b64 s[40:41], s[40:41]
; %bb.3659:                             ;   in Loop: Header=BB6_3175 Depth=4
	v_mov_b32_e32 v0, v52
	v_bfe_u32 v2, v52, 23, 1
	v_mov_b32_e32 v1, v53
; %bb.3660:                             ;   in Loop: Header=BB6_3175 Depth=4
	s_or_b64 exec, exec, s[40:41]
	v_lshrrev_b64 v[0:1], 20, v[0:1]
	v_cmp_gt_i32_e32 vcc, 16, v2
	v_cndmask_b32_e32 v1, 0, v1, vcc
	v_cndmask_b32_e32 v0, 7, v0, vcc
	v_cmp_eq_u64_e64 s[40:41], 0, v[0:1]
	v_min_i32_e32 v1, 15, v2
	v_lshlrev_b32_e32 v1, 3, v1
	v_cmp_eq_u32_e32 vcc, 0, v2
	v_and_b32_e32 v1, 0xf8, v1
	v_and_or_b32 v0, v0, 7, v1
	s_and_b64 s[40:41], vcc, s[40:41]
	v_cndmask_b32_e64 v0, v0, 0, s[40:41]
	v_or_b32_e32 v33, v0, v3
.LBB6_3661:                             ;   in Loop: Header=BB6_3175 Depth=4
	s_or_b64 exec, exec, s[46:47]
                                        ; implicit-def: $vgpr3
.LBB6_3662:                             ;   in Loop: Header=BB6_3175 Depth=4
	s_andn2_saveexec_b64 s[40:41], s[44:45]
; %bb.3663:                             ;   in Loop: Header=BB6_3175 Depth=4
	v_or_b32_e32 v33, 0x7e, v3
; %bb.3664:                             ;   in Loop: Header=BB6_3175 Depth=4
	s_or_b64 exec, exec, s[40:41]
                                        ; implicit-def: $vgpr2
.LBB6_3665:                             ;   in Loop: Header=BB6_3175 Depth=4
	s_andn2_saveexec_b64 s[40:41], s[42:43]
; %bb.3666:                             ;   in Loop: Header=BB6_3175 Depth=4
	v_or_b32_sdwa v33, v2, s83 dst_sel:DWORD dst_unused:UNUSED_PAD src0_sel:BYTE_3 src1_sel:DWORD
; %bb.3667:                             ;   in Loop: Header=BB6_3175 Depth=4
	s_or_b64 exec, exec, s[40:41]
	v_and_b32_e32 v0, 7, v15
	v_ffbh_u32_e32 v0, v0
	v_and_b32_e32 v1, 0x7f, v15
	v_min_u32_e32 v0, 32, v0
	v_bfe_u32 v5, v15, 3, 4
	v_cmp_eq_u32_e64 s[40:41], s83, v1
	v_cmp_gt_u32_e32 vcc, 8, v1
	v_subrev_u32_e32 v1, 28, v0
	v_sub_u32_e32 v0, 29, v0
	v_mov_b32_e32 v2, v15
	v_mov_b32_e32 v3, v53
	v_cndmask_b32_e32 v5, v5, v0, vcc
	v_cndmask_b32_e32 v0, 0, v1, vcc
	v_lshlrev_b64 v[0:1], v0, v[2:3]
	v_lshlrev_b32_e32 v1, 24, v15
	v_lshlrev_b32_e32 v0, 20, v0
	v_bfrev_b32_e32 v3, 60
	v_and_b32_e32 v0, 0x700000, v0
	v_and_b32_e32 v1, 0x80000000, v1
	v_lshl_add_u32 v3, v5, 23, v3
	v_mov_b32_e32 v52, v11
	v_or3_b32 v0, v1, v3, v0
	v_cmp_ne_u16_sdwa s[42:43], v11, v53 src0_sel:BYTE_0 src1_sel:DWORD
	s_mov_b64 s[44:45], -1
	s_and_b64 vcc, exec, s[52:53]
                                        ; implicit-def: $vgpr1
	s_cbranch_vccz .LBB6_3681
; %bb.3668:                             ;   in Loop: Header=BB6_3175 Depth=4
	v_mov_b32_e32 v1, 0
	s_and_saveexec_b64 s[44:45], s[42:43]
	s_cbranch_execz .LBB6_3674
; %bb.3669:                             ;   in Loop: Header=BB6_3175 Depth=4
	v_cmp_ne_u16_sdwa vcc, v11, s82 src0_sel:BYTE_0 src1_sel:DWORD
	v_bfrev_b32_e32 v1, 1
	s_and_saveexec_b64 s[46:47], vcc
	s_cbranch_execz .LBB6_3673
; %bb.3670:                             ;   in Loop: Header=BB6_3175 Depth=4
	v_and_b32_e32 v3, 0x7f, v11
	v_cmp_ne_u32_e32 vcc, s83, v3
	v_mov_b32_e32 v1, 0x7f800001
	s_and_saveexec_b64 s[54:55], vcc
	s_cbranch_execz .LBB6_3672
; %bb.3671:                             ;   in Loop: Header=BB6_3175 Depth=4
	v_and_b32_e32 v1, 7, v11
	v_ffbh_u32_e32 v1, v1
	v_min_u32_e32 v1, 32, v1
	v_lshrrev_b32_e32 v5, 3, v3
	v_cmp_gt_u32_e32 vcc, 8, v3
	v_subrev_u32_e32 v3, 28, v1
	v_sub_u32_e32 v1, 29, v1
	v_cndmask_b32_e32 v3, 0, v3, vcc
	v_cndmask_b32_e32 v1, v5, v1, vcc
	v_lshlrev_b64 v[5:6], v3, v[52:53]
	v_bfrev_b32_e32 v6, 60
	v_lshlrev_b32_e32 v3, 20, v5
	v_lshlrev_b32_e32 v5, 24, v52
	v_and_b32_e32 v3, 0x700000, v3
	v_and_b32_e32 v5, 0x80000000, v5
	v_lshl_add_u32 v1, v1, 23, v6
	v_or3_b32 v1, v5, v1, v3
.LBB6_3672:                             ;   in Loop: Header=BB6_3175 Depth=4
	s_or_b64 exec, exec, s[54:55]
.LBB6_3673:                             ;   in Loop: Header=BB6_3175 Depth=4
	s_or_b64 exec, exec, s[46:47]
.LBB6_3674:                             ;   in Loop: Header=BB6_3175 Depth=4
	s_or_b64 exec, exec, s[44:45]
	v_cmp_gt_i16_sdwa s[46:47], v15, s83 src0_sel:BYTE_0 src1_sel:DWORD
	s_mov_b64 s[44:45], 0
	s_and_saveexec_b64 vcc, s[46:47]
	s_xor_b64 s[46:47], exec, vcc
	s_cbranch_execz .LBB6_3867
; %bb.3675:                             ;   in Loop: Header=BB6_3175 Depth=4
	v_cmp_eq_u16_sdwa s[54:55], v15, s82 src0_sel:BYTE_0 src1_sel:DWORD
	s_mov_b64 s[44:45], -1
	s_and_saveexec_b64 vcc, s[54:55]
; %bb.3676:                             ;   in Loop: Header=BB6_3175 Depth=4
	s_xor_b64 s[44:45], exec, -1
; %bb.3677:                             ;   in Loop: Header=BB6_3175 Depth=4
	s_or_b64 exec, exec, vcc
	s_and_b64 s[44:45], s[44:45], exec
	s_or_saveexec_b64 s[46:47], s[46:47]
	v_bfrev_b32_e32 v3, 1
	s_xor_b64 exec, exec, s[46:47]
	s_cbranch_execnz .LBB6_3868
.LBB6_3678:                             ;   in Loop: Header=BB6_3175 Depth=4
	s_or_b64 exec, exec, s[46:47]
	s_and_saveexec_b64 s[46:47], s[44:45]
.LBB6_3679:                             ;   in Loop: Header=BB6_3175 Depth=4
	v_mov_b32_e32 v3, 0x7f800001
	v_cndmask_b32_e64 v3, v0, v3, s[40:41]
.LBB6_3680:                             ;   in Loop: Header=BB6_3175 Depth=4
	s_or_b64 exec, exec, s[46:47]
	v_max_f32_e32 v3, v3, v3
	v_max_f32_e32 v1, v1, v1
	;; [unrolled: 1-line block ×3, first 2 shown]
	s_mov_b64 s[44:45], 0
.LBB6_3681:                             ;   in Loop: Header=BB6_3175 Depth=4
	s_and_b64 vcc, exec, s[44:45]
	s_cbranch_vccz .LBB6_3695
; %bb.3682:                             ;   in Loop: Header=BB6_3175 Depth=4
	v_mov_b32_e32 v1, 0
	s_and_saveexec_b64 s[44:45], s[42:43]
	s_cbranch_execz .LBB6_3688
; %bb.3683:                             ;   in Loop: Header=BB6_3175 Depth=4
	v_cmp_ne_u16_sdwa s[46:47], v11, s82 src0_sel:BYTE_0 src1_sel:DWORD
	v_bfrev_b32_e32 v1, 1
	s_and_saveexec_b64 s[42:43], s[46:47]
	s_cbranch_execz .LBB6_3687
; %bb.3684:                             ;   in Loop: Header=BB6_3175 Depth=4
	v_and_b32_e32 v3, 0x7f, v11
	v_cmp_ne_u32_e32 vcc, s83, v3
	v_mov_b32_e32 v1, 0x7f800001
	s_and_saveexec_b64 s[46:47], vcc
	s_cbranch_execz .LBB6_3686
; %bb.3685:                             ;   in Loop: Header=BB6_3175 Depth=4
	v_and_b32_e32 v1, 7, v11
	v_ffbh_u32_e32 v1, v1
	v_min_u32_e32 v1, 32, v1
	v_lshrrev_b32_e32 v5, 3, v3
	v_cmp_gt_u32_e32 vcc, 8, v3
	v_subrev_u32_e32 v3, 28, v1
	v_sub_u32_e32 v1, 29, v1
	v_cndmask_b32_e32 v3, 0, v3, vcc
	v_cndmask_b32_e32 v1, v5, v1, vcc
	v_lshlrev_b64 v[5:6], v3, v[52:53]
	v_bfrev_b32_e32 v6, 60
	v_lshlrev_b32_e32 v3, 20, v5
	v_lshlrev_b32_e32 v5, 24, v52
	v_and_b32_e32 v3, 0x700000, v3
	v_and_b32_e32 v5, 0x80000000, v5
	v_lshl_add_u32 v1, v1, 23, v6
	v_or3_b32 v1, v5, v1, v3
.LBB6_3686:                             ;   in Loop: Header=BB6_3175 Depth=4
	s_or_b64 exec, exec, s[46:47]
.LBB6_3687:                             ;   in Loop: Header=BB6_3175 Depth=4
	s_or_b64 exec, exec, s[42:43]
.LBB6_3688:                             ;   in Loop: Header=BB6_3175 Depth=4
	s_or_b64 exec, exec, s[44:45]
	v_cmp_gt_i16_sdwa s[44:45], v15, s83 src0_sel:BYTE_0 src1_sel:DWORD
	s_mov_b64 s[42:43], 0
	s_and_saveexec_b64 s[46:47], s[44:45]
	s_xor_b64 s[44:45], exec, s[46:47]
	s_cbranch_execz .LBB6_3869
; %bb.3689:                             ;   in Loop: Header=BB6_3175 Depth=4
	v_cmp_eq_u16_sdwa vcc, v15, s82 src0_sel:BYTE_0 src1_sel:DWORD
	s_mov_b64 s[42:43], -1
	s_and_saveexec_b64 s[46:47], vcc
; %bb.3690:                             ;   in Loop: Header=BB6_3175 Depth=4
	s_xor_b64 s[42:43], exec, -1
; %bb.3691:                             ;   in Loop: Header=BB6_3175 Depth=4
	s_or_b64 exec, exec, s[46:47]
	s_and_b64 s[42:43], s[42:43], exec
	s_or_saveexec_b64 s[44:45], s[44:45]
	v_bfrev_b32_e32 v3, 1
	s_xor_b64 exec, exec, s[44:45]
	s_cbranch_execnz .LBB6_3870
.LBB6_3692:                             ;   in Loop: Header=BB6_3175 Depth=4
	s_or_b64 exec, exec, s[44:45]
	s_and_saveexec_b64 s[44:45], s[42:43]
.LBB6_3693:                             ;   in Loop: Header=BB6_3175 Depth=4
	v_mov_b32_e32 v3, 0x7f800001
	v_cndmask_b32_e64 v3, v0, v3, s[40:41]
.LBB6_3694:                             ;   in Loop: Header=BB6_3175 Depth=4
	s_or_b64 exec, exec, s[44:45]
	v_max_f32_e32 v0, v3, v3
	v_max_f32_e32 v1, v1, v1
	v_min_f32_e32 v1, v1, v0
.LBB6_3695:                             ;   in Loop: Header=BB6_3175 Depth=4
	v_and_b32_e32 v5, 0x7f800000, v1
	v_mov_b32_e32 v6, v53
	v_cmp_ne_u64_e32 vcc, s[76:77], v[5:6]
                                        ; implicit-def: $vgpr6
	s_and_saveexec_b64 s[40:41], vcc
	s_xor_b64 s[42:43], exec, s[40:41]
	s_cbranch_execz .LBB6_3709
; %bb.3696:                             ;   in Loop: Header=BB6_3175 Depth=4
	v_and_b32_e32 v5, 0x7fffffff, v1
	v_mov_b32_e32 v6, v53
	v_cmp_gt_u64_e32 vcc, s[78:79], v[5:6]
	v_and_b32_sdwa v3, v1, s82 dst_sel:DWORD dst_unused:UNUSED_PAD src0_sel:BYTE_3 src1_sel:DWORD
                                        ; implicit-def: $vgpr6
	s_and_saveexec_b64 s[40:41], vcc
	s_xor_b64 s[44:45], exec, s[40:41]
	s_cbranch_execz .LBB6_3706
; %bb.3697:                             ;   in Loop: Header=BB6_3175 Depth=4
	v_mov_b32_e32 v6, 0
	v_cmp_ne_u32_e32 vcc, 0, v1
	s_and_saveexec_b64 s[46:47], vcc
	s_cbranch_execz .LBB6_3705
; %bb.3698:                             ;   in Loop: Header=BB6_3175 Depth=4
	v_bfe_u32 v34, v1, 23, 8
	v_and_b32_e32 v0, 0x7fffff, v1
	v_cmp_gt_u32_e64 s[40:41], s85, v34
	v_sub_u32_e32 v1, 0x79, v34
	v_cmp_eq_u32_e32 vcc, 0, v34
	v_cndmask_b32_e64 v1, 0, v1, s[40:41]
	v_mov_b32_e32 v6, 0x78
	v_or_b32_e32 v5, 0x800000, v0
	v_cndmask_b32_e32 v35, v1, v6, vcc
	v_cndmask_b32_e32 v0, v5, v0, vcc
	v_add_u32_e32 v5, 20, v35
	v_lshlrev_b64 v[5:6], v5, -1
	v_mov_b32_e32 v1, v53
	v_add_u32_e32 v36, 19, v35
	v_bfi_b32 v5, v5, 0, v0
	v_lshlrev_b64 v[36:37], v36, 1
	v_lshrrev_b64 v[0:1], v35, v[0:1]
	v_bfi_b32 v6, v6, 0, 0
	v_cmp_eq_u64_e64 s[40:41], v[5:6], v[36:37]
	v_mov_b32_e32 v6, v1
	v_mov_b32_e32 v5, v0
	s_and_saveexec_b64 s[54:55], s[40:41]
; %bb.3699:                             ;   in Loop: Header=BB6_3175 Depth=4
	v_bfe_u32 v1, v0, 20, 1
	v_add_co_u32_e64 v1, s[40:41], v0, v1
	v_add_co_u32_e64 v5, s[40:41], -1, v1
; %bb.3700:                             ;   in Loop: Header=BB6_3175 Depth=4
	s_or_b64 exec, exec, s[54:55]
	v_add_u32_e32 v1, 0xffffff81, v34
	v_mov_b32_e32 v6, 0xffffff82
	v_cndmask_b32_e32 v1, v1, v6, vcc
	v_lshrrev_b32_e32 v6, 23, v0
	v_add3_u32 v34, v35, v1, v6
	v_add_u32_e32 v6, 6, v34
	v_and_b32_e32 v1, 0xfffff, v5
	v_add_u32_e32 v0, v1, v0
	v_mov_b32_e32 v1, v53
	v_cmp_ne_u32_e32 vcc, 0, v6
                                        ; implicit-def: $vgpr5
	s_and_saveexec_b64 s[40:41], vcc
	s_xor_b64 s[40:41], exec, s[40:41]
; %bb.3701:                             ;   in Loop: Header=BB6_3175 Depth=4
	v_cmp_lt_u64_e32 vcc, s[88:89], v[0:1]
	v_add_u32_e32 v5, 7, v34
	v_cndmask_b32_e32 v5, v6, v5, vcc
	v_cndmask_b32_e64 v6, 0, 1, vcc
	v_lshrrev_b64 v[0:1], v6, v[0:1]
; %bb.3702:                             ;   in Loop: Header=BB6_3175 Depth=4
	s_andn2_saveexec_b64 s[40:41], s[40:41]
; %bb.3703:                             ;   in Loop: Header=BB6_3175 Depth=4
	v_bfe_u32 v5, v0, 23, 1
; %bb.3704:                             ;   in Loop: Header=BB6_3175 Depth=4
	s_or_b64 exec, exec, s[40:41]
	v_lshrrev_b64 v[0:1], 20, v[0:1]
	v_cmp_gt_i32_e32 vcc, 16, v5
	v_cndmask_b32_e32 v1, 0, v1, vcc
	v_cndmask_b32_e32 v0, 7, v0, vcc
	v_cmp_eq_u64_e64 s[40:41], 0, v[0:1]
	v_min_i32_e32 v1, 15, v5
	v_lshlrev_b32_e32 v1, 3, v1
	v_cmp_eq_u32_e32 vcc, 0, v5
	v_and_b32_e32 v1, 0xf8, v1
	v_and_or_b32 v0, v0, 7, v1
	s_and_b64 s[40:41], vcc, s[40:41]
	v_cndmask_b32_e64 v0, v0, 0, s[40:41]
	v_or_b32_e32 v6, v0, v3
.LBB6_3705:                             ;   in Loop: Header=BB6_3175 Depth=4
	s_or_b64 exec, exec, s[46:47]
                                        ; implicit-def: $vgpr3
.LBB6_3706:                             ;   in Loop: Header=BB6_3175 Depth=4
	s_andn2_saveexec_b64 s[40:41], s[44:45]
; %bb.3707:                             ;   in Loop: Header=BB6_3175 Depth=4
	v_or_b32_e32 v6, 0x7e, v3
; %bb.3708:                             ;   in Loop: Header=BB6_3175 Depth=4
	s_or_b64 exec, exec, s[40:41]
                                        ; implicit-def: $vgpr1
.LBB6_3709:                             ;   in Loop: Header=BB6_3175 Depth=4
	s_andn2_saveexec_b64 s[40:41], s[42:43]
; %bb.3710:                             ;   in Loop: Header=BB6_3175 Depth=4
	v_or_b32_sdwa v6, v1, s83 dst_sel:DWORD dst_unused:UNUSED_PAD src0_sel:BYTE_3 src1_sel:DWORD
; %bb.3711:                             ;   in Loop: Header=BB6_3175 Depth=4
	s_or_b64 exec, exec, s[40:41]
	v_lshrrev_b16_e32 v2, 8, v2
	v_and_b32_e32 v34, 7, v2
	v_and_b32_e32 v0, 0x7f, v2
	v_cmp_eq_u32_e64 s[40:41], s83, v0
	v_cmp_gt_u32_e32 vcc, 8, v0
	v_ffbh_u32_e32 v0, v34
	v_min_u32_e32 v36, 32, v0
	v_mov_b32_e32 v3, v53
	v_subrev_u32_e32 v0, 28, v36
	v_lshlrev_b64 v[0:1], v0, v[2:3]
	v_bfe_u32 v35, v2, 3, 4
	v_sub_u32_e32 v1, 29, v36
	v_and_b32_e32 v0, 7, v0
	v_cndmask_b32_e32 v1, v35, v1, vcc
	v_cndmask_b32_e32 v0, v34, v0, vcc
	v_lshlrev_b32_e32 v3, 24, v2
	v_bfrev_b32_e32 v34, 60
	v_lshrrev_b16_e32 v5, 8, v52
	v_lshlrev_b32_e32 v0, 20, v0
	v_and_b32_e32 v3, 0x80000000, v3
	v_lshl_add_u32 v1, v1, 23, v34
	v_or3_b32 v0, v3, v1, v0
	v_cmp_ne_u16_e64 s[42:43], 0, v5
	s_mov_b64 s[44:45], -1
	s_and_b64 vcc, exec, s[52:53]
                                        ; implicit-def: $vgpr1
	s_cbranch_vccz .LBB6_3725
; %bb.3712:                             ;   in Loop: Header=BB6_3175 Depth=4
	v_mov_b32_e32 v1, 0
	s_and_saveexec_b64 s[44:45], s[42:43]
	s_cbranch_execz .LBB6_3718
; %bb.3713:                             ;   in Loop: Header=BB6_3175 Depth=4
	v_cmp_ne_u16_e32 vcc, s82, v5
	v_bfrev_b32_e32 v1, 1
	s_and_saveexec_b64 s[46:47], vcc
	s_cbranch_execz .LBB6_3717
; %bb.3714:                             ;   in Loop: Header=BB6_3175 Depth=4
	v_and_b32_e32 v3, 0x7f, v5
	v_cmp_ne_u32_e32 vcc, s83, v3
	v_mov_b32_e32 v1, 0x7f800001
	s_and_saveexec_b64 s[54:55], vcc
	s_cbranch_execz .LBB6_3716
; %bb.3715:                             ;   in Loop: Header=BB6_3175 Depth=4
	v_and_b32_e32 v1, 7, v5
	v_lshrrev_b32_e32 v36, 3, v3
	v_cmp_gt_u32_e32 vcc, 8, v3
	v_ffbh_u32_e32 v3, v1
	v_min_u32_e32 v3, 32, v3
	v_subrev_u32_e32 v34, 28, v3
	v_lshlrev_b64 v[34:35], v34, v[5:6]
	v_sub_u32_e32 v3, 29, v3
	v_and_b32_e32 v34, 7, v34
	v_cndmask_b32_e32 v3, v36, v3, vcc
	v_cndmask_b32_e32 v1, v1, v34, vcc
	v_lshlrev_b32_e32 v34, 16, v52
	v_bfrev_b32_e32 v35, 60
	v_lshlrev_b32_e32 v1, 20, v1
	v_and_b32_e32 v34, 0x80000000, v34
	v_lshl_add_u32 v3, v3, 23, v35
	v_or3_b32 v1, v34, v3, v1
.LBB6_3716:                             ;   in Loop: Header=BB6_3175 Depth=4
	s_or_b64 exec, exec, s[54:55]
.LBB6_3717:                             ;   in Loop: Header=BB6_3175 Depth=4
	s_or_b64 exec, exec, s[46:47]
.LBB6_3718:                             ;   in Loop: Header=BB6_3175 Depth=4
	s_or_b64 exec, exec, s[44:45]
	v_cmp_lt_i16_e32 vcc, s83, v2
	s_mov_b64 s[44:45], 0
	s_and_saveexec_b64 s[46:47], vcc
	s_xor_b64 s[46:47], exec, s[46:47]
	s_cbranch_execz .LBB6_3871
; %bb.3719:                             ;   in Loop: Header=BB6_3175 Depth=4
	v_cmp_eq_u16_e32 vcc, s82, v2
	s_mov_b64 s[44:45], -1
	s_and_saveexec_b64 s[54:55], vcc
; %bb.3720:                             ;   in Loop: Header=BB6_3175 Depth=4
	s_xor_b64 s[44:45], exec, -1
; %bb.3721:                             ;   in Loop: Header=BB6_3175 Depth=4
	s_or_b64 exec, exec, s[54:55]
	s_and_b64 s[44:45], s[44:45], exec
	s_or_saveexec_b64 s[46:47], s[46:47]
	v_bfrev_b32_e32 v3, 1
	s_xor_b64 exec, exec, s[46:47]
	s_cbranch_execnz .LBB6_3872
.LBB6_3722:                             ;   in Loop: Header=BB6_3175 Depth=4
	s_or_b64 exec, exec, s[46:47]
	s_and_saveexec_b64 s[46:47], s[44:45]
.LBB6_3723:                             ;   in Loop: Header=BB6_3175 Depth=4
	v_mov_b32_e32 v3, 0x7f800001
	v_cndmask_b32_e64 v3, v0, v3, s[40:41]
.LBB6_3724:                             ;   in Loop: Header=BB6_3175 Depth=4
	s_or_b64 exec, exec, s[46:47]
	v_max_f32_e32 v3, v3, v3
	v_max_f32_e32 v1, v1, v1
	;; [unrolled: 1-line block ×3, first 2 shown]
	s_mov_b64 s[44:45], 0
.LBB6_3725:                             ;   in Loop: Header=BB6_3175 Depth=4
	s_and_b64 vcc, exec, s[44:45]
	s_cbranch_vccz .LBB6_3739
; %bb.3726:                             ;   in Loop: Header=BB6_3175 Depth=4
	v_mov_b32_e32 v1, 0
	s_and_saveexec_b64 s[44:45], s[42:43]
	s_cbranch_execz .LBB6_3732
; %bb.3727:                             ;   in Loop: Header=BB6_3175 Depth=4
	v_cmp_ne_u16_e32 vcc, s82, v5
	v_bfrev_b32_e32 v1, 1
	s_and_saveexec_b64 s[42:43], vcc
	s_cbranch_execz .LBB6_3731
; %bb.3728:                             ;   in Loop: Header=BB6_3175 Depth=4
	v_and_b32_e32 v3, 0x7f, v5
	v_cmp_ne_u32_e32 vcc, s83, v3
	v_mov_b32_e32 v1, 0x7f800001
	s_and_saveexec_b64 s[46:47], vcc
	s_cbranch_execz .LBB6_3730
; %bb.3729:                             ;   in Loop: Header=BB6_3175 Depth=4
	v_and_b32_e32 v1, 7, v5
	v_lshrrev_b32_e32 v36, 3, v3
	v_cmp_gt_u32_e32 vcc, 8, v3
	v_ffbh_u32_e32 v3, v1
	v_min_u32_e32 v3, 32, v3
	v_subrev_u32_e32 v34, 28, v3
	v_lshlrev_b64 v[34:35], v34, v[5:6]
	v_sub_u32_e32 v3, 29, v3
	v_and_b32_e32 v5, 7, v34
	v_cndmask_b32_e32 v3, v36, v3, vcc
	v_cndmask_b32_e32 v1, v1, v5, vcc
	v_lshlrev_b32_e32 v5, 16, v52
	v_bfrev_b32_e32 v34, 60
	v_lshlrev_b32_e32 v1, 20, v1
	v_and_b32_e32 v5, 0x80000000, v5
	v_lshl_add_u32 v3, v3, 23, v34
	v_or3_b32 v1, v5, v3, v1
.LBB6_3730:                             ;   in Loop: Header=BB6_3175 Depth=4
	s_or_b64 exec, exec, s[46:47]
.LBB6_3731:                             ;   in Loop: Header=BB6_3175 Depth=4
	s_or_b64 exec, exec, s[42:43]
.LBB6_3732:                             ;   in Loop: Header=BB6_3175 Depth=4
	s_or_b64 exec, exec, s[44:45]
	v_cmp_lt_i16_e32 vcc, s83, v2
	s_mov_b64 s[42:43], 0
	s_and_saveexec_b64 s[44:45], vcc
	s_xor_b64 s[44:45], exec, s[44:45]
	s_cbranch_execz .LBB6_3873
; %bb.3733:                             ;   in Loop: Header=BB6_3175 Depth=4
	v_cmp_eq_u16_e32 vcc, s82, v2
	s_mov_b64 s[42:43], -1
	s_and_saveexec_b64 s[46:47], vcc
; %bb.3734:                             ;   in Loop: Header=BB6_3175 Depth=4
	s_xor_b64 s[42:43], exec, -1
; %bb.3735:                             ;   in Loop: Header=BB6_3175 Depth=4
	s_or_b64 exec, exec, s[46:47]
	s_and_b64 s[42:43], s[42:43], exec
                                        ; implicit-def: $vgpr2
	s_or_saveexec_b64 s[44:45], s[44:45]
	v_bfrev_b32_e32 v3, 1
	s_xor_b64 exec, exec, s[44:45]
	s_cbranch_execnz .LBB6_3874
.LBB6_3736:                             ;   in Loop: Header=BB6_3175 Depth=4
	s_or_b64 exec, exec, s[44:45]
	s_and_saveexec_b64 s[44:45], s[42:43]
.LBB6_3737:                             ;   in Loop: Header=BB6_3175 Depth=4
	v_mov_b32_e32 v2, 0x7f800001
	v_cndmask_b32_e64 v3, v0, v2, s[40:41]
.LBB6_3738:                             ;   in Loop: Header=BB6_3175 Depth=4
	s_or_b64 exec, exec, s[44:45]
	v_max_f32_e32 v0, v3, v3
	v_max_f32_e32 v1, v1, v1
	v_min_f32_e32 v1, v1, v0
.LBB6_3739:                             ;   in Loop: Header=BB6_3175 Depth=4
	v_and_b32_e32 v52, 0x7f800000, v1
	v_cmp_ne_u64_e32 vcc, s[76:77], v[52:53]
                                        ; implicit-def: $vgpr3
	s_and_saveexec_b64 s[40:41], vcc
	s_xor_b64 s[42:43], exec, s[40:41]
	s_cbranch_execz .LBB6_3753
; %bb.3740:                             ;   in Loop: Header=BB6_3175 Depth=4
	v_and_b32_e32 v52, 0x7fffffff, v1
	v_cmp_gt_u64_e32 vcc, s[78:79], v[52:53]
	v_and_b32_sdwa v5, v1, s82 dst_sel:DWORD dst_unused:UNUSED_PAD src0_sel:BYTE_3 src1_sel:DWORD
                                        ; implicit-def: $vgpr3
	s_and_saveexec_b64 s[40:41], vcc
	s_xor_b64 s[44:45], exec, s[40:41]
	s_cbranch_execz .LBB6_3750
; %bb.3741:                             ;   in Loop: Header=BB6_3175 Depth=4
	v_mov_b32_e32 v3, 0
	v_cmp_ne_u32_e32 vcc, 0, v1
	s_and_saveexec_b64 s[46:47], vcc
	s_cbranch_execz .LBB6_3749
; %bb.3742:                             ;   in Loop: Header=BB6_3175 Depth=4
	v_bfe_u32 v3, v1, 23, 8
	v_and_b32_e32 v0, 0x7fffff, v1
	v_cmp_gt_u32_e64 s[40:41], s85, v3
	v_sub_u32_e32 v1, 0x79, v3
	v_cmp_eq_u32_e32 vcc, 0, v3
	v_cndmask_b32_e64 v1, 0, v1, s[40:41]
	v_mov_b32_e32 v34, 0x78
	v_or_b32_e32 v2, 0x800000, v0
	v_cndmask_b32_e32 v34, v1, v34, vcc
	v_cndmask_b32_e32 v52, v2, v0, vcc
	v_add_u32_e32 v0, 20, v34
	v_lshlrev_b64 v[0:1], v0, -1
	v_add_u32_e32 v2, 19, v34
	v_lshlrev_b64 v[35:36], v2, 1
	v_bfi_b32 v1, v1, 0, 0
	v_bfi_b32 v0, v0, 0, v52
	v_cmp_eq_u64_e64 s[40:41], v[0:1], v[35:36]
	v_lshrrev_b64 v[0:1], v34, v[52:53]
	v_mov_b32_e32 v2, v1
	v_mov_b32_e32 v1, v0
	s_and_saveexec_b64 s[54:55], s[40:41]
; %bb.3743:                             ;   in Loop: Header=BB6_3175 Depth=4
	v_bfe_u32 v1, v0, 20, 1
	v_add_co_u32_e64 v1, s[40:41], v0, v1
	v_add_co_u32_e64 v1, s[40:41], -1, v1
; %bb.3744:                             ;   in Loop: Header=BB6_3175 Depth=4
	s_or_b64 exec, exec, s[54:55]
	v_add_u32_e32 v2, 0xffffff81, v3
	v_mov_b32_e32 v3, 0xffffff82
	v_cndmask_b32_e32 v2, v2, v3, vcc
	v_lshrrev_b32_e32 v3, 23, v0
	v_add3_u32 v34, v34, v2, v3
	v_add_u32_e32 v3, 6, v34
	v_and_b32_e32 v1, 0xfffff, v1
	v_add_u32_e32 v52, v1, v0
	v_cmp_ne_u32_e32 vcc, 0, v3
                                        ; implicit-def: $vgpr0_vgpr1
                                        ; implicit-def: $vgpr2
	s_and_saveexec_b64 s[40:41], vcc
	s_xor_b64 s[40:41], exec, s[40:41]
; %bb.3745:                             ;   in Loop: Header=BB6_3175 Depth=4
	v_cmp_lt_u64_e32 vcc, s[88:89], v[52:53]
	v_add_u32_e32 v0, 7, v34
	v_cndmask_b32_e32 v2, v3, v0, vcc
	v_cndmask_b32_e64 v0, 0, 1, vcc
	v_lshrrev_b64 v[0:1], v0, v[52:53]
; %bb.3746:                             ;   in Loop: Header=BB6_3175 Depth=4
	s_andn2_saveexec_b64 s[40:41], s[40:41]
; %bb.3747:                             ;   in Loop: Header=BB6_3175 Depth=4
	v_mov_b32_e32 v0, v52
	v_bfe_u32 v2, v52, 23, 1
	v_mov_b32_e32 v1, v53
; %bb.3748:                             ;   in Loop: Header=BB6_3175 Depth=4
	s_or_b64 exec, exec, s[40:41]
	v_lshrrev_b64 v[0:1], 20, v[0:1]
	v_cmp_gt_i32_e32 vcc, 16, v2
	v_cndmask_b32_e32 v1, 0, v1, vcc
	v_cndmask_b32_e32 v0, 7, v0, vcc
	v_cmp_eq_u64_e64 s[40:41], 0, v[0:1]
	v_min_i32_e32 v1, 15, v2
	v_lshlrev_b32_e32 v1, 3, v1
	v_cmp_eq_u32_e32 vcc, 0, v2
	v_and_b32_e32 v1, 0xf8, v1
	v_and_or_b32 v0, v0, 7, v1
	s_and_b64 s[40:41], vcc, s[40:41]
	v_cndmask_b32_e64 v0, v0, 0, s[40:41]
	v_or_b32_e32 v3, v0, v5
.LBB6_3749:                             ;   in Loop: Header=BB6_3175 Depth=4
	s_or_b64 exec, exec, s[46:47]
                                        ; implicit-def: $vgpr5
.LBB6_3750:                             ;   in Loop: Header=BB6_3175 Depth=4
	s_andn2_saveexec_b64 s[40:41], s[44:45]
; %bb.3751:                             ;   in Loop: Header=BB6_3175 Depth=4
	v_or_b32_e32 v3, 0x7e, v5
; %bb.3752:                             ;   in Loop: Header=BB6_3175 Depth=4
	s_or_b64 exec, exec, s[40:41]
                                        ; implicit-def: $vgpr1
.LBB6_3753:                             ;   in Loop: Header=BB6_3175 Depth=4
	s_andn2_saveexec_b64 s[40:41], s[42:43]
; %bb.3754:                             ;   in Loop: Header=BB6_3175 Depth=4
	v_or_b32_sdwa v3, v1, s83 dst_sel:DWORD dst_unused:UNUSED_PAD src0_sel:BYTE_3 src1_sel:DWORD
; %bb.3755:                             ;   in Loop: Header=BB6_3175 Depth=4
	s_or_b64 exec, exec, s[40:41]
	v_bfe_u32 v5, v15, 16, 3
	v_bfe_u32 v1, v15, 16, 7
	v_cmp_eq_u32_e64 s[40:41], s83, v1
	v_cmp_gt_u32_e32 vcc, 8, v1
	v_ffbh_u32_e32 v1, v5
	v_min_u32_e32 v35, 32, v1
	v_lshrrev_b32_e32 v0, 16, v15
	v_subrev_u32_e32 v1, 28, v35
	v_lshlrev_b64 v[1:2], v1, v[0:1]
	v_bfe_u32 v34, v0, 3, 4
	v_sub_u32_e32 v2, 29, v35
	v_and_b32_e32 v1, 7, v1
	v_cndmask_b32_e32 v2, v34, v2, vcc
	v_cndmask_b32_e32 v1, v5, v1, vcc
	v_lshlrev_b32_e32 v5, 8, v15
	v_bfrev_b32_e32 v34, 60
	v_lshlrev_b32_e32 v1, 20, v1
	v_and_b32_e32 v5, 0x80000000, v5
	v_lshl_add_u32 v2, v2, 23, v34
	v_or3_b32 v1, v5, v2, v1
	v_lshrrev_b32_e32 v2, 16, v11
	v_cmp_ne_u16_sdwa s[42:43], v2, v53 src0_sel:BYTE_0 src1_sel:DWORD
	s_mov_b64 s[44:45], -1
	s_and_b64 vcc, exec, s[52:53]
                                        ; implicit-def: $vgpr35
	s_cbranch_vccz .LBB6_3769
; %bb.3756:                             ;   in Loop: Header=BB6_3175 Depth=4
	v_mov_b32_e32 v5, 0
	s_and_saveexec_b64 s[44:45], s[42:43]
	s_cbranch_execz .LBB6_3762
; %bb.3757:                             ;   in Loop: Header=BB6_3175 Depth=4
	v_cmp_ne_u16_sdwa vcc, v2, s82 src0_sel:BYTE_0 src1_sel:DWORD
	v_bfrev_b32_e32 v5, 1
	s_and_saveexec_b64 s[46:47], vcc
	s_cbranch_execz .LBB6_3761
; %bb.3758:                             ;   in Loop: Header=BB6_3175 Depth=4
	v_bfe_u32 v34, v11, 16, 7
	v_cmp_ne_u32_e32 vcc, s83, v34
	v_mov_b32_e32 v5, 0x7f800001
	s_and_saveexec_b64 s[54:55], vcc
	s_cbranch_execz .LBB6_3760
; %bb.3759:                             ;   in Loop: Header=BB6_3175 Depth=4
	v_and_b32_e32 v5, 7, v2
	v_lshrrev_b32_e32 v36, 3, v34
	v_cmp_gt_u32_e32 vcc, 8, v34
	v_ffbh_u32_e32 v34, v5
	v_min_u32_e32 v37, 32, v34
	v_subrev_u32_e32 v34, 28, v37
	v_lshlrev_b64 v[34:35], v34, v[2:3]
	v_sub_u32_e32 v35, 29, v37
	v_and_b32_e32 v34, 7, v34
	v_cndmask_b32_e32 v35, v36, v35, vcc
	v_cndmask_b32_e32 v5, v5, v34, vcc
	v_lshlrev_b32_e32 v34, 24, v2
	v_bfrev_b32_e32 v36, 60
	v_lshlrev_b32_e32 v5, 20, v5
	v_and_b32_e32 v34, 0x80000000, v34
	v_lshl_add_u32 v35, v35, 23, v36
	v_or3_b32 v5, v34, v35, v5
.LBB6_3760:                             ;   in Loop: Header=BB6_3175 Depth=4
	s_or_b64 exec, exec, s[54:55]
.LBB6_3761:                             ;   in Loop: Header=BB6_3175 Depth=4
	s_or_b64 exec, exec, s[46:47]
.LBB6_3762:                             ;   in Loop: Header=BB6_3175 Depth=4
	s_or_b64 exec, exec, s[44:45]
	v_cmp_gt_i16_sdwa s[46:47], v0, s83 src0_sel:BYTE_0 src1_sel:DWORD
	s_mov_b64 s[44:45], 0
	s_and_saveexec_b64 vcc, s[46:47]
	s_xor_b64 s[46:47], exec, vcc
	s_cbranch_execz .LBB6_3875
; %bb.3763:                             ;   in Loop: Header=BB6_3175 Depth=4
	v_cmp_eq_u16_sdwa s[54:55], v0, s82 src0_sel:BYTE_0 src1_sel:DWORD
	s_mov_b64 s[44:45], -1
	s_and_saveexec_b64 vcc, s[54:55]
; %bb.3764:                             ;   in Loop: Header=BB6_3175 Depth=4
	s_xor_b64 s[44:45], exec, -1
; %bb.3765:                             ;   in Loop: Header=BB6_3175 Depth=4
	s_or_b64 exec, exec, vcc
	s_and_b64 s[44:45], s[44:45], exec
	s_or_saveexec_b64 s[46:47], s[46:47]
	v_bfrev_b32_e32 v34, 1
	s_xor_b64 exec, exec, s[46:47]
	s_cbranch_execnz .LBB6_3876
.LBB6_3766:                             ;   in Loop: Header=BB6_3175 Depth=4
	s_or_b64 exec, exec, s[46:47]
	s_and_saveexec_b64 s[46:47], s[44:45]
.LBB6_3767:                             ;   in Loop: Header=BB6_3175 Depth=4
	v_mov_b32_e32 v34, 0x7f800001
	v_cndmask_b32_e64 v34, v1, v34, s[40:41]
.LBB6_3768:                             ;   in Loop: Header=BB6_3175 Depth=4
	s_or_b64 exec, exec, s[46:47]
	v_max_f32_e32 v34, v34, v34
	v_max_f32_e32 v5, v5, v5
	;; [unrolled: 1-line block ×3, first 2 shown]
	s_mov_b64 s[44:45], 0
.LBB6_3769:                             ;   in Loop: Header=BB6_3175 Depth=4
	s_and_b64 vcc, exec, s[44:45]
	s_cbranch_vccz .LBB6_3783
; %bb.3770:                             ;   in Loop: Header=BB6_3175 Depth=4
	v_mov_b32_e32 v5, 0
	s_and_saveexec_b64 s[44:45], s[42:43]
	s_cbranch_execz .LBB6_3776
; %bb.3771:                             ;   in Loop: Header=BB6_3175 Depth=4
	v_cmp_ne_u16_sdwa s[46:47], v2, s82 src0_sel:BYTE_0 src1_sel:DWORD
	v_bfrev_b32_e32 v5, 1
	s_and_saveexec_b64 s[42:43], s[46:47]
	s_cbranch_execz .LBB6_3775
; %bb.3772:                             ;   in Loop: Header=BB6_3175 Depth=4
	v_bfe_u32 v34, v11, 16, 7
	v_cmp_ne_u32_e32 vcc, s83, v34
	v_mov_b32_e32 v5, 0x7f800001
	s_and_saveexec_b64 s[46:47], vcc
	s_cbranch_execz .LBB6_3774
; %bb.3773:                             ;   in Loop: Header=BB6_3175 Depth=4
	v_and_b32_e32 v5, 7, v2
	v_lshrrev_b32_e32 v36, 3, v34
	v_cmp_gt_u32_e32 vcc, 8, v34
	v_ffbh_u32_e32 v34, v5
	v_min_u32_e32 v37, 32, v34
	v_subrev_u32_e32 v34, 28, v37
	v_lshlrev_b64 v[34:35], v34, v[2:3]
	v_sub_u32_e32 v35, 29, v37
	v_and_b32_e32 v34, 7, v34
	v_cndmask_b32_e32 v35, v36, v35, vcc
	v_cndmask_b32_e32 v5, v5, v34, vcc
	v_lshlrev_b32_e32 v2, 24, v2
	v_bfrev_b32_e32 v34, 60
	v_lshlrev_b32_e32 v5, 20, v5
	v_and_b32_e32 v2, 0x80000000, v2
	v_lshl_add_u32 v34, v35, 23, v34
	v_or3_b32 v5, v2, v34, v5
.LBB6_3774:                             ;   in Loop: Header=BB6_3175 Depth=4
	s_or_b64 exec, exec, s[46:47]
.LBB6_3775:                             ;   in Loop: Header=BB6_3175 Depth=4
	s_or_b64 exec, exec, s[42:43]
.LBB6_3776:                             ;   in Loop: Header=BB6_3175 Depth=4
	s_or_b64 exec, exec, s[44:45]
	v_cmp_gt_i16_sdwa s[44:45], v0, s83 src0_sel:BYTE_0 src1_sel:DWORD
	s_mov_b64 s[42:43], 0
	s_and_saveexec_b64 s[46:47], s[44:45]
	s_xor_b64 s[44:45], exec, s[46:47]
	s_cbranch_execz .LBB6_3877
; %bb.3777:                             ;   in Loop: Header=BB6_3175 Depth=4
	v_cmp_eq_u16_sdwa vcc, v0, s82 src0_sel:BYTE_0 src1_sel:DWORD
	s_mov_b64 s[42:43], -1
	s_and_saveexec_b64 s[46:47], vcc
; %bb.3778:                             ;   in Loop: Header=BB6_3175 Depth=4
	s_xor_b64 s[42:43], exec, -1
; %bb.3779:                             ;   in Loop: Header=BB6_3175 Depth=4
	s_or_b64 exec, exec, s[46:47]
	s_and_b64 s[42:43], s[42:43], exec
                                        ; implicit-def: $vgpr0
	s_or_saveexec_b64 s[44:45], s[44:45]
	v_bfrev_b32_e32 v2, 1
	s_xor_b64 exec, exec, s[44:45]
	s_cbranch_execnz .LBB6_3878
.LBB6_3780:                             ;   in Loop: Header=BB6_3175 Depth=4
	s_or_b64 exec, exec, s[44:45]
	s_and_saveexec_b64 s[44:45], s[42:43]
.LBB6_3781:                             ;   in Loop: Header=BB6_3175 Depth=4
	v_mov_b32_e32 v0, 0x7f800001
	v_cndmask_b32_e64 v2, v1, v0, s[40:41]
.LBB6_3782:                             ;   in Loop: Header=BB6_3175 Depth=4
	s_or_b64 exec, exec, s[44:45]
	v_max_f32_e32 v0, v2, v2
	v_max_f32_e32 v1, v5, v5
	v_min_f32_e32 v35, v1, v0
.LBB6_3783:                             ;   in Loop: Header=BB6_3175 Depth=4
	v_and_b32_e32 v52, 0x7f800000, v35
	v_cmp_ne_u64_e32 vcc, s[76:77], v[52:53]
                                        ; implicit-def: $vgpr5
	s_and_saveexec_b64 s[40:41], vcc
	s_xor_b64 s[42:43], exec, s[40:41]
	s_cbranch_execz .LBB6_3797
; %bb.3784:                             ;   in Loop: Header=BB6_3175 Depth=4
	v_and_b32_e32 v52, 0x7fffffff, v35
	v_cmp_gt_u64_e32 vcc, s[78:79], v[52:53]
	v_and_b32_sdwa v34, v35, s82 dst_sel:DWORD dst_unused:UNUSED_PAD src0_sel:BYTE_3 src1_sel:DWORD
                                        ; implicit-def: $vgpr5
	s_and_saveexec_b64 s[40:41], vcc
	s_xor_b64 s[44:45], exec, s[40:41]
	s_cbranch_execz .LBB6_3794
; %bb.3785:                             ;   in Loop: Header=BB6_3175 Depth=4
	v_mov_b32_e32 v5, 0
	v_cmp_ne_u32_e32 vcc, 0, v35
	s_and_saveexec_b64 s[46:47], vcc
	s_cbranch_execz .LBB6_3793
; %bb.3786:                             ;   in Loop: Header=BB6_3175 Depth=4
	v_bfe_u32 v5, v35, 23, 8
	v_cmp_gt_u32_e64 s[40:41], s85, v5
	v_sub_u32_e32 v1, 0x79, v5
	v_and_b32_e32 v0, 0x7fffff, v35
	v_cmp_eq_u32_e32 vcc, 0, v5
	v_cndmask_b32_e64 v1, 0, v1, s[40:41]
	v_mov_b32_e32 v35, 0x78
	v_or_b32_e32 v2, 0x800000, v0
	v_cndmask_b32_e32 v35, v1, v35, vcc
	v_cndmask_b32_e32 v52, v2, v0, vcc
	v_add_u32_e32 v0, 20, v35
	v_lshlrev_b64 v[0:1], v0, -1
	v_add_u32_e32 v2, 19, v35
	v_lshlrev_b64 v[36:37], v2, 1
	v_bfi_b32 v1, v1, 0, 0
	v_bfi_b32 v0, v0, 0, v52
	v_cmp_eq_u64_e64 s[40:41], v[0:1], v[36:37]
	v_lshrrev_b64 v[0:1], v35, v[52:53]
	v_mov_b32_e32 v2, v1
	v_mov_b32_e32 v1, v0
	s_and_saveexec_b64 s[54:55], s[40:41]
; %bb.3787:                             ;   in Loop: Header=BB6_3175 Depth=4
	v_bfe_u32 v1, v0, 20, 1
	v_add_co_u32_e64 v1, s[40:41], v0, v1
	v_add_co_u32_e64 v1, s[40:41], -1, v1
; %bb.3788:                             ;   in Loop: Header=BB6_3175 Depth=4
	s_or_b64 exec, exec, s[54:55]
	v_add_u32_e32 v2, 0xffffff81, v5
	v_mov_b32_e32 v5, 0xffffff82
	v_cndmask_b32_e32 v2, v2, v5, vcc
	v_lshrrev_b32_e32 v5, 23, v0
	v_add3_u32 v35, v35, v2, v5
	v_add_u32_e32 v5, 6, v35
	v_and_b32_e32 v1, 0xfffff, v1
	v_add_u32_e32 v52, v1, v0
	v_cmp_ne_u32_e32 vcc, 0, v5
                                        ; implicit-def: $vgpr0_vgpr1
                                        ; implicit-def: $vgpr2
	s_and_saveexec_b64 s[40:41], vcc
	s_xor_b64 s[40:41], exec, s[40:41]
; %bb.3789:                             ;   in Loop: Header=BB6_3175 Depth=4
	v_cmp_lt_u64_e32 vcc, s[88:89], v[52:53]
	v_add_u32_e32 v0, 7, v35
	v_cndmask_b32_e32 v2, v5, v0, vcc
	v_cndmask_b32_e64 v0, 0, 1, vcc
	v_lshrrev_b64 v[0:1], v0, v[52:53]
; %bb.3790:                             ;   in Loop: Header=BB6_3175 Depth=4
	s_andn2_saveexec_b64 s[40:41], s[40:41]
; %bb.3791:                             ;   in Loop: Header=BB6_3175 Depth=4
	v_mov_b32_e32 v0, v52
	v_bfe_u32 v2, v52, 23, 1
	v_mov_b32_e32 v1, v53
; %bb.3792:                             ;   in Loop: Header=BB6_3175 Depth=4
	s_or_b64 exec, exec, s[40:41]
	v_lshrrev_b64 v[0:1], 20, v[0:1]
	v_cmp_gt_i32_e32 vcc, 16, v2
	v_cndmask_b32_e32 v1, 0, v1, vcc
	v_cndmask_b32_e32 v0, 7, v0, vcc
	v_cmp_eq_u64_e64 s[40:41], 0, v[0:1]
	v_min_i32_e32 v1, 15, v2
	v_lshlrev_b32_e32 v1, 3, v1
	v_cmp_eq_u32_e32 vcc, 0, v2
	v_and_b32_e32 v1, 0xf8, v1
	v_and_or_b32 v0, v0, 7, v1
	s_and_b64 s[40:41], vcc, s[40:41]
	v_cndmask_b32_e64 v0, v0, 0, s[40:41]
	v_or_b32_e32 v5, v0, v34
.LBB6_3793:                             ;   in Loop: Header=BB6_3175 Depth=4
	s_or_b64 exec, exec, s[46:47]
                                        ; implicit-def: $vgpr34
.LBB6_3794:                             ;   in Loop: Header=BB6_3175 Depth=4
	s_andn2_saveexec_b64 s[40:41], s[44:45]
; %bb.3795:                             ;   in Loop: Header=BB6_3175 Depth=4
	v_or_b32_e32 v5, 0x7e, v34
; %bb.3796:                             ;   in Loop: Header=BB6_3175 Depth=4
	s_or_b64 exec, exec, s[40:41]
                                        ; implicit-def: $vgpr35
.LBB6_3797:                             ;   in Loop: Header=BB6_3175 Depth=4
	s_andn2_saveexec_b64 s[40:41], s[42:43]
; %bb.3798:                             ;   in Loop: Header=BB6_3175 Depth=4
	v_or_b32_sdwa v5, v35, s83 dst_sel:DWORD dst_unused:UNUSED_PAD src0_sel:BYTE_3 src1_sel:DWORD
; %bb.3799:                             ;   in Loop: Header=BB6_3175 Depth=4
	s_or_b64 exec, exec, s[40:41]
	v_cmp_gt_u64_e64 s[40:41], s[60:61], v[14:15]
	v_bfe_u32 v14, v15, 24, 3
	v_bfe_u32 v2, v15, 24, 7
	v_cmp_eq_u32_e64 s[44:45], s83, v2
	v_cmp_gt_u32_e32 vcc, 8, v2
	v_ffbh_u32_e32 v2, v14
	v_min_u32_e32 v35, 32, v2
	v_lshrrev_b32_e32 v1, 24, v15
	v_subrev_u32_e32 v2, 28, v35
	v_bfe_u32 v34, v1, 3, 4
	v_cmp_eq_u32_e64 s[42:43], s82, v1
	v_lshlrev_b64 v[1:2], v2, v[1:2]
	v_sub_u32_e32 v2, 29, v35
	v_and_b32_e32 v1, 7, v1
	v_cndmask_b32_e32 v2, v34, v2, vcc
	v_cndmask_b32_e32 v1, v14, v1, vcc
	v_and_b32_e32 v14, 0x80000000, v15
	v_bfrev_b32_e32 v15, 60
	v_lshlrev_b32_e32 v1, 20, v1
	v_lshl_add_u32 v2, v2, 23, v15
	v_cmp_lt_u64_e64 s[46:47], s[62:63], v[10:11]
	v_lshrrev_b32_e32 v0, 24, v11
	v_or3_b32 v1, v14, v2, v1
	s_mov_b64 s[54:55], -1
	s_and_b64 vcc, exec, s[52:53]
                                        ; implicit-def: $vgpr2
	s_cbranch_vccz .LBB6_3807
; %bb.3800:                             ;   in Loop: Header=BB6_3175 Depth=4
	v_mov_b32_e32 v2, 0
	s_and_saveexec_b64 s[54:55], s[46:47]
	s_cbranch_execz .LBB6_3806
; %bb.3801:                             ;   in Loop: Header=BB6_3175 Depth=4
	v_cmp_ne_u32_e32 vcc, s82, v0
	v_bfrev_b32_e32 v2, 1
	s_and_saveexec_b64 s[64:65], vcc
	s_cbranch_execz .LBB6_3805
; %bb.3802:                             ;   in Loop: Header=BB6_3175 Depth=4
	v_bfe_u32 v10, v11, 24, 7
	v_cmp_ne_u32_e32 vcc, s83, v10
	v_mov_b32_e32 v2, 0x7f800001
	s_and_saveexec_b64 s[66:67], vcc
	s_cbranch_execz .LBB6_3804
; %bb.3803:                             ;   in Loop: Header=BB6_3175 Depth=4
	v_and_b32_e32 v2, 7, v0
	v_lshrrev_b32_e32 v34, 3, v10
	v_cmp_gt_u32_e32 vcc, 8, v10
	v_ffbh_u32_e32 v10, v2
	v_min_u32_e32 v10, 32, v10
	v_subrev_u32_e32 v14, 28, v10
	v_lshlrev_b64 v[14:15], v14, v[0:1]
	v_sub_u32_e32 v10, 29, v10
	v_and_b32_e32 v14, 7, v14
	v_cndmask_b32_e32 v10, v34, v10, vcc
	v_cndmask_b32_e32 v2, v2, v14, vcc
	v_lshlrev_b32_e32 v14, 24, v0
	v_bfrev_b32_e32 v15, 60
	v_lshlrev_b32_e32 v2, 20, v2
	v_and_b32_e32 v14, 0x80000000, v14
	v_lshl_add_u32 v10, v10, 23, v15
	v_or3_b32 v2, v14, v10, v2
.LBB6_3804:                             ;   in Loop: Header=BB6_3175 Depth=4
	s_or_b64 exec, exec, s[66:67]
.LBB6_3805:                             ;   in Loop: Header=BB6_3175 Depth=4
	s_or_b64 exec, exec, s[64:65]
.LBB6_3806:                             ;   in Loop: Header=BB6_3175 Depth=4
	s_or_b64 exec, exec, s[54:55]
	v_mov_b32_e32 v10, 0x7f800001
	v_cndmask_b32_e64 v10, v1, v10, s[44:45]
	v_bfrev_b32_e32 v14, 1
	v_cndmask_b32_e64 v10, v10, v14, s[42:43]
	v_cndmask_b32_e64 v10, v10, 0, s[40:41]
	v_max_f32_e32 v10, v10, v10
	v_max_f32_e32 v2, v2, v2
	;; [unrolled: 1-line block ×3, first 2 shown]
	s_mov_b64 s[54:55], 0
.LBB6_3807:                             ;   in Loop: Header=BB6_3175 Depth=4
	s_and_b64 vcc, exec, s[54:55]
	s_cbranch_vccz .LBB6_3815
; %bb.3808:                             ;   in Loop: Header=BB6_3175 Depth=4
	v_mov_b32_e32 v2, 0
	s_and_saveexec_b64 s[54:55], s[46:47]
	s_cbranch_execz .LBB6_3814
; %bb.3809:                             ;   in Loop: Header=BB6_3175 Depth=4
	v_cmp_ne_u32_e32 vcc, s82, v0
	v_bfrev_b32_e32 v2, 1
	s_and_saveexec_b64 s[46:47], vcc
	s_cbranch_execz .LBB6_3813
; %bb.3810:                             ;   in Loop: Header=BB6_3175 Depth=4
	v_bfe_u32 v10, v11, 24, 7
	v_cmp_ne_u32_e32 vcc, s83, v10
	v_mov_b32_e32 v2, 0x7f800001
	s_and_saveexec_b64 s[64:65], vcc
	s_cbranch_execz .LBB6_3812
; %bb.3811:                             ;   in Loop: Header=BB6_3175 Depth=4
	v_and_b32_e32 v2, 7, v0
	v_lshrrev_b32_e32 v14, 3, v10
	v_cmp_gt_u32_e32 vcc, 8, v10
	v_ffbh_u32_e32 v10, v2
	v_min_u32_e32 v15, 32, v10
	v_subrev_u32_e32 v10, 28, v15
	v_lshlrev_b64 v[10:11], v10, v[0:1]
	v_sub_u32_e32 v11, 29, v15
	v_and_b32_e32 v10, 7, v10
	v_cndmask_b32_e32 v11, v14, v11, vcc
	v_cndmask_b32_e32 v2, v2, v10, vcc
	v_lshlrev_b32_e32 v0, 24, v0
	v_bfrev_b32_e32 v10, 60
	v_lshlrev_b32_e32 v2, 20, v2
	v_and_b32_e32 v0, 0x80000000, v0
	v_lshl_add_u32 v10, v11, 23, v10
	v_or3_b32 v2, v0, v10, v2
.LBB6_3812:                             ;   in Loop: Header=BB6_3175 Depth=4
	s_or_b64 exec, exec, s[64:65]
.LBB6_3813:                             ;   in Loop: Header=BB6_3175 Depth=4
	s_or_b64 exec, exec, s[46:47]
.LBB6_3814:                             ;   in Loop: Header=BB6_3175 Depth=4
	s_or_b64 exec, exec, s[54:55]
	v_mov_b32_e32 v0, 0x7f800001
	v_cndmask_b32_e64 v0, v1, v0, s[44:45]
	v_bfrev_b32_e32 v1, 1
	v_cndmask_b32_e64 v0, v0, v1, s[42:43]
	v_cndmask_b32_e64 v0, v0, 0, s[40:41]
	v_max_f32_e32 v0, v0, v0
	v_max_f32_e32 v1, v2, v2
	v_min_f32_e32 v2, v1, v0
.LBB6_3815:                             ;   in Loop: Header=BB6_3175 Depth=4
	v_and_b32_e32 v52, 0x7f800000, v2
	v_cmp_ne_u64_e32 vcc, s[76:77], v[52:53]
                                        ; implicit-def: $vgpr0
	s_and_saveexec_b64 s[40:41], vcc
	s_xor_b64 s[42:43], exec, s[40:41]
	s_cbranch_execz .LBB6_3829
; %bb.3816:                             ;   in Loop: Header=BB6_3175 Depth=4
	v_and_b32_e32 v52, 0x7fffffff, v2
	v_cmp_gt_u64_e32 vcc, s[78:79], v[52:53]
	v_and_b32_sdwa v10, v2, s82 dst_sel:DWORD dst_unused:UNUSED_PAD src0_sel:BYTE_3 src1_sel:DWORD
                                        ; implicit-def: $vgpr0
	s_and_saveexec_b64 s[40:41], vcc
	s_xor_b64 s[44:45], exec, s[40:41]
	s_cbranch_execz .LBB6_3826
; %bb.3817:                             ;   in Loop: Header=BB6_3175 Depth=4
	v_mov_b32_e32 v0, 0
	v_cmp_ne_u32_e32 vcc, 0, v2
	s_and_saveexec_b64 s[46:47], vcc
	s_cbranch_execz .LBB6_3825
; %bb.3818:                             ;   in Loop: Header=BB6_3175 Depth=4
	v_bfe_u32 v11, v2, 23, 8
	v_cmp_gt_u32_e64 s[40:41], s85, v11
	v_sub_u32_e32 v1, 0x79, v11
	v_and_b32_e32 v0, 0x7fffff, v2
	v_cmp_eq_u32_e32 vcc, 0, v11
	v_cndmask_b32_e64 v1, 0, v1, s[40:41]
	v_mov_b32_e32 v14, 0x78
	v_or_b32_e32 v2, 0x800000, v0
	v_cndmask_b32_e32 v14, v1, v14, vcc
	v_cndmask_b32_e32 v52, v2, v0, vcc
	v_add_u32_e32 v0, 20, v14
	v_lshlrev_b64 v[0:1], v0, -1
	v_add_u32_e32 v2, 19, v14
	v_lshlrev_b64 v[34:35], v2, 1
	v_bfi_b32 v1, v1, 0, 0
	v_bfi_b32 v0, v0, 0, v52
	v_cmp_eq_u64_e64 s[40:41], v[0:1], v[34:35]
	v_lshrrev_b64 v[0:1], v14, v[52:53]
	v_mov_b32_e32 v2, v1
	v_mov_b32_e32 v1, v0
	s_and_saveexec_b64 s[54:55], s[40:41]
; %bb.3819:                             ;   in Loop: Header=BB6_3175 Depth=4
	v_bfe_u32 v1, v0, 20, 1
	v_add_co_u32_e64 v1, s[40:41], v0, v1
	v_add_co_u32_e64 v1, s[40:41], -1, v1
; %bb.3820:                             ;   in Loop: Header=BB6_3175 Depth=4
	s_or_b64 exec, exec, s[54:55]
	v_add_u32_e32 v2, 0xffffff81, v11
	v_mov_b32_e32 v11, 0xffffff82
	v_cndmask_b32_e32 v2, v2, v11, vcc
	v_lshrrev_b32_e32 v11, 23, v0
	v_add3_u32 v14, v14, v2, v11
	v_add_u32_e32 v11, 6, v14
	v_and_b32_e32 v1, 0xfffff, v1
	v_add_u32_e32 v52, v1, v0
	v_cmp_ne_u32_e32 vcc, 0, v11
                                        ; implicit-def: $vgpr0_vgpr1
                                        ; implicit-def: $vgpr2
	s_and_saveexec_b64 s[40:41], vcc
	s_xor_b64 s[40:41], exec, s[40:41]
; %bb.3821:                             ;   in Loop: Header=BB6_3175 Depth=4
	v_cmp_lt_u64_e32 vcc, s[88:89], v[52:53]
	v_add_u32_e32 v0, 7, v14
	v_cndmask_b32_e32 v2, v11, v0, vcc
	v_cndmask_b32_e64 v0, 0, 1, vcc
	v_lshrrev_b64 v[0:1], v0, v[52:53]
; %bb.3822:                             ;   in Loop: Header=BB6_3175 Depth=4
	s_andn2_saveexec_b64 s[40:41], s[40:41]
; %bb.3823:                             ;   in Loop: Header=BB6_3175 Depth=4
	v_mov_b32_e32 v0, v52
	v_bfe_u32 v2, v52, 23, 1
	v_mov_b32_e32 v1, v53
; %bb.3824:                             ;   in Loop: Header=BB6_3175 Depth=4
	s_or_b64 exec, exec, s[40:41]
	v_lshrrev_b64 v[0:1], 20, v[0:1]
	v_cmp_gt_i32_e32 vcc, 16, v2
	v_cndmask_b32_e32 v1, 0, v1, vcc
	v_cndmask_b32_e32 v0, 7, v0, vcc
	v_cmp_eq_u64_e64 s[40:41], 0, v[0:1]
	v_min_i32_e32 v1, 15, v2
	v_lshlrev_b32_e32 v1, 3, v1
	v_cmp_eq_u32_e32 vcc, 0, v2
	v_and_b32_e32 v1, 0xf8, v1
	v_and_or_b32 v0, v0, 7, v1
	s_and_b64 s[40:41], vcc, s[40:41]
	v_cndmask_b32_e64 v0, v0, 0, s[40:41]
	v_or_b32_e32 v0, v0, v10
.LBB6_3825:                             ;   in Loop: Header=BB6_3175 Depth=4
	s_or_b64 exec, exec, s[46:47]
                                        ; implicit-def: $vgpr10
.LBB6_3826:                             ;   in Loop: Header=BB6_3175 Depth=4
	s_andn2_saveexec_b64 s[40:41], s[44:45]
; %bb.3827:                             ;   in Loop: Header=BB6_3175 Depth=4
	v_or_b32_e32 v0, 0x7e, v10
; %bb.3828:                             ;   in Loop: Header=BB6_3175 Depth=4
	s_or_b64 exec, exec, s[40:41]
                                        ; implicit-def: $vgpr2
.LBB6_3829:                             ;   in Loop: Header=BB6_3175 Depth=4
	s_andn2_saveexec_b64 s[40:41], s[42:43]
	s_cbranch_execz .LBB6_3174
; %bb.3830:                             ;   in Loop: Header=BB6_3175 Depth=4
	v_or_b32_sdwa v0, v2, s83 dst_sel:DWORD dst_unused:UNUSED_PAD src0_sel:BYTE_3 src1_sel:DWORD
	s_branch .LBB6_3174
.LBB6_3831:                             ;   in Loop: Header=BB6_3175 Depth=4
	s_or_saveexec_b64 s[46:47], s[46:47]
	v_bfrev_b32_e32 v2, 1
	s_xor_b64 exec, exec, s[46:47]
	s_cbranch_execz .LBB6_3186
.LBB6_3832:                             ;   in Loop: Header=BB6_3175 Depth=4
	v_cmp_ne_u16_sdwa vcc, v12, v53 src0_sel:BYTE_0 src1_sel:DWORD
	s_andn2_b64 s[44:45], s[44:45], exec
	s_and_b64 vcc, vcc, exec
	v_mov_b32_e32 v2, 0
	s_or_b64 s[44:45], s[44:45], vcc
	s_or_b64 exec, exec, s[46:47]
	s_and_saveexec_b64 s[46:47], s[44:45]
	s_cbranch_execnz .LBB6_3187
	s_branch .LBB6_3188
.LBB6_3833:                             ;   in Loop: Header=BB6_3175 Depth=4
	s_or_saveexec_b64 s[44:45], s[44:45]
	v_bfrev_b32_e32 v2, 1
	s_xor_b64 exec, exec, s[44:45]
	s_cbranch_execz .LBB6_3200
.LBB6_3834:                             ;   in Loop: Header=BB6_3175 Depth=4
	v_cmp_ne_u16_sdwa s[46:47], v12, v53 src0_sel:BYTE_0 src1_sel:DWORD
	s_andn2_b64 s[42:43], s[42:43], exec
	s_and_b64 s[46:47], s[46:47], exec
	v_mov_b32_e32 v2, 0
	s_or_b64 s[42:43], s[42:43], s[46:47]
	s_or_b64 exec, exec, s[44:45]
	s_and_saveexec_b64 s[44:45], s[42:43]
	s_cbranch_execnz .LBB6_3201
	s_branch .LBB6_3202
.LBB6_3835:                             ;   in Loop: Header=BB6_3175 Depth=4
	s_or_saveexec_b64 s[46:47], s[46:47]
	v_bfrev_b32_e32 v3, 1
	s_xor_b64 exec, exec, s[46:47]
	s_cbranch_execz .LBB6_3230
.LBB6_3836:                             ;   in Loop: Header=BB6_3175 Depth=4
	v_cmp_ne_u16_e32 vcc, 0, v52
	s_andn2_b64 s[44:45], s[44:45], exec
	s_and_b64 vcc, vcc, exec
	v_mov_b32_e32 v3, 0
	s_or_b64 s[44:45], s[44:45], vcc
	s_or_b64 exec, exec, s[46:47]
	s_and_saveexec_b64 s[46:47], s[44:45]
	s_cbranch_execnz .LBB6_3231
	s_branch .LBB6_3232
.LBB6_3837:                             ;   in Loop: Header=BB6_3175 Depth=4
	s_or_saveexec_b64 s[44:45], s[44:45]
	v_bfrev_b32_e32 v2, 1
	s_xor_b64 exec, exec, s[44:45]
	s_cbranch_execz .LBB6_3244
.LBB6_3838:                             ;   in Loop: Header=BB6_3175 Depth=4
	v_cmp_ne_u16_e32 vcc, 0, v52
	s_andn2_b64 s[42:43], s[42:43], exec
	s_and_b64 s[46:47], vcc, exec
	v_mov_b32_e32 v2, 0
	s_or_b64 s[42:43], s[42:43], s[46:47]
	s_or_b64 exec, exec, s[44:45]
	s_and_saveexec_b64 s[44:45], s[42:43]
	s_cbranch_execnz .LBB6_3245
	s_branch .LBB6_3246
.LBB6_3839:                             ;   in Loop: Header=BB6_3175 Depth=4
	s_or_saveexec_b64 s[46:47], s[46:47]
	v_bfrev_b32_e32 v5, 1
	s_xor_b64 exec, exec, s[46:47]
	s_cbranch_execz .LBB6_3274
.LBB6_3840:                             ;   in Loop: Header=BB6_3175 Depth=4
	v_cmp_ne_u16_sdwa vcc, v0, v53 src0_sel:BYTE_0 src1_sel:DWORD
	s_andn2_b64 s[44:45], s[44:45], exec
	s_and_b64 vcc, vcc, exec
	v_mov_b32_e32 v5, 0
	s_or_b64 s[44:45], s[44:45], vcc
	s_or_b64 exec, exec, s[46:47]
	s_and_saveexec_b64 s[46:47], s[44:45]
	s_cbranch_execnz .LBB6_3275
	s_branch .LBB6_3276
.LBB6_3841:                             ;   in Loop: Header=BB6_3175 Depth=4
	s_or_saveexec_b64 s[44:45], s[44:45]
	v_bfrev_b32_e32 v2, 1
	s_xor_b64 exec, exec, s[44:45]
	s_cbranch_execz .LBB6_3288
.LBB6_3842:                             ;   in Loop: Header=BB6_3175 Depth=4
	v_cmp_ne_u16_sdwa s[46:47], v0, v53 src0_sel:BYTE_0 src1_sel:DWORD
	s_andn2_b64 s[42:43], s[42:43], exec
	s_and_b64 s[46:47], s[46:47], exec
	v_mov_b32_e32 v2, 0
	s_or_b64 s[42:43], s[42:43], s[46:47]
	s_or_b64 exec, exec, s[44:45]
	s_and_saveexec_b64 s[44:45], s[42:43]
	s_cbranch_execnz .LBB6_3289
	s_branch .LBB6_3290
.LBB6_3843:                             ;   in Loop: Header=BB6_3175 Depth=4
	s_or_saveexec_b64 s[46:47], s[46:47]
	v_bfrev_b32_e32 v5, 1
	s_xor_b64 exec, exec, s[46:47]
	s_cbranch_execz .LBB6_3350
.LBB6_3844:                             ;   in Loop: Header=BB6_3175 Depth=4
	v_cmp_ne_u16_sdwa vcc, v13, v53 src0_sel:BYTE_0 src1_sel:DWORD
	s_andn2_b64 s[44:45], s[44:45], exec
	s_and_b64 vcc, vcc, exec
	v_mov_b32_e32 v5, 0
	s_or_b64 s[44:45], s[44:45], vcc
	s_or_b64 exec, exec, s[46:47]
	s_and_saveexec_b64 s[46:47], s[44:45]
	s_cbranch_execnz .LBB6_3351
	s_branch .LBB6_3352
.LBB6_3845:                             ;   in Loop: Header=BB6_3175 Depth=4
	s_or_saveexec_b64 s[44:45], s[44:45]
	v_bfrev_b32_e32 v3, 1
	s_xor_b64 exec, exec, s[44:45]
	s_cbranch_execz .LBB6_3364
.LBB6_3846:                             ;   in Loop: Header=BB6_3175 Depth=4
	v_cmp_ne_u16_sdwa s[46:47], v13, v53 src0_sel:BYTE_0 src1_sel:DWORD
	s_andn2_b64 s[42:43], s[42:43], exec
	s_and_b64 s[46:47], s[46:47], exec
	v_mov_b32_e32 v3, 0
	s_or_b64 s[42:43], s[42:43], s[46:47]
	s_or_b64 exec, exec, s[44:45]
	s_and_saveexec_b64 s[44:45], s[42:43]
	s_cbranch_execnz .LBB6_3365
	s_branch .LBB6_3366
.LBB6_3847:                             ;   in Loop: Header=BB6_3175 Depth=4
	s_or_saveexec_b64 s[46:47], s[46:47]
	v_bfrev_b32_e32 v5, 1
	s_xor_b64 exec, exec, s[46:47]
	s_cbranch_execz .LBB6_3394
.LBB6_3848:                             ;   in Loop: Header=BB6_3175 Depth=4
	v_cmp_ne_u16_e32 vcc, 0, v52
	s_andn2_b64 s[44:45], s[44:45], exec
	s_and_b64 vcc, vcc, exec
	v_mov_b32_e32 v5, 0
	s_or_b64 s[44:45], s[44:45], vcc
	s_or_b64 exec, exec, s[46:47]
	s_and_saveexec_b64 s[46:47], s[44:45]
	s_cbranch_execnz .LBB6_3395
	s_branch .LBB6_3396
.LBB6_3849:                             ;   in Loop: Header=BB6_3175 Depth=4
	s_or_saveexec_b64 s[44:45], s[44:45]
	v_bfrev_b32_e32 v2, 1
	s_xor_b64 exec, exec, s[44:45]
	s_cbranch_execz .LBB6_3408
.LBB6_3850:                             ;   in Loop: Header=BB6_3175 Depth=4
	v_cmp_ne_u16_e32 vcc, 0, v52
	s_andn2_b64 s[42:43], s[42:43], exec
	s_and_b64 s[46:47], vcc, exec
	v_mov_b32_e32 v2, 0
	s_or_b64 s[42:43], s[42:43], s[46:47]
	s_or_b64 exec, exec, s[44:45]
	s_and_saveexec_b64 s[44:45], s[42:43]
	s_cbranch_execnz .LBB6_3409
	s_branch .LBB6_3410
.LBB6_3851:                             ;   in Loop: Header=BB6_3175 Depth=4
	s_or_saveexec_b64 s[46:47], s[46:47]
	v_bfrev_b32_e32 v5, 1
	s_xor_b64 exec, exec, s[46:47]
	s_cbranch_execz .LBB6_3438
.LBB6_3852:                             ;   in Loop: Header=BB6_3175 Depth=4
	v_cmp_ne_u16_sdwa vcc, v0, v53 src0_sel:BYTE_0 src1_sel:DWORD
	s_andn2_b64 s[44:45], s[44:45], exec
	s_and_b64 vcc, vcc, exec
	v_mov_b32_e32 v5, 0
	s_or_b64 s[44:45], s[44:45], vcc
	s_or_b64 exec, exec, s[46:47]
	s_and_saveexec_b64 s[46:47], s[44:45]
	s_cbranch_execnz .LBB6_3439
	s_branch .LBB6_3440
.LBB6_3853:                             ;   in Loop: Header=BB6_3175 Depth=4
	s_or_saveexec_b64 s[44:45], s[44:45]
	v_bfrev_b32_e32 v2, 1
	s_xor_b64 exec, exec, s[44:45]
	s_cbranch_execz .LBB6_3452
.LBB6_3854:                             ;   in Loop: Header=BB6_3175 Depth=4
	v_cmp_ne_u16_sdwa s[46:47], v0, v53 src0_sel:BYTE_0 src1_sel:DWORD
	s_andn2_b64 s[42:43], s[42:43], exec
	s_and_b64 s[46:47], s[46:47], exec
	v_mov_b32_e32 v2, 0
	s_or_b64 s[42:43], s[42:43], s[46:47]
	s_or_b64 exec, exec, s[44:45]
	s_and_saveexec_b64 s[44:45], s[42:43]
	s_cbranch_execnz .LBB6_3453
	s_branch .LBB6_3454
.LBB6_3855:                             ;   in Loop: Header=BB6_3175 Depth=4
	s_or_saveexec_b64 s[46:47], s[46:47]
	v_bfrev_b32_e32 v2, 1
	s_xor_b64 exec, exec, s[46:47]
	s_cbranch_execz .LBB6_3514
.LBB6_3856:                             ;   in Loop: Header=BB6_3175 Depth=4
	v_cmp_ne_u16_sdwa vcc, v14, v53 src0_sel:BYTE_0 src1_sel:DWORD
	s_andn2_b64 s[44:45], s[44:45], exec
	s_and_b64 vcc, vcc, exec
	v_mov_b32_e32 v2, 0
	s_or_b64 s[44:45], s[44:45], vcc
	s_or_b64 exec, exec, s[46:47]
	s_and_saveexec_b64 s[46:47], s[44:45]
	s_cbranch_execnz .LBB6_3515
	s_branch .LBB6_3516
.LBB6_3857:                             ;   in Loop: Header=BB6_3175 Depth=4
	s_or_saveexec_b64 s[44:45], s[44:45]
	v_bfrev_b32_e32 v2, 1
	s_xor_b64 exec, exec, s[44:45]
	s_cbranch_execz .LBB6_3528
.LBB6_3858:                             ;   in Loop: Header=BB6_3175 Depth=4
	v_cmp_ne_u16_sdwa s[46:47], v14, v53 src0_sel:BYTE_0 src1_sel:DWORD
	s_andn2_b64 s[42:43], s[42:43], exec
	s_and_b64 s[46:47], s[46:47], exec
	v_mov_b32_e32 v2, 0
	s_or_b64 s[42:43], s[42:43], s[46:47]
	s_or_b64 exec, exec, s[44:45]
	s_and_saveexec_b64 s[44:45], s[42:43]
	s_cbranch_execnz .LBB6_3529
	s_branch .LBB6_3530
.LBB6_3859:                             ;   in Loop: Header=BB6_3175 Depth=4
	s_or_saveexec_b64 s[46:47], s[46:47]
	v_bfrev_b32_e32 v3, 1
	s_xor_b64 exec, exec, s[46:47]
	s_cbranch_execz .LBB6_3558
.LBB6_3860:                             ;   in Loop: Header=BB6_3175 Depth=4
	v_cmp_ne_u16_e32 vcc, 0, v52
	s_andn2_b64 s[44:45], s[44:45], exec
	s_and_b64 vcc, vcc, exec
	v_mov_b32_e32 v3, 0
	s_or_b64 s[44:45], s[44:45], vcc
	s_or_b64 exec, exec, s[46:47]
	s_and_saveexec_b64 s[46:47], s[44:45]
	s_cbranch_execnz .LBB6_3559
	s_branch .LBB6_3560
.LBB6_3861:                             ;   in Loop: Header=BB6_3175 Depth=4
	s_or_saveexec_b64 s[44:45], s[44:45]
	v_bfrev_b32_e32 v2, 1
	s_xor_b64 exec, exec, s[44:45]
	s_cbranch_execz .LBB6_3572
.LBB6_3862:                             ;   in Loop: Header=BB6_3175 Depth=4
	v_cmp_ne_u16_e32 vcc, 0, v52
	s_andn2_b64 s[42:43], s[42:43], exec
	s_and_b64 s[46:47], vcc, exec
	v_mov_b32_e32 v2, 0
	s_or_b64 s[42:43], s[42:43], s[46:47]
	s_or_b64 exec, exec, s[44:45]
	s_and_saveexec_b64 s[44:45], s[42:43]
	s_cbranch_execnz .LBB6_3573
	s_branch .LBB6_3574
.LBB6_3863:                             ;   in Loop: Header=BB6_3175 Depth=4
	s_or_saveexec_b64 s[46:47], s[46:47]
	v_bfrev_b32_e32 v5, 1
	s_xor_b64 exec, exec, s[46:47]
	s_cbranch_execz .LBB6_3602
.LBB6_3864:                             ;   in Loop: Header=BB6_3175 Depth=4
	v_cmp_ne_u16_sdwa vcc, v0, v53 src0_sel:BYTE_0 src1_sel:DWORD
	s_andn2_b64 s[44:45], s[44:45], exec
	s_and_b64 vcc, vcc, exec
	v_mov_b32_e32 v5, 0
	s_or_b64 s[44:45], s[44:45], vcc
	s_or_b64 exec, exec, s[46:47]
	s_and_saveexec_b64 s[46:47], s[44:45]
	s_cbranch_execnz .LBB6_3603
	s_branch .LBB6_3604
.LBB6_3865:                             ;   in Loop: Header=BB6_3175 Depth=4
	s_or_saveexec_b64 s[44:45], s[44:45]
	v_bfrev_b32_e32 v2, 1
	s_xor_b64 exec, exec, s[44:45]
	s_cbranch_execz .LBB6_3616
.LBB6_3866:                             ;   in Loop: Header=BB6_3175 Depth=4
	v_cmp_ne_u16_sdwa s[46:47], v0, v53 src0_sel:BYTE_0 src1_sel:DWORD
	s_andn2_b64 s[42:43], s[42:43], exec
	s_and_b64 s[46:47], s[46:47], exec
	v_mov_b32_e32 v2, 0
	s_or_b64 s[42:43], s[42:43], s[46:47]
	s_or_b64 exec, exec, s[44:45]
	s_and_saveexec_b64 s[44:45], s[42:43]
	s_cbranch_execnz .LBB6_3617
	s_branch .LBB6_3618
.LBB6_3867:                             ;   in Loop: Header=BB6_3175 Depth=4
	s_or_saveexec_b64 s[46:47], s[46:47]
	v_bfrev_b32_e32 v3, 1
	s_xor_b64 exec, exec, s[46:47]
	s_cbranch_execz .LBB6_3678
.LBB6_3868:                             ;   in Loop: Header=BB6_3175 Depth=4
	v_cmp_ne_u16_sdwa vcc, v15, v53 src0_sel:BYTE_0 src1_sel:DWORD
	s_andn2_b64 s[44:45], s[44:45], exec
	s_and_b64 vcc, vcc, exec
	v_mov_b32_e32 v3, 0
	s_or_b64 s[44:45], s[44:45], vcc
	s_or_b64 exec, exec, s[46:47]
	s_and_saveexec_b64 s[46:47], s[44:45]
	s_cbranch_execnz .LBB6_3679
	s_branch .LBB6_3680
.LBB6_3869:                             ;   in Loop: Header=BB6_3175 Depth=4
	s_or_saveexec_b64 s[44:45], s[44:45]
	v_bfrev_b32_e32 v3, 1
	s_xor_b64 exec, exec, s[44:45]
	s_cbranch_execz .LBB6_3692
.LBB6_3870:                             ;   in Loop: Header=BB6_3175 Depth=4
	v_cmp_ne_u16_sdwa s[46:47], v15, v53 src0_sel:BYTE_0 src1_sel:DWORD
	s_andn2_b64 s[42:43], s[42:43], exec
	s_and_b64 s[46:47], s[46:47], exec
	v_mov_b32_e32 v3, 0
	s_or_b64 s[42:43], s[42:43], s[46:47]
	s_or_b64 exec, exec, s[44:45]
	s_and_saveexec_b64 s[44:45], s[42:43]
	s_cbranch_execnz .LBB6_3693
	s_branch .LBB6_3694
.LBB6_3871:                             ;   in Loop: Header=BB6_3175 Depth=4
	s_or_saveexec_b64 s[46:47], s[46:47]
	v_bfrev_b32_e32 v3, 1
	s_xor_b64 exec, exec, s[46:47]
	s_cbranch_execz .LBB6_3722
.LBB6_3872:                             ;   in Loop: Header=BB6_3175 Depth=4
	v_cmp_ne_u16_e32 vcc, 0, v2
	s_andn2_b64 s[44:45], s[44:45], exec
	s_and_b64 vcc, vcc, exec
	v_mov_b32_e32 v3, 0
	s_or_b64 s[44:45], s[44:45], vcc
	s_or_b64 exec, exec, s[46:47]
	s_and_saveexec_b64 s[46:47], s[44:45]
	s_cbranch_execnz .LBB6_3723
	s_branch .LBB6_3724
.LBB6_3873:                             ;   in Loop: Header=BB6_3175 Depth=4
	s_or_saveexec_b64 s[44:45], s[44:45]
	v_bfrev_b32_e32 v3, 1
	s_xor_b64 exec, exec, s[44:45]
	s_cbranch_execz .LBB6_3736
.LBB6_3874:                             ;   in Loop: Header=BB6_3175 Depth=4
	v_cmp_ne_u16_e32 vcc, 0, v2
	s_andn2_b64 s[42:43], s[42:43], exec
	s_and_b64 s[46:47], vcc, exec
	v_mov_b32_e32 v3, 0
	s_or_b64 s[42:43], s[42:43], s[46:47]
	s_or_b64 exec, exec, s[44:45]
	s_and_saveexec_b64 s[44:45], s[42:43]
	s_cbranch_execnz .LBB6_3737
	s_branch .LBB6_3738
.LBB6_3875:                             ;   in Loop: Header=BB6_3175 Depth=4
	s_or_saveexec_b64 s[46:47], s[46:47]
	v_bfrev_b32_e32 v34, 1
	s_xor_b64 exec, exec, s[46:47]
	s_cbranch_execz .LBB6_3766
.LBB6_3876:                             ;   in Loop: Header=BB6_3175 Depth=4
	v_cmp_ne_u16_sdwa vcc, v0, v53 src0_sel:BYTE_0 src1_sel:DWORD
	s_andn2_b64 s[44:45], s[44:45], exec
	s_and_b64 vcc, vcc, exec
	v_mov_b32_e32 v34, 0
	s_or_b64 s[44:45], s[44:45], vcc
	s_or_b64 exec, exec, s[46:47]
	s_and_saveexec_b64 s[46:47], s[44:45]
	s_cbranch_execnz .LBB6_3767
	s_branch .LBB6_3768
.LBB6_3877:                             ;   in Loop: Header=BB6_3175 Depth=4
	s_or_saveexec_b64 s[44:45], s[44:45]
	v_bfrev_b32_e32 v2, 1
	s_xor_b64 exec, exec, s[44:45]
	s_cbranch_execz .LBB6_3780
.LBB6_3878:                             ;   in Loop: Header=BB6_3175 Depth=4
	v_cmp_ne_u16_sdwa s[46:47], v0, v53 src0_sel:BYTE_0 src1_sel:DWORD
	s_andn2_b64 s[42:43], s[42:43], exec
	s_and_b64 s[46:47], s[46:47], exec
	v_mov_b32_e32 v2, 0
	s_or_b64 s[42:43], s[42:43], s[46:47]
	s_or_b64 exec, exec, s[44:45]
	s_and_saveexec_b64 s[44:45], s[42:43]
	s_cbranch_execnz .LBB6_3781
	s_branch .LBB6_3782
.LBB6_3879:                             ;   in Loop: Header=BB6_272 Depth=3
	s_or_b64 exec, exec, s[50:51]
.LBB6_3880:                             ;   in Loop: Header=BB6_272 Depth=3
	s_or_b64 exec, exec, s[48:49]
	v_and_b32_e32 v0, 15, v50
	v_cmp_lt_i32_e32 vcc, 0, v24
	v_sub_u32_e32 v1, v23, v0
	v_cndmask_b32_e64 v5, v23, v0, s[28:29]
	v_cndmask_b32_e32 v0, 0, v48, vcc
	v_cndmask_b32_e64 v1, 0, v1, s[28:29]
	v_sub_u32_e32 v0, v0, v24
	v_cmp_ne_u32_e32 vcc, 0, v5
	v_add3_u32 v3, v22, v4, v1
	v_lshl_add_u32 v2, v0, 6, v7
	s_and_b64 s[28:29], vcc, exec
.LBB6_3881:                             ;   in Loop: Header=BB6_272 Depth=3
	s_or_b64 exec, exec, s[38:39]
	s_and_saveexec_b64 s[44:45], s[28:29]
	s_cbranch_execz .LBB6_5474
.LBB6_3882:                             ;   in Loop: Header=BB6_272 Depth=3
	s_waitcnt vmcnt(0)
	v_ashrrev_i32_e32 v0, 31, v2
	v_ashrrev_i32_e32 v1, 31, v5
	v_lshrrev_b32_e32 v0, 26, v0
	v_lshrrev_b32_e32 v1, 21, v1
	v_add_u32_e32 v0, v2, v0
	v_add_u32_e32 v1, v5, v1
	v_ashrrev_i32_e32 v4, 6, v0
	v_ashrrev_i32_e32 v1, 11, v1
	v_sub_u32_e32 v7, v1, v4
	v_cmp_lt_i32_e32 vcc, 0, v7
	s_and_saveexec_b64 s[42:43], vcc
	s_cbranch_execz .LBB6_5422
; %bb.3883:                             ;   in Loop: Header=BB6_272 Depth=3
	v_and_b32_e32 v0, 0xffffffc0, v0
	buffer_store_dword v1, off, s[0:3], s33 offset:320 ; 4-byte Folded Spill
	buffer_store_dword v5, off, s[0:3], s33 offset:172 ; 4-byte Folded Spill
	;; [unrolled: 1-line block ×5, first 2 shown]
	s_nop 0
	buffer_store_dword v50, off, s[0:3], s33 offset:288 ; 4-byte Folded Spill
	v_sub_u32_e32 v0, v2, v0
	v_lshlrev_b32_e32 v1, 11, v4
	buffer_store_dword v2, off, s[0:3], s33 offset:176 ; 4-byte Folded Spill
	buffer_store_dword v4, off, s[0:3], s33 offset:180 ; 4-byte Folded Spill
	buffer_store_dword v3, off, s[0:3], s33 offset:168 ; 4-byte Folded Spill
	v_add3_u32 v2, v3, v0, v1
	s_trap 2
	ds_read_b64 v[0:1], v0
	v_ashrrev_i32_e32 v3, 31, v2
	v_add_co_u32_e32 v8, vcc, v2, v42
	v_addc_co_u32_e32 v9, vcc, v3, v43, vcc
	s_waitcnt lgkmcnt(0)
	v_add_co_u32_e32 v10, vcc, v0, v2
	v_addc_co_u32_e32 v11, vcc, v1, v3, vcc
	v_add_co_u32_e32 v0, vcc, 0x7c0, v40
	v_addc_co_u32_e32 v1, vcc, 0, v41, vcc
	s_bitcmp1_b32 s87, 0
	v_add_co_u32_e32 v12, vcc, v0, v2
	s_cselect_b64 s[46:47], -1, 0
	v_addc_co_u32_e32 v13, vcc, v1, v3, vcc
	s_mov_b64 s[38:39], 0
	s_branch .LBB6_3885
.LBB6_3884:                             ;   in Loop: Header=BB6_3885 Depth=4
	s_or_b64 exec, exec, s[28:29]
	v_add_co_u32_e32 v28, vcc, 0xfffff840, v12
	v_addc_co_u32_e32 v29, vcc, -1, v13, vcc
	flat_store_byte v[28:29], v39 glc slc
	v_add_co_u32_e32 v28, vcc, 0xfffff880, v12
	v_addc_co_u32_e32 v29, vcc, -1, v13, vcc
	flat_store_byte v[28:29], v37 glc slc
	;; [unrolled: 3-line block ×17, first 2 shown]
	v_add_co_u32_e32 v4, vcc, 0xfffffc80, v12
	v_addc_co_u32_e32 v5, vcc, -1, v13, vcc
	v_add_co_u32_e32 v2, vcc, 0xfffffcc0, v12
	flat_store_byte v[4:5], v3 glc slc
	v_addc_co_u32_e32 v3, vcc, -1, v13, vcc
	flat_store_byte v[2:3], v14 glc slc
	v_add_co_u32_e32 v2, vcc, 0xfffffd00, v12
	v_addc_co_u32_e32 v3, vcc, -1, v13, vcc
	flat_store_byte v[2:3], v17 glc slc
	v_add_co_u32_e32 v2, vcc, 0xfffffd40, v12
	;; [unrolled: 3-line block ×12, first 2 shown]
	v_addc_co_u32_e32 v3, vcc, -1, v13, vcc
	flat_store_byte v[2:3], v24 glc slc
	flat_store_byte v[12:13], v1 glc slc
	buffer_load_dword v0, off, s[0:3], s33 offset:184 ; 4-byte Folded Reload
	s_waitcnt vmcnt(0)
	v_sub_u32_e32 v7, v7, v48
	v_add_co_u32_e32 v8, vcc, v8, v0
	v_addc_co_u32_e32 v9, vcc, 0, v9, vcc
	v_add_co_u32_e32 v10, vcc, v10, v0
	v_addc_co_u32_e32 v11, vcc, 0, v11, vcc
	v_cmp_gt_i32_e32 vcc, 1, v7
	s_or_b64 s[38:39], vcc, s[38:39]
	v_add_co_u32_e32 v12, vcc, v12, v0
	v_addc_co_u32_e32 v13, vcc, 0, v13, vcc
	s_andn2_b64 exec, exec, s[38:39]
	s_cbranch_execz .LBB6_5421
.LBB6_3885:                             ;   Parent Loop BB6_47 Depth=1
                                        ;     Parent Loop BB6_269 Depth=2
                                        ;       Parent Loop BB6_272 Depth=3
                                        ; =>      This Inner Loop Header: Depth=4
	flat_load_ubyte v2, v[8:9] glc slc
	flat_load_ubyte v31, v[8:9] offset:64 glc slc
	flat_load_ubyte v28, v[8:9] offset:128 glc slc
	;; [unrolled: 1-line block ×17, first 2 shown]
	s_mov_b64 s[40:41], -1
	s_and_b64 vcc, exec, s[46:47]
	s_waitcnt vmcnt(0) lgkmcnt(0)
	v_cmp_ne_u16_e64 s[28:29], 0, v2
	buffer_store_dword v0, off, s[0:3], s33 offset:164 ; 4-byte Folded Spill
	flat_load_ubyte v0, v[8:9] offset:1152 glc slc
	s_waitcnt vmcnt(0) lgkmcnt(0)
	buffer_store_dword v0, off, s[0:3], s33 offset:156 ; 4-byte Folded Spill
	flat_load_ubyte v0, v[8:9] offset:1216 glc slc
	s_waitcnt vmcnt(0) lgkmcnt(0)
	;; [unrolled: 3-line block ×3, first 2 shown]
	buffer_store_dword v0, off, s[0:3], s33 offset:96 ; 4-byte Folded Spill
	flat_load_ubyte v61, v[8:9] offset:1344 glc slc
	s_nop 0
	flat_load_ubyte v0, v[8:9] offset:1408 glc slc
	s_waitcnt vmcnt(0) lgkmcnt(0)
	buffer_store_dword v0, off, s[0:3], s33 offset:144 ; 4-byte Folded Spill
	flat_load_ubyte v0, v[8:9] offset:1472 glc slc
	s_waitcnt vmcnt(0) lgkmcnt(0)
	buffer_store_dword v0, off, s[0:3], s33 offset:160 ; 4-byte Folded Spill
	flat_load_ubyte v40, v[8:9] offset:1536 glc slc
	s_nop 0
	flat_load_ubyte v0, v[8:9] offset:1600 glc slc
	s_waitcnt vmcnt(0) lgkmcnt(0)
	buffer_store_dword v0, off, s[0:3], s33 offset:148 ; 4-byte Folded Spill
	flat_load_ubyte v0, v[8:9] offset:1664 glc slc
	s_waitcnt vmcnt(0) lgkmcnt(0)
	buffer_store_dword v0, off, s[0:3], s33 offset:136 ; 4-byte Folded Spill
	;; [unrolled: 3-line block ×6, first 2 shown]
	flat_load_ubyte v50, v[8:9] offset:1984 glc slc
	flat_load_ubyte v1, v[10:11] glc slc
	flat_load_ubyte v30, v[10:11] offset:64 glc slc
	flat_load_ubyte v27, v[10:11] offset:128 glc slc
	;; [unrolled: 1-line block ×25, first 2 shown]
	s_waitcnt vmcnt(0) lgkmcnt(0)
	buffer_store_dword v0, off, s[0:3], s33 offset:140 ; 4-byte Folded Spill
	flat_load_ubyte v0, v[10:11] offset:1664 glc slc
	s_waitcnt vmcnt(0) lgkmcnt(0)
	buffer_store_dword v0, off, s[0:3], s33 offset:132 ; 4-byte Folded Spill
	flat_load_ubyte v0, v[10:11] offset:1728 glc slc
	;; [unrolled: 3-line block ×3, first 2 shown]
	s_nop 0
	flat_load_ubyte v0, v[10:11] offset:1856 glc slc
	flat_load_ubyte v51, v[10:11] offset:1984 glc slc
	s_waitcnt vmcnt(0) lgkmcnt(0)
	buffer_store_dword v0, off, s[0:3], s33 offset:112 ; 4-byte Folded Spill
	flat_load_ubyte v0, v[10:11] offset:1920 glc slc
	s_waitcnt vmcnt(0) lgkmcnt(0)
	buffer_store_dword v0, off, s[0:3], s33 offset:104 ; 4-byte Folded Spill
                                        ; implicit-def: $vgpr0
	s_cbranch_vccz .LBB6_3899
; %bb.3886:                             ;   in Loop: Header=BB6_3885 Depth=4
	v_mov_b32_e32 v33, 0
	v_mov_b32_e32 v52, 0
	s_and_saveexec_b64 s[40:41], s[28:29]
	s_cbranch_execz .LBB6_3892
; %bb.3887:                             ;   in Loop: Header=BB6_3885 Depth=4
	v_cmp_ne_u16_e32 vcc, s82, v2
	v_bfrev_b32_e32 v52, 1
	s_and_saveexec_b64 s[48:49], vcc
	s_cbranch_execz .LBB6_3891
; %bb.3888:                             ;   in Loop: Header=BB6_3885 Depth=4
	v_and_b32_e32 v0, 0xffff, v2
	v_and_b32_e32 v34, 0x7f, v0
	v_cmp_ne_u32_e32 vcc, s83, v34
	v_mov_b32_e32 v52, 0x7f800001
	s_and_saveexec_b64 s[50:51], vcc
	s_cbranch_execz .LBB6_3890
; %bb.3889:                             ;   in Loop: Header=BB6_3885 Depth=4
	v_mov_b32_e32 v39, v50
	v_and_b32_e32 v50, 7, v0
	v_mov_b32_e32 v52, v51
	v_lshrrev_b32_e32 v51, 3, v34
	v_cmp_gt_u32_e32 vcc, 8, v34
	v_ffbh_u32_e32 v34, v50
	v_min_u32_e32 v34, 32, v34
	v_subrev_u32_e32 v36, 28, v34
	v_lshlrev_b64 v[36:37], v36, v[0:1]
	v_sub_u32_e32 v0, 29, v34
	v_and_b32_e32 v34, 7, v36
	v_cndmask_b32_e32 v0, v51, v0, vcc
	v_cndmask_b32_e32 v34, v50, v34, vcc
	v_lshlrev_b32_e32 v36, 24, v2
	v_bfrev_b32_e32 v37, 60
	v_lshlrev_b32_e32 v34, 20, v34
	v_and_b32_e32 v36, 0x80000000, v36
	v_lshl_add_u32 v0, v0, 23, v37
	v_mov_b32_e32 v51, v52
	v_mov_b32_e32 v50, v39
	v_or3_b32 v52, v36, v0, v34
.LBB6_3890:                             ;   in Loop: Header=BB6_3885 Depth=4
	s_or_b64 exec, exec, s[50:51]
.LBB6_3891:                             ;   in Loop: Header=BB6_3885 Depth=4
	s_or_b64 exec, exec, s[48:49]
.LBB6_3892:                             ;   in Loop: Header=BB6_3885 Depth=4
	s_or_b64 exec, exec, s[40:41]
	v_and_b32_e32 v0, 0xff, v1
	v_cmp_ne_u16_e32 vcc, 0, v0
	s_and_saveexec_b64 s[40:41], vcc
	s_cbranch_execz .LBB6_3898
; %bb.3893:                             ;   in Loop: Header=BB6_3885 Depth=4
	v_cmp_ne_u16_e32 vcc, s82, v0
	v_bfrev_b32_e32 v33, 1
	s_and_saveexec_b64 s[48:49], vcc
	s_cbranch_execz .LBB6_3897
; %bb.3894:                             ;   in Loop: Header=BB6_3885 Depth=4
	v_and_b32_e32 v34, 0x7f, v1
	v_cmp_ne_u32_e32 vcc, s83, v34
	v_mov_b32_e32 v33, 0x7f800001
	s_and_saveexec_b64 s[50:51], vcc
	s_cbranch_execz .LBB6_3896
; %bb.3895:                             ;   in Loop: Header=BB6_3885 Depth=4
	v_and_b32_e32 v36, 7, v0
	v_ffbh_u32_e32 v33, v36
	v_mov_b32_e32 v39, v50
	v_min_u32_e32 v50, 32, v33
	v_subrev_u32_e32 v33, 28, v50
	v_lshrrev_b32_e32 v37, 3, v34
	v_cmp_gt_u32_e32 vcc, 8, v34
	v_lshlrev_b64 v[33:34], v33, v[0:1]
	v_sub_u32_e32 v0, 29, v50
	v_and_b32_e32 v33, 7, v33
	v_cndmask_b32_e32 v0, v37, v0, vcc
	v_cndmask_b32_e32 v33, v36, v33, vcc
	v_lshlrev_b32_e32 v34, 24, v1
	v_bfrev_b32_e32 v36, 60
	v_lshlrev_b32_e32 v33, 20, v33
	v_and_b32_e32 v34, 0x80000000, v34
	v_lshl_add_u32 v0, v0, 23, v36
	v_mov_b32_e32 v50, v39
	v_or3_b32 v33, v34, v0, v33
.LBB6_3896:                             ;   in Loop: Header=BB6_3885 Depth=4
	s_or_b64 exec, exec, s[50:51]
.LBB6_3897:                             ;   in Loop: Header=BB6_3885 Depth=4
	s_or_b64 exec, exec, s[48:49]
.LBB6_3898:                             ;   in Loop: Header=BB6_3885 Depth=4
	s_or_b64 exec, exec, s[40:41]
	v_max_f32_e32 v0, v33, v33
	v_max_f32_e32 v33, v52, v52
	;; [unrolled: 1-line block ×3, first 2 shown]
	s_mov_b64 s[40:41], 0
.LBB6_3899:                             ;   in Loop: Header=BB6_3885 Depth=4
	s_and_b64 vcc, exec, s[40:41]
	s_cbranch_vccz .LBB6_3913
; %bb.3900:                             ;   in Loop: Header=BB6_3885 Depth=4
	v_mov_b32_e32 v33, 0
	v_mov_b32_e32 v52, 0
	s_and_saveexec_b64 s[40:41], s[28:29]
	s_cbranch_execz .LBB6_3906
; %bb.3901:                             ;   in Loop: Header=BB6_3885 Depth=4
	v_cmp_ne_u16_e32 vcc, s82, v2
	v_bfrev_b32_e32 v52, 1
	s_and_saveexec_b64 s[28:29], vcc
	s_cbranch_execz .LBB6_3905
; %bb.3902:                             ;   in Loop: Header=BB6_3885 Depth=4
	v_and_b32_e32 v0, 0xffff, v2
	v_and_b32_e32 v34, 0x7f, v0
	v_cmp_ne_u32_e32 vcc, s83, v34
	v_mov_b32_e32 v52, 0x7f800001
	s_and_saveexec_b64 s[48:49], vcc
	s_cbranch_execz .LBB6_3904
; %bb.3903:                             ;   in Loop: Header=BB6_3885 Depth=4
	v_mov_b32_e32 v39, v50
	v_and_b32_e32 v50, 7, v0
	v_mov_b32_e32 v52, v51
	v_lshrrev_b32_e32 v51, 3, v34
	v_cmp_gt_u32_e32 vcc, 8, v34
	v_ffbh_u32_e32 v34, v50
	v_min_u32_e32 v34, 32, v34
	v_subrev_u32_e32 v36, 28, v34
	v_lshlrev_b64 v[36:37], v36, v[0:1]
	v_sub_u32_e32 v0, 29, v34
	v_and_b32_e32 v34, 7, v36
	v_cndmask_b32_e32 v0, v51, v0, vcc
	v_cndmask_b32_e32 v34, v50, v34, vcc
	v_lshlrev_b32_e32 v2, 24, v2
	v_bfrev_b32_e32 v36, 60
	v_lshlrev_b32_e32 v34, 20, v34
	v_and_b32_e32 v2, 0x80000000, v2
	v_lshl_add_u32 v0, v0, 23, v36
	v_mov_b32_e32 v51, v52
	v_mov_b32_e32 v50, v39
	v_or3_b32 v52, v2, v0, v34
.LBB6_3904:                             ;   in Loop: Header=BB6_3885 Depth=4
	s_or_b64 exec, exec, s[48:49]
.LBB6_3905:                             ;   in Loop: Header=BB6_3885 Depth=4
	s_or_b64 exec, exec, s[28:29]
.LBB6_3906:                             ;   in Loop: Header=BB6_3885 Depth=4
	s_or_b64 exec, exec, s[40:41]
	v_and_b32_e32 v0, 0xff, v1
	v_cmp_ne_u16_e32 vcc, 0, v0
	s_and_saveexec_b64 s[28:29], vcc
	s_cbranch_execz .LBB6_3912
; %bb.3907:                             ;   in Loop: Header=BB6_3885 Depth=4
	v_cmp_ne_u16_e32 vcc, s82, v0
	v_bfrev_b32_e32 v33, 1
	s_and_saveexec_b64 s[40:41], vcc
	s_cbranch_execz .LBB6_3911
; %bb.3908:                             ;   in Loop: Header=BB6_3885 Depth=4
	v_and_b32_e32 v2, 0x7f, v1
	v_cmp_ne_u32_e32 vcc, s83, v2
	v_mov_b32_e32 v33, 0x7f800001
	s_and_saveexec_b64 s[48:49], vcc
	s_cbranch_execz .LBB6_3910
; %bb.3909:                             ;   in Loop: Header=BB6_3885 Depth=4
	v_and_b32_e32 v36, 7, v0
	v_lshrrev_b32_e32 v37, 3, v2
	v_cmp_gt_u32_e32 vcc, 8, v2
	v_ffbh_u32_e32 v2, v36
	v_min_u32_e32 v2, 32, v2
	v_subrev_u32_e32 v33, 28, v2
	v_lshlrev_b64 v[33:34], v33, v[0:1]
	v_sub_u32_e32 v0, 29, v2
	v_and_b32_e32 v2, 7, v33
	v_cndmask_b32_e32 v0, v37, v0, vcc
	v_cndmask_b32_e32 v2, v36, v2, vcc
	v_lshlrev_b32_e32 v1, 24, v1
	v_bfrev_b32_e32 v33, 60
	v_lshlrev_b32_e32 v2, 20, v2
	v_and_b32_e32 v1, 0x80000000, v1
	v_lshl_add_u32 v0, v0, 23, v33
	v_or3_b32 v33, v1, v0, v2
.LBB6_3910:                             ;   in Loop: Header=BB6_3885 Depth=4
	s_or_b64 exec, exec, s[48:49]
.LBB6_3911:                             ;   in Loop: Header=BB6_3885 Depth=4
	s_or_b64 exec, exec, s[40:41]
.LBB6_3912:                             ;   in Loop: Header=BB6_3885 Depth=4
	s_or_b64 exec, exec, s[28:29]
	v_max_f32_e32 v0, v33, v33
	v_max_f32_e32 v1, v52, v52
	v_min_f32_e32 v0, v1, v0
.LBB6_3913:                             ;   in Loop: Header=BB6_3885 Depth=4
	v_and_b32_e32 v52, 0x7f800000, v0
	v_cmp_ne_u64_e32 vcc, s[76:77], v[52:53]
                                        ; implicit-def: $vgpr39
	s_and_saveexec_b64 s[28:29], vcc
	s_xor_b64 s[40:41], exec, s[28:29]
	s_cbranch_execz .LBB6_3931
; %bb.3914:                             ;   in Loop: Header=BB6_3885 Depth=4
	v_and_b32_e32 v52, 0x7fffffff, v0
	v_cmp_gt_u64_e32 vcc, s[78:79], v[52:53]
	v_and_b32_sdwa v33, v0, s82 dst_sel:DWORD dst_unused:UNUSED_PAD src0_sel:BYTE_3 src1_sel:DWORD
                                        ; implicit-def: $vgpr39
	s_and_saveexec_b64 s[28:29], vcc
	s_xor_b64 s[48:49], exec, s[28:29]
	s_cbranch_execz .LBB6_3928
; %bb.3915:                             ;   in Loop: Header=BB6_3885 Depth=4
	v_cmp_ne_u32_e32 vcc, 0, v0
	v_mov_b32_e32 v39, 0
	s_and_saveexec_b64 s[50:51], vcc
	s_cbranch_execz .LBB6_3927
; %bb.3916:                             ;   in Loop: Header=BB6_3885 Depth=4
	v_bfe_u32 v34, v0, 23, 8
	v_and_b32_e32 v1, 0x7fffff, v0
	v_cmp_gt_u32_e64 s[28:29], s85, v34
	v_sub_u32_e32 v0, 0x79, v34
	v_cmp_eq_u32_e32 vcc, 0, v34
	v_cndmask_b32_e64 v0, 0, v0, s[28:29]
	v_mov_b32_e32 v36, 0x78
	v_cndmask_b32_e32 v36, v0, v36, vcc
	v_or_b32_e32 v2, 0x800000, v1
	v_add_u32_e32 v0, 20, v36
	v_cndmask_b32_e32 v52, v2, v1, vcc
	v_lshlrev_b64 v[0:1], v0, -1
	v_add_u32_e32 v2, 19, v36
	v_mov_b32_e32 v39, v50
	v_mov_b32_e32 v37, v51
	v_lshlrev_b64 v[50:51], v2, 1
	v_bfi_b32 v1, v1, 0, 0
	v_bfi_b32 v0, v0, 0, v52
	v_cmp_eq_u64_e64 s[28:29], v[0:1], v[50:51]
	v_lshrrev_b64 v[0:1], v36, v[52:53]
	v_mov_b32_e32 v2, v1
	v_mov_b32_e32 v1, v0
	s_and_saveexec_b64 s[52:53], s[28:29]
; %bb.3917:                             ;   in Loop: Header=BB6_3885 Depth=4
	v_bfe_u32 v1, v0, 20, 1
	v_add_co_u32_e64 v1, s[28:29], v0, v1
	v_add_co_u32_e64 v1, s[28:29], -1, v1
; %bb.3918:                             ;   in Loop: Header=BB6_3885 Depth=4
	s_or_b64 exec, exec, s[52:53]
	v_add_u32_e32 v2, 0xffffff81, v34
	v_mov_b32_e32 v34, 0xffffff82
	v_cndmask_b32_e32 v2, v2, v34, vcc
	v_lshrrev_b32_e32 v34, 23, v0
	v_add3_u32 v36, v36, v2, v34
	v_add_u32_e32 v34, 6, v36
	v_and_b32_e32 v1, 0xfffff, v1
	v_add_u32_e32 v52, v1, v0
	v_cmp_ne_u32_e32 vcc, 0, v34
                                        ; implicit-def: $vgpr0_vgpr1
                                        ; implicit-def: $vgpr2
	s_and_saveexec_b64 s[28:29], vcc
	s_xor_b64 s[28:29], exec, s[28:29]
; %bb.3919:                             ;   in Loop: Header=BB6_3885 Depth=4
	v_cmp_lt_u64_e32 vcc, s[88:89], v[52:53]
	v_add_u32_e32 v0, 7, v36
	v_cndmask_b32_e32 v2, v34, v0, vcc
	v_cndmask_b32_e64 v0, 0, 1, vcc
	v_lshrrev_b64 v[0:1], v0, v[52:53]
; %bb.3920:                             ;   in Loop: Header=BB6_3885 Depth=4
	s_or_saveexec_b64 s[28:29], s[28:29]
	v_mov_b32_e32 v51, v37
	v_mov_b32_e32 v50, v39
	s_xor_b64 exec, exec, s[28:29]
; %bb.3921:                             ;   in Loop: Header=BB6_3885 Depth=4
	v_mov_b32_e32 v0, v52
	v_bfe_u32 v2, v52, 23, 1
	v_mov_b32_e32 v1, v53
; %bb.3922:                             ;   in Loop: Header=BB6_3885 Depth=4
	s_or_b64 exec, exec, s[28:29]
	v_lshrrev_b64 v[0:1], 20, v[0:1]
	v_cmp_gt_i32_e32 vcc, 16, v2
	v_cndmask_b32_e32 v1, 0, v1, vcc
	v_cndmask_b32_e32 v0, 7, v0, vcc
	v_cmp_ne_u64_e32 vcc, 0, v[0:1]
	v_cmp_ne_u32_e64 s[28:29], 0, v2
	s_or_b64 s[28:29], s[28:29], vcc
                                        ; implicit-def: $vgpr39
	s_and_saveexec_b64 vcc, s[28:29]
	s_xor_b64 s[28:29], exec, vcc
; %bb.3923:                             ;   in Loop: Header=BB6_3885 Depth=4
	v_min_i32_e32 v1, 15, v2
	v_lshl_or_b32 v1, v1, 3, v33
	v_and_or_b32 v39, v0, 7, v1
                                        ; implicit-def: $vgpr33
; %bb.3924:                             ;   in Loop: Header=BB6_3885 Depth=4
	s_andn2_saveexec_b64 s[28:29], s[28:29]
; %bb.3925:                             ;   in Loop: Header=BB6_3885 Depth=4
	v_mov_b32_e32 v39, v33
; %bb.3926:                             ;   in Loop: Header=BB6_3885 Depth=4
	s_or_b64 exec, exec, s[28:29]
.LBB6_3927:                             ;   in Loop: Header=BB6_3885 Depth=4
	s_or_b64 exec, exec, s[50:51]
                                        ; implicit-def: $vgpr33
.LBB6_3928:                             ;   in Loop: Header=BB6_3885 Depth=4
	s_andn2_saveexec_b64 s[28:29], s[48:49]
; %bb.3929:                             ;   in Loop: Header=BB6_3885 Depth=4
	v_or_b32_e32 v39, 0x7e, v33
; %bb.3930:                             ;   in Loop: Header=BB6_3885 Depth=4
	s_or_b64 exec, exec, s[28:29]
                                        ; implicit-def: $vgpr0
.LBB6_3931:                             ;   in Loop: Header=BB6_3885 Depth=4
	s_andn2_saveexec_b64 s[28:29], s[40:41]
; %bb.3932:                             ;   in Loop: Header=BB6_3885 Depth=4
	v_or_b32_sdwa v39, v0, s83 dst_sel:DWORD dst_unused:UNUSED_PAD src0_sel:BYTE_3 src1_sel:DWORD
; %bb.3933:                             ;   in Loop: Header=BB6_3885 Depth=4
	s_or_b64 exec, exec, s[28:29]
	v_and_b32_e32 v0, 0xff, v31
	v_cndmask_b32_e64 v1, 0, 1, s[46:47]
	v_cmp_ne_u16_e64 s[40:41], 0, v0
	v_cmp_ne_u32_e64 s[28:29], 1, v1
	s_andn2_b64 vcc, exec, s[46:47]
	s_mov_b64 s[48:49], -1
                                        ; implicit-def: $vgpr1
	s_cbranch_vccnz .LBB6_3947
; %bb.3934:                             ;   in Loop: Header=BB6_3885 Depth=4
	v_mov_b32_e32 v33, 0
	v_mov_b32_e32 v2, 0
	s_and_saveexec_b64 s[48:49], s[40:41]
	s_cbranch_execz .LBB6_3940
; %bb.3935:                             ;   in Loop: Header=BB6_3885 Depth=4
	v_cmp_ne_u16_e32 vcc, s82, v0
	v_bfrev_b32_e32 v2, 1
	s_and_saveexec_b64 s[50:51], vcc
	s_cbranch_execz .LBB6_3939
; %bb.3936:                             ;   in Loop: Header=BB6_3885 Depth=4
	v_and_b32_e32 v1, 0x7f, v31
	v_cmp_ne_u32_e32 vcc, s83, v1
	v_mov_b32_e32 v2, 0x7f800001
	s_and_saveexec_b64 s[52:53], vcc
	s_cbranch_execz .LBB6_3938
; %bb.3937:                             ;   in Loop: Header=BB6_3885 Depth=4
	v_and_b32_e32 v34, 7, v0
	v_lshrrev_b32_e32 v36, 3, v1
	v_cmp_gt_u32_e32 vcc, 8, v1
	v_ffbh_u32_e32 v1, v34
	v_min_u32_e32 v37, 32, v1
	v_subrev_u32_e32 v1, 28, v37
	v_lshlrev_b64 v[1:2], v1, v[0:1]
	v_sub_u32_e32 v2, 29, v37
	v_and_b32_e32 v1, 7, v1
	v_cndmask_b32_e32 v2, v36, v2, vcc
	v_cndmask_b32_e32 v1, v34, v1, vcc
	v_lshlrev_b32_e32 v34, 24, v31
	v_bfrev_b32_e32 v36, 60
	v_lshlrev_b32_e32 v1, 20, v1
	v_and_b32_e32 v34, 0x80000000, v34
	v_lshl_add_u32 v2, v2, 23, v36
	v_or3_b32 v2, v34, v2, v1
.LBB6_3938:                             ;   in Loop: Header=BB6_3885 Depth=4
	s_or_b64 exec, exec, s[52:53]
.LBB6_3939:                             ;   in Loop: Header=BB6_3885 Depth=4
	s_or_b64 exec, exec, s[50:51]
.LBB6_3940:                             ;   in Loop: Header=BB6_3885 Depth=4
	s_or_b64 exec, exec, s[48:49]
	v_and_b32_e32 v1, 0xff, v30
	v_cmp_ne_u16_e32 vcc, 0, v1
	s_and_saveexec_b64 s[48:49], vcc
	s_cbranch_execz .LBB6_3946
; %bb.3941:                             ;   in Loop: Header=BB6_3885 Depth=4
	v_cmp_ne_u16_e32 vcc, s82, v1
	v_bfrev_b32_e32 v33, 1
	s_and_saveexec_b64 s[50:51], vcc
	s_cbranch_execz .LBB6_3945
; %bb.3942:                             ;   in Loop: Header=BB6_3885 Depth=4
	v_and_b32_e32 v34, 0x7f, v30
	v_cmp_ne_u32_e32 vcc, s83, v34
	v_mov_b32_e32 v33, 0x7f800001
	s_and_saveexec_b64 s[52:53], vcc
	s_cbranch_execz .LBB6_3944
; %bb.3943:                             ;   in Loop: Header=BB6_3885 Depth=4
	v_and_b32_e32 v36, 7, v1
	v_ffbh_u32_e32 v33, v36
	v_mov_b32_e32 v52, v39
	v_mov_b32_e32 v39, v50
	v_min_u32_e32 v50, 32, v33
	v_subrev_u32_e32 v33, 28, v50
	v_lshrrev_b32_e32 v37, 3, v34
	v_cmp_gt_u32_e32 vcc, 8, v34
	v_lshlrev_b64 v[33:34], v33, v[1:2]
	v_sub_u32_e32 v1, 29, v50
	v_and_b32_e32 v33, 7, v33
	v_cndmask_b32_e32 v1, v37, v1, vcc
	v_cndmask_b32_e32 v33, v36, v33, vcc
	v_lshlrev_b32_e32 v34, 24, v30
	v_bfrev_b32_e32 v36, 60
	v_lshlrev_b32_e32 v33, 20, v33
	v_and_b32_e32 v34, 0x80000000, v34
	v_lshl_add_u32 v1, v1, 23, v36
	v_mov_b32_e32 v50, v39
	v_mov_b32_e32 v39, v52
	v_or3_b32 v33, v34, v1, v33
.LBB6_3944:                             ;   in Loop: Header=BB6_3885 Depth=4
	s_or_b64 exec, exec, s[52:53]
.LBB6_3945:                             ;   in Loop: Header=BB6_3885 Depth=4
	s_or_b64 exec, exec, s[50:51]
.LBB6_3946:                             ;   in Loop: Header=BB6_3885 Depth=4
	s_or_b64 exec, exec, s[48:49]
	v_max_f32_e32 v1, v33, v33
	v_max_f32_e32 v2, v2, v2
	;; [unrolled: 1-line block ×3, first 2 shown]
	s_mov_b64 s[48:49], 0
.LBB6_3947:                             ;   in Loop: Header=BB6_3885 Depth=4
	s_and_b64 vcc, exec, s[48:49]
	s_cbranch_vccz .LBB6_3961
; %bb.3948:                             ;   in Loop: Header=BB6_3885 Depth=4
	v_mov_b32_e32 v2, 0
	v_mov_b32_e32 v1, 0
	s_and_saveexec_b64 s[48:49], s[40:41]
	s_cbranch_execz .LBB6_3954
; %bb.3949:                             ;   in Loop: Header=BB6_3885 Depth=4
	v_cmp_ne_u16_e32 vcc, s82, v0
	v_bfrev_b32_e32 v1, 1
	s_and_saveexec_b64 s[40:41], vcc
	s_cbranch_execz .LBB6_3953
; %bb.3950:                             ;   in Loop: Header=BB6_3885 Depth=4
	v_and_b32_e32 v33, 0x7f, v31
	v_cmp_ne_u32_e32 vcc, s83, v33
	v_mov_b32_e32 v1, 0x7f800001
	s_and_saveexec_b64 s[50:51], vcc
	s_cbranch_execz .LBB6_3952
; %bb.3951:                             ;   in Loop: Header=BB6_3885 Depth=4
	v_and_b32_e32 v34, 7, v0
	v_ffbh_u32_e32 v1, v34
	v_lshrrev_b32_e32 v36, 3, v33
	v_cmp_gt_u32_e32 vcc, 8, v33
	v_min_u32_e32 v33, 32, v1
	v_subrev_u32_e32 v1, 28, v33
	v_lshlrev_b64 v[0:1], v1, v[0:1]
	v_sub_u32_e32 v1, 29, v33
	v_and_b32_e32 v0, 7, v0
	v_cndmask_b32_e32 v1, v36, v1, vcc
	v_cndmask_b32_e32 v0, v34, v0, vcc
	v_lshlrev_b32_e32 v31, 24, v31
	v_bfrev_b32_e32 v33, 60
	v_lshlrev_b32_e32 v0, 20, v0
	v_and_b32_e32 v31, 0x80000000, v31
	v_lshl_add_u32 v1, v1, 23, v33
	v_or3_b32 v1, v31, v1, v0
.LBB6_3952:                             ;   in Loop: Header=BB6_3885 Depth=4
	s_or_b64 exec, exec, s[50:51]
.LBB6_3953:                             ;   in Loop: Header=BB6_3885 Depth=4
	s_or_b64 exec, exec, s[40:41]
.LBB6_3954:                             ;   in Loop: Header=BB6_3885 Depth=4
	s_or_b64 exec, exec, s[48:49]
	v_and_b32_e32 v0, 0xff, v30
	v_cmp_ne_u16_e32 vcc, 0, v0
	s_and_saveexec_b64 s[40:41], vcc
	s_cbranch_execz .LBB6_3960
; %bb.3955:                             ;   in Loop: Header=BB6_3885 Depth=4
	v_cmp_ne_u16_e32 vcc, s82, v0
	v_bfrev_b32_e32 v2, 1
	s_and_saveexec_b64 s[48:49], vcc
	s_cbranch_execz .LBB6_3959
; %bb.3956:                             ;   in Loop: Header=BB6_3885 Depth=4
	v_and_b32_e32 v31, 0x7f, v30
	v_cmp_ne_u32_e32 vcc, s83, v31
	v_mov_b32_e32 v2, 0x7f800001
	s_and_saveexec_b64 s[50:51], vcc
	s_cbranch_execz .LBB6_3958
; %bb.3957:                             ;   in Loop: Header=BB6_3885 Depth=4
	v_and_b32_e32 v2, 7, v0
	v_lshrrev_b32_e32 v36, 3, v31
	v_cmp_gt_u32_e32 vcc, 8, v31
	v_ffbh_u32_e32 v31, v2
	v_min_u32_e32 v31, 32, v31
	v_subrev_u32_e32 v33, 28, v31
	v_lshlrev_b64 v[33:34], v33, v[0:1]
	v_sub_u32_e32 v0, 29, v31
	v_and_b32_e32 v31, 7, v33
	v_cndmask_b32_e32 v0, v36, v0, vcc
	v_cndmask_b32_e32 v2, v2, v31, vcc
	v_lshlrev_b32_e32 v30, 24, v30
	v_bfrev_b32_e32 v31, 60
	v_lshlrev_b32_e32 v2, 20, v2
	v_and_b32_e32 v30, 0x80000000, v30
	v_lshl_add_u32 v0, v0, 23, v31
	v_or3_b32 v2, v30, v0, v2
.LBB6_3958:                             ;   in Loop: Header=BB6_3885 Depth=4
	s_or_b64 exec, exec, s[50:51]
.LBB6_3959:                             ;   in Loop: Header=BB6_3885 Depth=4
	s_or_b64 exec, exec, s[48:49]
.LBB6_3960:                             ;   in Loop: Header=BB6_3885 Depth=4
	s_or_b64 exec, exec, s[40:41]
	v_max_f32_e32 v0, v2, v2
	v_max_f32_e32 v1, v1, v1
	v_min_f32_e32 v1, v1, v0
.LBB6_3961:                             ;   in Loop: Header=BB6_3885 Depth=4
	v_and_b32_e32 v52, 0x7f800000, v1
	v_cmp_ne_u64_e32 vcc, s[76:77], v[52:53]
                                        ; implicit-def: $vgpr37
	s_and_saveexec_b64 s[40:41], vcc
	s_xor_b64 s[48:49], exec, s[40:41]
	s_cbranch_execz .LBB6_3979
; %bb.3962:                             ;   in Loop: Header=BB6_3885 Depth=4
	v_and_b32_e32 v52, 0x7fffffff, v1
	v_cmp_gt_u64_e32 vcc, s[78:79], v[52:53]
	v_and_b32_sdwa v30, v1, s82 dst_sel:DWORD dst_unused:UNUSED_PAD src0_sel:BYTE_3 src1_sel:DWORD
                                        ; implicit-def: $vgpr37
	s_and_saveexec_b64 s[40:41], vcc
	s_xor_b64 s[50:51], exec, s[40:41]
	s_cbranch_execz .LBB6_3976
; %bb.3963:                             ;   in Loop: Header=BB6_3885 Depth=4
	v_cmp_ne_u32_e32 vcc, 0, v1
	v_mov_b32_e32 v37, 0
	s_and_saveexec_b64 s[52:53], vcc
	s_cbranch_execz .LBB6_3975
; %bb.3964:                             ;   in Loop: Header=BB6_3885 Depth=4
	v_bfe_u32 v31, v1, 23, 8
	v_and_b32_e32 v0, 0x7fffff, v1
	v_cmp_gt_u32_e64 s[40:41], s85, v31
	v_sub_u32_e32 v1, 0x79, v31
	v_cmp_eq_u32_e32 vcc, 0, v31
	v_cndmask_b32_e64 v1, 0, v1, s[40:41]
	v_mov_b32_e32 v33, 0x78
	v_or_b32_e32 v2, 0x800000, v0
	v_cndmask_b32_e32 v33, v1, v33, vcc
	v_cndmask_b32_e32 v52, v2, v0, vcc
	v_add_u32_e32 v0, 20, v33
	v_lshlrev_b64 v[0:1], v0, -1
	v_add_u32_e32 v2, 19, v33
	v_lshlrev_b64 v[36:37], v2, 1
	v_bfi_b32 v1, v1, 0, 0
	v_bfi_b32 v0, v0, 0, v52
	v_cmp_eq_u64_e64 s[40:41], v[0:1], v[36:37]
	v_lshrrev_b64 v[0:1], v33, v[52:53]
	v_mov_b32_e32 v2, v1
	v_mov_b32_e32 v1, v0
	s_and_saveexec_b64 s[54:55], s[40:41]
; %bb.3965:                             ;   in Loop: Header=BB6_3885 Depth=4
	v_bfe_u32 v1, v0, 20, 1
	v_add_co_u32_e64 v1, s[40:41], v0, v1
	v_add_co_u32_e64 v1, s[40:41], -1, v1
; %bb.3966:                             ;   in Loop: Header=BB6_3885 Depth=4
	s_or_b64 exec, exec, s[54:55]
	v_add_u32_e32 v2, 0xffffff81, v31
	v_mov_b32_e32 v31, 0xffffff82
	v_cndmask_b32_e32 v2, v2, v31, vcc
	v_lshrrev_b32_e32 v31, 23, v0
	v_add3_u32 v33, v33, v2, v31
	v_add_u32_e32 v31, 6, v33
	v_and_b32_e32 v1, 0xfffff, v1
	v_add_u32_e32 v52, v1, v0
	v_cmp_ne_u32_e32 vcc, 0, v31
                                        ; implicit-def: $vgpr0_vgpr1
                                        ; implicit-def: $vgpr2
	s_and_saveexec_b64 s[40:41], vcc
	s_xor_b64 s[40:41], exec, s[40:41]
; %bb.3967:                             ;   in Loop: Header=BB6_3885 Depth=4
	v_cmp_lt_u64_e32 vcc, s[88:89], v[52:53]
	v_add_u32_e32 v0, 7, v33
	v_cndmask_b32_e32 v2, v31, v0, vcc
	v_cndmask_b32_e64 v0, 0, 1, vcc
	v_lshrrev_b64 v[0:1], v0, v[52:53]
; %bb.3968:                             ;   in Loop: Header=BB6_3885 Depth=4
	s_andn2_saveexec_b64 s[40:41], s[40:41]
; %bb.3969:                             ;   in Loop: Header=BB6_3885 Depth=4
	v_mov_b32_e32 v0, v52
	v_bfe_u32 v2, v52, 23, 1
	v_mov_b32_e32 v1, v53
; %bb.3970:                             ;   in Loop: Header=BB6_3885 Depth=4
	s_or_b64 exec, exec, s[40:41]
	v_lshrrev_b64 v[0:1], 20, v[0:1]
	v_cmp_gt_i32_e32 vcc, 16, v2
	v_cndmask_b32_e32 v1, 0, v1, vcc
	v_cndmask_b32_e32 v0, 7, v0, vcc
	v_cmp_ne_u64_e32 vcc, 0, v[0:1]
	v_cmp_ne_u32_e64 s[40:41], 0, v2
	s_or_b64 s[40:41], s[40:41], vcc
                                        ; implicit-def: $vgpr37
	s_and_saveexec_b64 vcc, s[40:41]
	s_xor_b64 s[40:41], exec, vcc
; %bb.3971:                             ;   in Loop: Header=BB6_3885 Depth=4
	v_min_i32_e32 v1, 15, v2
	v_lshl_or_b32 v1, v1, 3, v30
	v_and_or_b32 v37, v0, 7, v1
                                        ; implicit-def: $vgpr30
; %bb.3972:                             ;   in Loop: Header=BB6_3885 Depth=4
	s_andn2_saveexec_b64 s[40:41], s[40:41]
; %bb.3973:                             ;   in Loop: Header=BB6_3885 Depth=4
	v_mov_b32_e32 v37, v30
; %bb.3974:                             ;   in Loop: Header=BB6_3885 Depth=4
	s_or_b64 exec, exec, s[40:41]
.LBB6_3975:                             ;   in Loop: Header=BB6_3885 Depth=4
	s_or_b64 exec, exec, s[52:53]
                                        ; implicit-def: $vgpr30
.LBB6_3976:                             ;   in Loop: Header=BB6_3885 Depth=4
	s_andn2_saveexec_b64 s[40:41], s[50:51]
; %bb.3977:                             ;   in Loop: Header=BB6_3885 Depth=4
	v_or_b32_e32 v37, 0x7e, v30
; %bb.3978:                             ;   in Loop: Header=BB6_3885 Depth=4
	s_or_b64 exec, exec, s[40:41]
                                        ; implicit-def: $vgpr1
.LBB6_3979:                             ;   in Loop: Header=BB6_3885 Depth=4
	s_andn2_saveexec_b64 s[40:41], s[48:49]
; %bb.3980:                             ;   in Loop: Header=BB6_3885 Depth=4
	v_or_b32_sdwa v37, v1, s83 dst_sel:DWORD dst_unused:UNUSED_PAD src0_sel:BYTE_3 src1_sel:DWORD
; %bb.3981:                             ;   in Loop: Header=BB6_3885 Depth=4
	s_or_b64 exec, exec, s[40:41]
	v_and_b32_e32 v0, 0xff, v28
	v_cmp_ne_u16_e64 s[40:41], 0, v0
	s_and_b64 vcc, exec, s[28:29]
	s_mov_b64 s[48:49], -1
                                        ; implicit-def: $vgpr1
	s_cbranch_vccnz .LBB6_3995
; %bb.3982:                             ;   in Loop: Header=BB6_3885 Depth=4
	v_mov_b32_e32 v30, 0
	v_mov_b32_e32 v2, 0
	s_and_saveexec_b64 s[48:49], s[40:41]
	s_cbranch_execz .LBB6_3988
; %bb.3983:                             ;   in Loop: Header=BB6_3885 Depth=4
	v_cmp_ne_u16_e32 vcc, s82, v0
	v_bfrev_b32_e32 v2, 1
	s_and_saveexec_b64 s[50:51], vcc
	s_cbranch_execz .LBB6_3987
; %bb.3984:                             ;   in Loop: Header=BB6_3885 Depth=4
	v_and_b32_e32 v1, 0x7f, v28
	v_cmp_ne_u32_e32 vcc, s83, v1
	v_mov_b32_e32 v2, 0x7f800001
	s_and_saveexec_b64 s[52:53], vcc
	s_cbranch_execz .LBB6_3986
; %bb.3985:                             ;   in Loop: Header=BB6_3885 Depth=4
	v_and_b32_e32 v31, 7, v0
	v_lshrrev_b32_e32 v33, 3, v1
	v_cmp_gt_u32_e32 vcc, 8, v1
	v_ffbh_u32_e32 v1, v31
	v_min_u32_e32 v34, 32, v1
	v_subrev_u32_e32 v1, 28, v34
	v_lshlrev_b64 v[1:2], v1, v[0:1]
	v_sub_u32_e32 v2, 29, v34
	v_and_b32_e32 v1, 7, v1
	v_cndmask_b32_e32 v2, v33, v2, vcc
	v_cndmask_b32_e32 v1, v31, v1, vcc
	v_lshlrev_b32_e32 v31, 24, v28
	v_bfrev_b32_e32 v33, 60
	v_lshlrev_b32_e32 v1, 20, v1
	v_and_b32_e32 v31, 0x80000000, v31
	v_lshl_add_u32 v2, v2, 23, v33
	v_or3_b32 v2, v31, v2, v1
.LBB6_3986:                             ;   in Loop: Header=BB6_3885 Depth=4
	s_or_b64 exec, exec, s[52:53]
.LBB6_3987:                             ;   in Loop: Header=BB6_3885 Depth=4
	s_or_b64 exec, exec, s[50:51]
.LBB6_3988:                             ;   in Loop: Header=BB6_3885 Depth=4
	s_or_b64 exec, exec, s[48:49]
	v_and_b32_e32 v1, 0xff, v27
	v_cmp_ne_u16_e32 vcc, 0, v1
	s_and_saveexec_b64 s[48:49], vcc
	s_cbranch_execz .LBB6_3994
; %bb.3989:                             ;   in Loop: Header=BB6_3885 Depth=4
	v_cmp_ne_u16_e32 vcc, s82, v1
	v_bfrev_b32_e32 v30, 1
	s_and_saveexec_b64 s[50:51], vcc
	s_cbranch_execz .LBB6_3993
; %bb.3990:                             ;   in Loop: Header=BB6_3885 Depth=4
	v_and_b32_e32 v31, 0x7f, v27
	v_cmp_ne_u32_e32 vcc, s83, v31
	v_mov_b32_e32 v30, 0x7f800001
	s_and_saveexec_b64 s[52:53], vcc
	s_cbranch_execz .LBB6_3992
; %bb.3991:                             ;   in Loop: Header=BB6_3885 Depth=4
	v_and_b32_e32 v33, 7, v1
	v_ffbh_u32_e32 v30, v33
	v_min_u32_e32 v36, 32, v30
	v_subrev_u32_e32 v30, 28, v36
	v_lshrrev_b32_e32 v34, 3, v31
	v_cmp_gt_u32_e32 vcc, 8, v31
	v_lshlrev_b64 v[30:31], v30, v[1:2]
	v_sub_u32_e32 v1, 29, v36
	v_and_b32_e32 v30, 7, v30
	v_cndmask_b32_e32 v1, v34, v1, vcc
	v_cndmask_b32_e32 v30, v33, v30, vcc
	v_lshlrev_b32_e32 v31, 24, v27
	v_bfrev_b32_e32 v33, 60
	v_lshlrev_b32_e32 v30, 20, v30
	v_and_b32_e32 v31, 0x80000000, v31
	v_lshl_add_u32 v1, v1, 23, v33
	v_or3_b32 v30, v31, v1, v30
.LBB6_3992:                             ;   in Loop: Header=BB6_3885 Depth=4
	s_or_b64 exec, exec, s[52:53]
.LBB6_3993:                             ;   in Loop: Header=BB6_3885 Depth=4
	s_or_b64 exec, exec, s[50:51]
.LBB6_3994:                             ;   in Loop: Header=BB6_3885 Depth=4
	s_or_b64 exec, exec, s[48:49]
	v_max_f32_e32 v1, v30, v30
	v_max_f32_e32 v2, v2, v2
	;; [unrolled: 1-line block ×3, first 2 shown]
	s_mov_b64 s[48:49], 0
.LBB6_3995:                             ;   in Loop: Header=BB6_3885 Depth=4
	s_and_b64 vcc, exec, s[48:49]
	s_cbranch_vccz .LBB6_4009
; %bb.3996:                             ;   in Loop: Header=BB6_3885 Depth=4
	v_mov_b32_e32 v2, 0
	v_mov_b32_e32 v1, 0
	s_and_saveexec_b64 s[48:49], s[40:41]
	s_cbranch_execz .LBB6_4002
; %bb.3997:                             ;   in Loop: Header=BB6_3885 Depth=4
	v_cmp_ne_u16_e32 vcc, s82, v0
	v_bfrev_b32_e32 v1, 1
	s_and_saveexec_b64 s[40:41], vcc
	s_cbranch_execz .LBB6_4001
; %bb.3998:                             ;   in Loop: Header=BB6_3885 Depth=4
	v_and_b32_e32 v30, 0x7f, v28
	v_cmp_ne_u32_e32 vcc, s83, v30
	v_mov_b32_e32 v1, 0x7f800001
	s_and_saveexec_b64 s[50:51], vcc
	s_cbranch_execz .LBB6_4000
; %bb.3999:                             ;   in Loop: Header=BB6_3885 Depth=4
	v_and_b32_e32 v31, 7, v0
	v_ffbh_u32_e32 v1, v31
	v_lshrrev_b32_e32 v33, 3, v30
	v_cmp_gt_u32_e32 vcc, 8, v30
	v_min_u32_e32 v30, 32, v1
	v_subrev_u32_e32 v1, 28, v30
	v_lshlrev_b64 v[0:1], v1, v[0:1]
	v_sub_u32_e32 v1, 29, v30
	v_and_b32_e32 v0, 7, v0
	v_cndmask_b32_e32 v1, v33, v1, vcc
	v_cndmask_b32_e32 v0, v31, v0, vcc
	v_lshlrev_b32_e32 v28, 24, v28
	v_bfrev_b32_e32 v30, 60
	v_lshlrev_b32_e32 v0, 20, v0
	v_and_b32_e32 v28, 0x80000000, v28
	v_lshl_add_u32 v1, v1, 23, v30
	v_or3_b32 v1, v28, v1, v0
.LBB6_4000:                             ;   in Loop: Header=BB6_3885 Depth=4
	s_or_b64 exec, exec, s[50:51]
.LBB6_4001:                             ;   in Loop: Header=BB6_3885 Depth=4
	s_or_b64 exec, exec, s[40:41]
.LBB6_4002:                             ;   in Loop: Header=BB6_3885 Depth=4
	s_or_b64 exec, exec, s[48:49]
	v_and_b32_e32 v0, 0xff, v27
	v_cmp_ne_u16_e32 vcc, 0, v0
	s_and_saveexec_b64 s[40:41], vcc
	s_cbranch_execz .LBB6_4008
; %bb.4003:                             ;   in Loop: Header=BB6_3885 Depth=4
	v_cmp_ne_u16_e32 vcc, s82, v0
	v_bfrev_b32_e32 v2, 1
	s_and_saveexec_b64 s[48:49], vcc
	s_cbranch_execz .LBB6_4007
; %bb.4004:                             ;   in Loop: Header=BB6_3885 Depth=4
	v_and_b32_e32 v28, 0x7f, v27
	v_cmp_ne_u32_e32 vcc, s83, v28
	v_mov_b32_e32 v2, 0x7f800001
	s_and_saveexec_b64 s[50:51], vcc
	s_cbranch_execz .LBB6_4006
; %bb.4005:                             ;   in Loop: Header=BB6_3885 Depth=4
	v_and_b32_e32 v2, 7, v0
	v_lshrrev_b32_e32 v33, 3, v28
	v_cmp_gt_u32_e32 vcc, 8, v28
	v_ffbh_u32_e32 v28, v2
	v_min_u32_e32 v28, 32, v28
	v_subrev_u32_e32 v30, 28, v28
	v_lshlrev_b64 v[30:31], v30, v[0:1]
	v_sub_u32_e32 v0, 29, v28
	v_and_b32_e32 v28, 7, v30
	v_cndmask_b32_e32 v0, v33, v0, vcc
	v_cndmask_b32_e32 v2, v2, v28, vcc
	v_lshlrev_b32_e32 v27, 24, v27
	v_bfrev_b32_e32 v28, 60
	v_lshlrev_b32_e32 v2, 20, v2
	v_and_b32_e32 v27, 0x80000000, v27
	v_lshl_add_u32 v0, v0, 23, v28
	v_or3_b32 v2, v27, v0, v2
.LBB6_4006:                             ;   in Loop: Header=BB6_3885 Depth=4
	s_or_b64 exec, exec, s[50:51]
.LBB6_4007:                             ;   in Loop: Header=BB6_3885 Depth=4
	s_or_b64 exec, exec, s[48:49]
.LBB6_4008:                             ;   in Loop: Header=BB6_3885 Depth=4
	s_or_b64 exec, exec, s[40:41]
	v_max_f32_e32 v0, v2, v2
	v_max_f32_e32 v1, v1, v1
	v_min_f32_e32 v1, v1, v0
.LBB6_4009:                             ;   in Loop: Header=BB6_3885 Depth=4
	v_and_b32_e32 v52, 0x7f800000, v1
	v_cmp_ne_u64_e32 vcc, s[76:77], v[52:53]
                                        ; implicit-def: $vgpr36
	s_and_saveexec_b64 s[40:41], vcc
	s_xor_b64 s[48:49], exec, s[40:41]
	s_cbranch_execz .LBB6_4027
; %bb.4010:                             ;   in Loop: Header=BB6_3885 Depth=4
	v_and_b32_e32 v52, 0x7fffffff, v1
	v_cmp_gt_u64_e32 vcc, s[78:79], v[52:53]
	v_and_b32_sdwa v27, v1, s82 dst_sel:DWORD dst_unused:UNUSED_PAD src0_sel:BYTE_3 src1_sel:DWORD
                                        ; implicit-def: $vgpr36
	s_and_saveexec_b64 s[40:41], vcc
	s_xor_b64 s[50:51], exec, s[40:41]
	s_cbranch_execz .LBB6_4024
; %bb.4011:                             ;   in Loop: Header=BB6_3885 Depth=4
	v_cmp_ne_u32_e32 vcc, 0, v1
	v_mov_b32_e32 v36, 0
	s_and_saveexec_b64 s[52:53], vcc
	s_cbranch_execz .LBB6_4023
; %bb.4012:                             ;   in Loop: Header=BB6_3885 Depth=4
	v_bfe_u32 v28, v1, 23, 8
	v_and_b32_e32 v0, 0x7fffff, v1
	v_cmp_gt_u32_e64 s[40:41], s85, v28
	v_sub_u32_e32 v1, 0x79, v28
	v_cmp_eq_u32_e32 vcc, 0, v28
	v_cndmask_b32_e64 v1, 0, v1, s[40:41]
	v_mov_b32_e32 v30, 0x78
	v_or_b32_e32 v2, 0x800000, v0
	v_cndmask_b32_e32 v30, v1, v30, vcc
	v_cndmask_b32_e32 v52, v2, v0, vcc
	v_add_u32_e32 v0, 20, v30
	v_lshlrev_b64 v[0:1], v0, -1
	v_add_u32_e32 v2, 19, v30
	v_lshlrev_b64 v[33:34], v2, 1
	v_bfi_b32 v1, v1, 0, 0
	v_bfi_b32 v0, v0, 0, v52
	v_cmp_eq_u64_e64 s[40:41], v[0:1], v[33:34]
	v_lshrrev_b64 v[0:1], v30, v[52:53]
	v_mov_b32_e32 v2, v1
	v_mov_b32_e32 v1, v0
	s_and_saveexec_b64 s[54:55], s[40:41]
; %bb.4013:                             ;   in Loop: Header=BB6_3885 Depth=4
	v_bfe_u32 v1, v0, 20, 1
	v_add_co_u32_e64 v1, s[40:41], v0, v1
	v_add_co_u32_e64 v1, s[40:41], -1, v1
; %bb.4014:                             ;   in Loop: Header=BB6_3885 Depth=4
	s_or_b64 exec, exec, s[54:55]
	v_add_u32_e32 v2, 0xffffff81, v28
	v_mov_b32_e32 v28, 0xffffff82
	v_cndmask_b32_e32 v2, v2, v28, vcc
	v_lshrrev_b32_e32 v28, 23, v0
	v_add3_u32 v30, v30, v2, v28
	v_add_u32_e32 v28, 6, v30
	v_and_b32_e32 v1, 0xfffff, v1
	v_add_u32_e32 v52, v1, v0
	v_cmp_ne_u32_e32 vcc, 0, v28
                                        ; implicit-def: $vgpr0_vgpr1
                                        ; implicit-def: $vgpr2
	s_and_saveexec_b64 s[40:41], vcc
	s_xor_b64 s[40:41], exec, s[40:41]
; %bb.4015:                             ;   in Loop: Header=BB6_3885 Depth=4
	v_cmp_lt_u64_e32 vcc, s[88:89], v[52:53]
	v_add_u32_e32 v0, 7, v30
	v_cndmask_b32_e32 v2, v28, v0, vcc
	v_cndmask_b32_e64 v0, 0, 1, vcc
	v_lshrrev_b64 v[0:1], v0, v[52:53]
; %bb.4016:                             ;   in Loop: Header=BB6_3885 Depth=4
	s_andn2_saveexec_b64 s[40:41], s[40:41]
; %bb.4017:                             ;   in Loop: Header=BB6_3885 Depth=4
	v_mov_b32_e32 v0, v52
	v_bfe_u32 v2, v52, 23, 1
	v_mov_b32_e32 v1, v53
; %bb.4018:                             ;   in Loop: Header=BB6_3885 Depth=4
	s_or_b64 exec, exec, s[40:41]
	v_lshrrev_b64 v[0:1], 20, v[0:1]
	v_cmp_gt_i32_e32 vcc, 16, v2
	v_cndmask_b32_e32 v1, 0, v1, vcc
	v_cndmask_b32_e32 v0, 7, v0, vcc
	v_cmp_ne_u64_e32 vcc, 0, v[0:1]
	v_cmp_ne_u32_e64 s[40:41], 0, v2
	s_or_b64 s[40:41], s[40:41], vcc
                                        ; implicit-def: $vgpr36
	s_and_saveexec_b64 vcc, s[40:41]
	s_xor_b64 s[40:41], exec, vcc
; %bb.4019:                             ;   in Loop: Header=BB6_3885 Depth=4
	v_min_i32_e32 v1, 15, v2
	v_lshl_or_b32 v1, v1, 3, v27
	v_and_or_b32 v36, v0, 7, v1
                                        ; implicit-def: $vgpr27
; %bb.4020:                             ;   in Loop: Header=BB6_3885 Depth=4
	s_andn2_saveexec_b64 s[40:41], s[40:41]
; %bb.4021:                             ;   in Loop: Header=BB6_3885 Depth=4
	v_mov_b32_e32 v36, v27
; %bb.4022:                             ;   in Loop: Header=BB6_3885 Depth=4
	s_or_b64 exec, exec, s[40:41]
.LBB6_4023:                             ;   in Loop: Header=BB6_3885 Depth=4
	s_or_b64 exec, exec, s[52:53]
                                        ; implicit-def: $vgpr27
.LBB6_4024:                             ;   in Loop: Header=BB6_3885 Depth=4
	s_andn2_saveexec_b64 s[40:41], s[50:51]
; %bb.4025:                             ;   in Loop: Header=BB6_3885 Depth=4
	v_or_b32_e32 v36, 0x7e, v27
; %bb.4026:                             ;   in Loop: Header=BB6_3885 Depth=4
	s_or_b64 exec, exec, s[40:41]
                                        ; implicit-def: $vgpr1
.LBB6_4027:                             ;   in Loop: Header=BB6_3885 Depth=4
	s_andn2_saveexec_b64 s[40:41], s[48:49]
; %bb.4028:                             ;   in Loop: Header=BB6_3885 Depth=4
	v_or_b32_sdwa v36, v1, s83 dst_sel:DWORD dst_unused:UNUSED_PAD src0_sel:BYTE_3 src1_sel:DWORD
; %bb.4029:                             ;   in Loop: Header=BB6_3885 Depth=4
	s_or_b64 exec, exec, s[40:41]
	v_and_b32_e32 v0, 0xff, v25
	v_cmp_ne_u16_e64 s[40:41], 0, v0
	s_and_b64 vcc, exec, s[28:29]
	s_mov_b64 s[48:49], -1
                                        ; implicit-def: $vgpr1
	s_cbranch_vccnz .LBB6_4043
; %bb.4030:                             ;   in Loop: Header=BB6_3885 Depth=4
	v_mov_b32_e32 v27, 0
	v_mov_b32_e32 v2, 0
	s_and_saveexec_b64 s[48:49], s[40:41]
	s_cbranch_execz .LBB6_4036
; %bb.4031:                             ;   in Loop: Header=BB6_3885 Depth=4
	v_cmp_ne_u16_e32 vcc, s82, v0
	v_bfrev_b32_e32 v2, 1
	s_and_saveexec_b64 s[50:51], vcc
	s_cbranch_execz .LBB6_4035
; %bb.4032:                             ;   in Loop: Header=BB6_3885 Depth=4
	v_and_b32_e32 v1, 0x7f, v25
	v_cmp_ne_u32_e32 vcc, s83, v1
	v_mov_b32_e32 v2, 0x7f800001
	s_and_saveexec_b64 s[52:53], vcc
	s_cbranch_execz .LBB6_4034
; %bb.4033:                             ;   in Loop: Header=BB6_3885 Depth=4
	v_and_b32_e32 v28, 7, v0
	v_lshrrev_b32_e32 v30, 3, v1
	v_cmp_gt_u32_e32 vcc, 8, v1
	v_ffbh_u32_e32 v1, v28
	v_min_u32_e32 v31, 32, v1
	v_subrev_u32_e32 v1, 28, v31
	v_lshlrev_b64 v[1:2], v1, v[0:1]
	v_sub_u32_e32 v2, 29, v31
	v_and_b32_e32 v1, 7, v1
	v_cndmask_b32_e32 v2, v30, v2, vcc
	v_cndmask_b32_e32 v1, v28, v1, vcc
	v_lshlrev_b32_e32 v28, 24, v25
	v_bfrev_b32_e32 v30, 60
	v_lshlrev_b32_e32 v1, 20, v1
	v_and_b32_e32 v28, 0x80000000, v28
	v_lshl_add_u32 v2, v2, 23, v30
	v_or3_b32 v2, v28, v2, v1
.LBB6_4034:                             ;   in Loop: Header=BB6_3885 Depth=4
	s_or_b64 exec, exec, s[52:53]
.LBB6_4035:                             ;   in Loop: Header=BB6_3885 Depth=4
	s_or_b64 exec, exec, s[50:51]
.LBB6_4036:                             ;   in Loop: Header=BB6_3885 Depth=4
	s_or_b64 exec, exec, s[48:49]
	v_and_b32_e32 v1, 0xff, v24
	v_cmp_ne_u16_e32 vcc, 0, v1
	s_and_saveexec_b64 s[48:49], vcc
	s_cbranch_execz .LBB6_4042
; %bb.4037:                             ;   in Loop: Header=BB6_3885 Depth=4
	v_cmp_ne_u16_e32 vcc, s82, v1
	v_bfrev_b32_e32 v27, 1
	s_and_saveexec_b64 s[50:51], vcc
	s_cbranch_execz .LBB6_4041
; %bb.4038:                             ;   in Loop: Header=BB6_3885 Depth=4
	v_and_b32_e32 v28, 0x7f, v24
	v_cmp_ne_u32_e32 vcc, s83, v28
	v_mov_b32_e32 v27, 0x7f800001
	s_and_saveexec_b64 s[52:53], vcc
	s_cbranch_execz .LBB6_4040
; %bb.4039:                             ;   in Loop: Header=BB6_3885 Depth=4
	v_and_b32_e32 v30, 7, v1
	v_ffbh_u32_e32 v27, v30
	v_min_u32_e32 v33, 32, v27
	v_subrev_u32_e32 v27, 28, v33
	v_lshrrev_b32_e32 v31, 3, v28
	v_cmp_gt_u32_e32 vcc, 8, v28
	v_lshlrev_b64 v[27:28], v27, v[1:2]
	v_sub_u32_e32 v1, 29, v33
	v_and_b32_e32 v27, 7, v27
	v_cndmask_b32_e32 v1, v31, v1, vcc
	v_cndmask_b32_e32 v27, v30, v27, vcc
	v_lshlrev_b32_e32 v28, 24, v24
	v_bfrev_b32_e32 v30, 60
	v_lshlrev_b32_e32 v27, 20, v27
	v_and_b32_e32 v28, 0x80000000, v28
	v_lshl_add_u32 v1, v1, 23, v30
	v_or3_b32 v27, v28, v1, v27
.LBB6_4040:                             ;   in Loop: Header=BB6_3885 Depth=4
	s_or_b64 exec, exec, s[52:53]
.LBB6_4041:                             ;   in Loop: Header=BB6_3885 Depth=4
	s_or_b64 exec, exec, s[50:51]
.LBB6_4042:                             ;   in Loop: Header=BB6_3885 Depth=4
	s_or_b64 exec, exec, s[48:49]
	v_max_f32_e32 v1, v27, v27
	v_max_f32_e32 v2, v2, v2
	;; [unrolled: 1-line block ×3, first 2 shown]
	s_mov_b64 s[48:49], 0
.LBB6_4043:                             ;   in Loop: Header=BB6_3885 Depth=4
	s_and_b64 vcc, exec, s[48:49]
	s_cbranch_vccz .LBB6_4057
; %bb.4044:                             ;   in Loop: Header=BB6_3885 Depth=4
	v_mov_b32_e32 v2, 0
	v_mov_b32_e32 v1, 0
	s_and_saveexec_b64 s[48:49], s[40:41]
	s_cbranch_execz .LBB6_4050
; %bb.4045:                             ;   in Loop: Header=BB6_3885 Depth=4
	v_cmp_ne_u16_e32 vcc, s82, v0
	v_bfrev_b32_e32 v1, 1
	s_and_saveexec_b64 s[40:41], vcc
	s_cbranch_execz .LBB6_4049
; %bb.4046:                             ;   in Loop: Header=BB6_3885 Depth=4
	v_and_b32_e32 v27, 0x7f, v25
	v_cmp_ne_u32_e32 vcc, s83, v27
	v_mov_b32_e32 v1, 0x7f800001
	s_and_saveexec_b64 s[50:51], vcc
	s_cbranch_execz .LBB6_4048
; %bb.4047:                             ;   in Loop: Header=BB6_3885 Depth=4
	v_and_b32_e32 v28, 7, v0
	v_ffbh_u32_e32 v1, v28
	v_lshrrev_b32_e32 v30, 3, v27
	v_cmp_gt_u32_e32 vcc, 8, v27
	v_min_u32_e32 v27, 32, v1
	v_subrev_u32_e32 v1, 28, v27
	v_lshlrev_b64 v[0:1], v1, v[0:1]
	v_sub_u32_e32 v1, 29, v27
	v_and_b32_e32 v0, 7, v0
	v_cndmask_b32_e32 v1, v30, v1, vcc
	v_cndmask_b32_e32 v0, v28, v0, vcc
	v_lshlrev_b32_e32 v25, 24, v25
	v_bfrev_b32_e32 v27, 60
	v_lshlrev_b32_e32 v0, 20, v0
	v_and_b32_e32 v25, 0x80000000, v25
	v_lshl_add_u32 v1, v1, 23, v27
	v_or3_b32 v1, v25, v1, v0
.LBB6_4048:                             ;   in Loop: Header=BB6_3885 Depth=4
	s_or_b64 exec, exec, s[50:51]
.LBB6_4049:                             ;   in Loop: Header=BB6_3885 Depth=4
	s_or_b64 exec, exec, s[40:41]
.LBB6_4050:                             ;   in Loop: Header=BB6_3885 Depth=4
	s_or_b64 exec, exec, s[48:49]
	v_and_b32_e32 v0, 0xff, v24
	v_cmp_ne_u16_e32 vcc, 0, v0
	s_and_saveexec_b64 s[40:41], vcc
	s_cbranch_execz .LBB6_4056
; %bb.4051:                             ;   in Loop: Header=BB6_3885 Depth=4
	v_cmp_ne_u16_e32 vcc, s82, v0
	v_bfrev_b32_e32 v2, 1
	s_and_saveexec_b64 s[48:49], vcc
	s_cbranch_execz .LBB6_4055
; %bb.4052:                             ;   in Loop: Header=BB6_3885 Depth=4
	v_and_b32_e32 v25, 0x7f, v24
	v_cmp_ne_u32_e32 vcc, s83, v25
	v_mov_b32_e32 v2, 0x7f800001
	s_and_saveexec_b64 s[50:51], vcc
	s_cbranch_execz .LBB6_4054
; %bb.4053:                             ;   in Loop: Header=BB6_3885 Depth=4
	v_and_b32_e32 v2, 7, v0
	v_lshrrev_b32_e32 v30, 3, v25
	v_cmp_gt_u32_e32 vcc, 8, v25
	v_ffbh_u32_e32 v25, v2
	v_min_u32_e32 v25, 32, v25
	v_subrev_u32_e32 v27, 28, v25
	v_lshlrev_b64 v[27:28], v27, v[0:1]
	v_sub_u32_e32 v0, 29, v25
	v_and_b32_e32 v25, 7, v27
	v_cndmask_b32_e32 v0, v30, v0, vcc
	v_cndmask_b32_e32 v2, v2, v25, vcc
	v_lshlrev_b32_e32 v24, 24, v24
	v_bfrev_b32_e32 v25, 60
	v_lshlrev_b32_e32 v2, 20, v2
	v_and_b32_e32 v24, 0x80000000, v24
	v_lshl_add_u32 v0, v0, 23, v25
	v_or3_b32 v2, v24, v0, v2
.LBB6_4054:                             ;   in Loop: Header=BB6_3885 Depth=4
	s_or_b64 exec, exec, s[50:51]
.LBB6_4055:                             ;   in Loop: Header=BB6_3885 Depth=4
	s_or_b64 exec, exec, s[48:49]
.LBB6_4056:                             ;   in Loop: Header=BB6_3885 Depth=4
	s_or_b64 exec, exec, s[40:41]
	v_max_f32_e32 v0, v2, v2
	v_max_f32_e32 v1, v1, v1
	v_min_f32_e32 v1, v1, v0
.LBB6_4057:                             ;   in Loop: Header=BB6_3885 Depth=4
	v_and_b32_e32 v52, 0x7f800000, v1
	v_cmp_ne_u64_e32 vcc, s[76:77], v[52:53]
                                        ; implicit-def: $vgpr31
	s_and_saveexec_b64 s[40:41], vcc
	s_xor_b64 s[48:49], exec, s[40:41]
	s_cbranch_execz .LBB6_4075
; %bb.4058:                             ;   in Loop: Header=BB6_3885 Depth=4
	v_and_b32_e32 v52, 0x7fffffff, v1
	v_cmp_gt_u64_e32 vcc, s[78:79], v[52:53]
	v_and_b32_sdwa v24, v1, s82 dst_sel:DWORD dst_unused:UNUSED_PAD src0_sel:BYTE_3 src1_sel:DWORD
                                        ; implicit-def: $vgpr31
	s_and_saveexec_b64 s[40:41], vcc
	s_xor_b64 s[50:51], exec, s[40:41]
	s_cbranch_execz .LBB6_4072
; %bb.4059:                             ;   in Loop: Header=BB6_3885 Depth=4
	v_cmp_ne_u32_e32 vcc, 0, v1
	v_mov_b32_e32 v31, 0
	s_and_saveexec_b64 s[52:53], vcc
	s_cbranch_execz .LBB6_4071
; %bb.4060:                             ;   in Loop: Header=BB6_3885 Depth=4
	v_bfe_u32 v25, v1, 23, 8
	v_and_b32_e32 v0, 0x7fffff, v1
	v_cmp_gt_u32_e64 s[40:41], s85, v25
	v_sub_u32_e32 v1, 0x79, v25
	v_cmp_eq_u32_e32 vcc, 0, v25
	v_cndmask_b32_e64 v1, 0, v1, s[40:41]
	v_mov_b32_e32 v27, 0x78
	v_or_b32_e32 v2, 0x800000, v0
	v_cndmask_b32_e32 v27, v1, v27, vcc
	v_cndmask_b32_e32 v52, v2, v0, vcc
	v_add_u32_e32 v0, 20, v27
	v_lshlrev_b64 v[0:1], v0, -1
	v_add_u32_e32 v2, 19, v27
	v_lshlrev_b64 v[30:31], v2, 1
	v_bfi_b32 v1, v1, 0, 0
	v_bfi_b32 v0, v0, 0, v52
	v_cmp_eq_u64_e64 s[40:41], v[0:1], v[30:31]
	v_lshrrev_b64 v[0:1], v27, v[52:53]
	v_mov_b32_e32 v2, v1
	v_mov_b32_e32 v1, v0
	s_and_saveexec_b64 s[54:55], s[40:41]
; %bb.4061:                             ;   in Loop: Header=BB6_3885 Depth=4
	v_bfe_u32 v1, v0, 20, 1
	v_add_co_u32_e64 v1, s[40:41], v0, v1
	v_add_co_u32_e64 v1, s[40:41], -1, v1
; %bb.4062:                             ;   in Loop: Header=BB6_3885 Depth=4
	s_or_b64 exec, exec, s[54:55]
	v_add_u32_e32 v2, 0xffffff81, v25
	v_mov_b32_e32 v25, 0xffffff82
	v_cndmask_b32_e32 v2, v2, v25, vcc
	v_lshrrev_b32_e32 v25, 23, v0
	v_add3_u32 v27, v27, v2, v25
	v_add_u32_e32 v25, 6, v27
	v_and_b32_e32 v1, 0xfffff, v1
	v_add_u32_e32 v52, v1, v0
	v_cmp_ne_u32_e32 vcc, 0, v25
                                        ; implicit-def: $vgpr0_vgpr1
                                        ; implicit-def: $vgpr2
	s_and_saveexec_b64 s[40:41], vcc
	s_xor_b64 s[40:41], exec, s[40:41]
; %bb.4063:                             ;   in Loop: Header=BB6_3885 Depth=4
	v_cmp_lt_u64_e32 vcc, s[88:89], v[52:53]
	v_add_u32_e32 v0, 7, v27
	v_cndmask_b32_e32 v2, v25, v0, vcc
	v_cndmask_b32_e64 v0, 0, 1, vcc
	v_lshrrev_b64 v[0:1], v0, v[52:53]
; %bb.4064:                             ;   in Loop: Header=BB6_3885 Depth=4
	s_andn2_saveexec_b64 s[40:41], s[40:41]
; %bb.4065:                             ;   in Loop: Header=BB6_3885 Depth=4
	v_mov_b32_e32 v0, v52
	v_bfe_u32 v2, v52, 23, 1
	v_mov_b32_e32 v1, v53
; %bb.4066:                             ;   in Loop: Header=BB6_3885 Depth=4
	s_or_b64 exec, exec, s[40:41]
	v_lshrrev_b64 v[0:1], 20, v[0:1]
	v_cmp_gt_i32_e32 vcc, 16, v2
	v_cndmask_b32_e32 v1, 0, v1, vcc
	v_cndmask_b32_e32 v0, 7, v0, vcc
	v_cmp_ne_u64_e32 vcc, 0, v[0:1]
	v_cmp_ne_u32_e64 s[40:41], 0, v2
	s_or_b64 s[40:41], s[40:41], vcc
                                        ; implicit-def: $vgpr31
	s_and_saveexec_b64 vcc, s[40:41]
	s_xor_b64 s[40:41], exec, vcc
; %bb.4067:                             ;   in Loop: Header=BB6_3885 Depth=4
	v_min_i32_e32 v1, 15, v2
	v_lshl_or_b32 v1, v1, 3, v24
	v_and_or_b32 v31, v0, 7, v1
                                        ; implicit-def: $vgpr24
; %bb.4068:                             ;   in Loop: Header=BB6_3885 Depth=4
	s_andn2_saveexec_b64 s[40:41], s[40:41]
; %bb.4069:                             ;   in Loop: Header=BB6_3885 Depth=4
	v_mov_b32_e32 v31, v24
; %bb.4070:                             ;   in Loop: Header=BB6_3885 Depth=4
	s_or_b64 exec, exec, s[40:41]
.LBB6_4071:                             ;   in Loop: Header=BB6_3885 Depth=4
	s_or_b64 exec, exec, s[52:53]
                                        ; implicit-def: $vgpr24
.LBB6_4072:                             ;   in Loop: Header=BB6_3885 Depth=4
	s_andn2_saveexec_b64 s[40:41], s[50:51]
; %bb.4073:                             ;   in Loop: Header=BB6_3885 Depth=4
	v_or_b32_e32 v31, 0x7e, v24
; %bb.4074:                             ;   in Loop: Header=BB6_3885 Depth=4
	s_or_b64 exec, exec, s[40:41]
                                        ; implicit-def: $vgpr1
.LBB6_4075:                             ;   in Loop: Header=BB6_3885 Depth=4
	s_andn2_saveexec_b64 s[40:41], s[48:49]
; %bb.4076:                             ;   in Loop: Header=BB6_3885 Depth=4
	v_or_b32_sdwa v31, v1, s83 dst_sel:DWORD dst_unused:UNUSED_PAD src0_sel:BYTE_3 src1_sel:DWORD
; %bb.4077:                             ;   in Loop: Header=BB6_3885 Depth=4
	s_or_b64 exec, exec, s[40:41]
	v_and_b32_e32 v0, 0xff, v22
	v_cmp_ne_u16_e64 s[40:41], 0, v0
	s_and_b64 vcc, exec, s[28:29]
	s_mov_b64 s[48:49], -1
                                        ; implicit-def: $vgpr1
	s_cbranch_vccnz .LBB6_4091
; %bb.4078:                             ;   in Loop: Header=BB6_3885 Depth=4
	v_mov_b32_e32 v24, 0
	v_mov_b32_e32 v2, 0
	s_and_saveexec_b64 s[48:49], s[40:41]
	s_cbranch_execz .LBB6_4084
; %bb.4079:                             ;   in Loop: Header=BB6_3885 Depth=4
	v_cmp_ne_u16_e32 vcc, s82, v0
	v_bfrev_b32_e32 v2, 1
	s_and_saveexec_b64 s[50:51], vcc
	s_cbranch_execz .LBB6_4083
; %bb.4080:                             ;   in Loop: Header=BB6_3885 Depth=4
	v_and_b32_e32 v1, 0x7f, v22
	v_cmp_ne_u32_e32 vcc, s83, v1
	v_mov_b32_e32 v2, 0x7f800001
	s_and_saveexec_b64 s[52:53], vcc
	s_cbranch_execz .LBB6_4082
; %bb.4081:                             ;   in Loop: Header=BB6_3885 Depth=4
	v_and_b32_e32 v25, 7, v0
	v_lshrrev_b32_e32 v27, 3, v1
	v_cmp_gt_u32_e32 vcc, 8, v1
	v_ffbh_u32_e32 v1, v25
	v_min_u32_e32 v28, 32, v1
	v_subrev_u32_e32 v1, 28, v28
	v_lshlrev_b64 v[1:2], v1, v[0:1]
	v_sub_u32_e32 v2, 29, v28
	v_and_b32_e32 v1, 7, v1
	v_cndmask_b32_e32 v2, v27, v2, vcc
	v_cndmask_b32_e32 v1, v25, v1, vcc
	v_lshlrev_b32_e32 v25, 24, v22
	v_bfrev_b32_e32 v27, 60
	v_lshlrev_b32_e32 v1, 20, v1
	v_and_b32_e32 v25, 0x80000000, v25
	v_lshl_add_u32 v2, v2, 23, v27
	v_or3_b32 v2, v25, v2, v1
.LBB6_4082:                             ;   in Loop: Header=BB6_3885 Depth=4
	s_or_b64 exec, exec, s[52:53]
.LBB6_4083:                             ;   in Loop: Header=BB6_3885 Depth=4
	s_or_b64 exec, exec, s[50:51]
.LBB6_4084:                             ;   in Loop: Header=BB6_3885 Depth=4
	s_or_b64 exec, exec, s[48:49]
	v_and_b32_e32 v1, 0xff, v21
	v_cmp_ne_u16_e32 vcc, 0, v1
	s_and_saveexec_b64 s[48:49], vcc
	s_cbranch_execz .LBB6_4090
; %bb.4085:                             ;   in Loop: Header=BB6_3885 Depth=4
	v_cmp_ne_u16_e32 vcc, s82, v1
	v_bfrev_b32_e32 v24, 1
	s_and_saveexec_b64 s[50:51], vcc
	s_cbranch_execz .LBB6_4089
; %bb.4086:                             ;   in Loop: Header=BB6_3885 Depth=4
	v_and_b32_e32 v25, 0x7f, v21
	v_cmp_ne_u32_e32 vcc, s83, v25
	v_mov_b32_e32 v24, 0x7f800001
	s_and_saveexec_b64 s[52:53], vcc
	s_cbranch_execz .LBB6_4088
; %bb.4087:                             ;   in Loop: Header=BB6_3885 Depth=4
	v_and_b32_e32 v27, 7, v1
	v_ffbh_u32_e32 v24, v27
	v_min_u32_e32 v30, 32, v24
	v_subrev_u32_e32 v24, 28, v30
	v_lshrrev_b32_e32 v28, 3, v25
	v_cmp_gt_u32_e32 vcc, 8, v25
	v_lshlrev_b64 v[24:25], v24, v[1:2]
	v_sub_u32_e32 v1, 29, v30
	v_and_b32_e32 v24, 7, v24
	v_cndmask_b32_e32 v1, v28, v1, vcc
	v_cndmask_b32_e32 v24, v27, v24, vcc
	v_lshlrev_b32_e32 v25, 24, v21
	v_bfrev_b32_e32 v27, 60
	v_lshlrev_b32_e32 v24, 20, v24
	v_and_b32_e32 v25, 0x80000000, v25
	v_lshl_add_u32 v1, v1, 23, v27
	v_or3_b32 v24, v25, v1, v24
.LBB6_4088:                             ;   in Loop: Header=BB6_3885 Depth=4
	s_or_b64 exec, exec, s[52:53]
.LBB6_4089:                             ;   in Loop: Header=BB6_3885 Depth=4
	s_or_b64 exec, exec, s[50:51]
.LBB6_4090:                             ;   in Loop: Header=BB6_3885 Depth=4
	s_or_b64 exec, exec, s[48:49]
	v_max_f32_e32 v1, v24, v24
	v_max_f32_e32 v2, v2, v2
	;; [unrolled: 1-line block ×3, first 2 shown]
	s_mov_b64 s[48:49], 0
.LBB6_4091:                             ;   in Loop: Header=BB6_3885 Depth=4
	s_and_b64 vcc, exec, s[48:49]
	s_cbranch_vccz .LBB6_4105
; %bb.4092:                             ;   in Loop: Header=BB6_3885 Depth=4
	v_mov_b32_e32 v2, 0
	v_mov_b32_e32 v1, 0
	s_and_saveexec_b64 s[48:49], s[40:41]
	s_cbranch_execz .LBB6_4098
; %bb.4093:                             ;   in Loop: Header=BB6_3885 Depth=4
	v_cmp_ne_u16_e32 vcc, s82, v0
	v_bfrev_b32_e32 v1, 1
	s_and_saveexec_b64 s[40:41], vcc
	s_cbranch_execz .LBB6_4097
; %bb.4094:                             ;   in Loop: Header=BB6_3885 Depth=4
	v_and_b32_e32 v24, 0x7f, v22
	v_cmp_ne_u32_e32 vcc, s83, v24
	v_mov_b32_e32 v1, 0x7f800001
	s_and_saveexec_b64 s[50:51], vcc
	s_cbranch_execz .LBB6_4096
; %bb.4095:                             ;   in Loop: Header=BB6_3885 Depth=4
	v_and_b32_e32 v25, 7, v0
	v_ffbh_u32_e32 v1, v25
	v_lshrrev_b32_e32 v27, 3, v24
	v_cmp_gt_u32_e32 vcc, 8, v24
	v_min_u32_e32 v24, 32, v1
	v_subrev_u32_e32 v1, 28, v24
	v_lshlrev_b64 v[0:1], v1, v[0:1]
	v_sub_u32_e32 v1, 29, v24
	v_and_b32_e32 v0, 7, v0
	v_cndmask_b32_e32 v1, v27, v1, vcc
	v_cndmask_b32_e32 v0, v25, v0, vcc
	v_lshlrev_b32_e32 v22, 24, v22
	v_bfrev_b32_e32 v24, 60
	v_lshlrev_b32_e32 v0, 20, v0
	v_and_b32_e32 v22, 0x80000000, v22
	v_lshl_add_u32 v1, v1, 23, v24
	v_or3_b32 v1, v22, v1, v0
.LBB6_4096:                             ;   in Loop: Header=BB6_3885 Depth=4
	s_or_b64 exec, exec, s[50:51]
.LBB6_4097:                             ;   in Loop: Header=BB6_3885 Depth=4
	s_or_b64 exec, exec, s[40:41]
.LBB6_4098:                             ;   in Loop: Header=BB6_3885 Depth=4
	s_or_b64 exec, exec, s[48:49]
	v_and_b32_e32 v0, 0xff, v21
	v_cmp_ne_u16_e32 vcc, 0, v0
	s_and_saveexec_b64 s[40:41], vcc
	s_cbranch_execz .LBB6_4104
; %bb.4099:                             ;   in Loop: Header=BB6_3885 Depth=4
	v_cmp_ne_u16_e32 vcc, s82, v0
	v_bfrev_b32_e32 v2, 1
	s_and_saveexec_b64 s[48:49], vcc
	s_cbranch_execz .LBB6_4103
; %bb.4100:                             ;   in Loop: Header=BB6_3885 Depth=4
	v_and_b32_e32 v22, 0x7f, v21
	v_cmp_ne_u32_e32 vcc, s83, v22
	v_mov_b32_e32 v2, 0x7f800001
	s_and_saveexec_b64 s[50:51], vcc
	s_cbranch_execz .LBB6_4102
; %bb.4101:                             ;   in Loop: Header=BB6_3885 Depth=4
	v_and_b32_e32 v2, 7, v0
	v_lshrrev_b32_e32 v27, 3, v22
	v_cmp_gt_u32_e32 vcc, 8, v22
	v_ffbh_u32_e32 v22, v2
	v_min_u32_e32 v22, 32, v22
	v_subrev_u32_e32 v24, 28, v22
	v_lshlrev_b64 v[24:25], v24, v[0:1]
	v_sub_u32_e32 v0, 29, v22
	v_and_b32_e32 v22, 7, v24
	v_cndmask_b32_e32 v0, v27, v0, vcc
	v_cndmask_b32_e32 v2, v2, v22, vcc
	v_lshlrev_b32_e32 v21, 24, v21
	v_bfrev_b32_e32 v22, 60
	v_lshlrev_b32_e32 v2, 20, v2
	v_and_b32_e32 v21, 0x80000000, v21
	v_lshl_add_u32 v0, v0, 23, v22
	v_or3_b32 v2, v21, v0, v2
.LBB6_4102:                             ;   in Loop: Header=BB6_3885 Depth=4
	s_or_b64 exec, exec, s[50:51]
.LBB6_4103:                             ;   in Loop: Header=BB6_3885 Depth=4
	s_or_b64 exec, exec, s[48:49]
.LBB6_4104:                             ;   in Loop: Header=BB6_3885 Depth=4
	s_or_b64 exec, exec, s[40:41]
	v_max_f32_e32 v0, v2, v2
	v_max_f32_e32 v1, v1, v1
	v_min_f32_e32 v1, v1, v0
.LBB6_4105:                             ;   in Loop: Header=BB6_3885 Depth=4
	v_and_b32_e32 v52, 0x7f800000, v1
	v_cmp_ne_u64_e32 vcc, s[76:77], v[52:53]
                                        ; implicit-def: $vgpr30
	s_and_saveexec_b64 s[40:41], vcc
	s_xor_b64 s[48:49], exec, s[40:41]
	s_cbranch_execz .LBB6_4123
; %bb.4106:                             ;   in Loop: Header=BB6_3885 Depth=4
	v_and_b32_e32 v52, 0x7fffffff, v1
	v_cmp_gt_u64_e32 vcc, s[78:79], v[52:53]
	v_and_b32_sdwa v21, v1, s82 dst_sel:DWORD dst_unused:UNUSED_PAD src0_sel:BYTE_3 src1_sel:DWORD
                                        ; implicit-def: $vgpr30
	s_and_saveexec_b64 s[40:41], vcc
	s_xor_b64 s[50:51], exec, s[40:41]
	s_cbranch_execz .LBB6_4120
; %bb.4107:                             ;   in Loop: Header=BB6_3885 Depth=4
	v_cmp_ne_u32_e32 vcc, 0, v1
	v_mov_b32_e32 v30, 0
	s_and_saveexec_b64 s[52:53], vcc
	s_cbranch_execz .LBB6_4119
; %bb.4108:                             ;   in Loop: Header=BB6_3885 Depth=4
	v_bfe_u32 v22, v1, 23, 8
	v_and_b32_e32 v0, 0x7fffff, v1
	v_cmp_gt_u32_e64 s[40:41], s85, v22
	v_sub_u32_e32 v1, 0x79, v22
	v_cmp_eq_u32_e32 vcc, 0, v22
	v_cndmask_b32_e64 v1, 0, v1, s[40:41]
	v_mov_b32_e32 v24, 0x78
	v_or_b32_e32 v2, 0x800000, v0
	v_cndmask_b32_e32 v24, v1, v24, vcc
	v_cndmask_b32_e32 v52, v2, v0, vcc
	v_add_u32_e32 v0, 20, v24
	v_lshlrev_b64 v[0:1], v0, -1
	v_add_u32_e32 v2, 19, v24
	v_lshlrev_b64 v[27:28], v2, 1
	v_bfi_b32 v1, v1, 0, 0
	v_bfi_b32 v0, v0, 0, v52
	v_cmp_eq_u64_e64 s[40:41], v[0:1], v[27:28]
	v_lshrrev_b64 v[0:1], v24, v[52:53]
	v_mov_b32_e32 v2, v1
	v_mov_b32_e32 v1, v0
	s_and_saveexec_b64 s[54:55], s[40:41]
; %bb.4109:                             ;   in Loop: Header=BB6_3885 Depth=4
	v_bfe_u32 v1, v0, 20, 1
	v_add_co_u32_e64 v1, s[40:41], v0, v1
	v_add_co_u32_e64 v1, s[40:41], -1, v1
; %bb.4110:                             ;   in Loop: Header=BB6_3885 Depth=4
	s_or_b64 exec, exec, s[54:55]
	v_add_u32_e32 v2, 0xffffff81, v22
	v_mov_b32_e32 v22, 0xffffff82
	v_cndmask_b32_e32 v2, v2, v22, vcc
	v_lshrrev_b32_e32 v22, 23, v0
	v_add3_u32 v24, v24, v2, v22
	v_add_u32_e32 v22, 6, v24
	v_and_b32_e32 v1, 0xfffff, v1
	v_add_u32_e32 v52, v1, v0
	v_cmp_ne_u32_e32 vcc, 0, v22
                                        ; implicit-def: $vgpr0_vgpr1
                                        ; implicit-def: $vgpr2
	s_and_saveexec_b64 s[40:41], vcc
	s_xor_b64 s[40:41], exec, s[40:41]
; %bb.4111:                             ;   in Loop: Header=BB6_3885 Depth=4
	v_cmp_lt_u64_e32 vcc, s[88:89], v[52:53]
	v_add_u32_e32 v0, 7, v24
	v_cndmask_b32_e32 v2, v22, v0, vcc
	v_cndmask_b32_e64 v0, 0, 1, vcc
	v_lshrrev_b64 v[0:1], v0, v[52:53]
; %bb.4112:                             ;   in Loop: Header=BB6_3885 Depth=4
	s_andn2_saveexec_b64 s[40:41], s[40:41]
; %bb.4113:                             ;   in Loop: Header=BB6_3885 Depth=4
	v_mov_b32_e32 v0, v52
	v_bfe_u32 v2, v52, 23, 1
	v_mov_b32_e32 v1, v53
; %bb.4114:                             ;   in Loop: Header=BB6_3885 Depth=4
	s_or_b64 exec, exec, s[40:41]
	v_lshrrev_b64 v[0:1], 20, v[0:1]
	v_cmp_gt_i32_e32 vcc, 16, v2
	v_cndmask_b32_e32 v1, 0, v1, vcc
	v_cndmask_b32_e32 v0, 7, v0, vcc
	v_cmp_ne_u64_e32 vcc, 0, v[0:1]
	v_cmp_ne_u32_e64 s[40:41], 0, v2
	s_or_b64 s[40:41], s[40:41], vcc
                                        ; implicit-def: $vgpr30
	s_and_saveexec_b64 vcc, s[40:41]
	s_xor_b64 s[40:41], exec, vcc
; %bb.4115:                             ;   in Loop: Header=BB6_3885 Depth=4
	v_min_i32_e32 v1, 15, v2
	v_lshl_or_b32 v1, v1, 3, v21
	v_and_or_b32 v30, v0, 7, v1
                                        ; implicit-def: $vgpr21
; %bb.4116:                             ;   in Loop: Header=BB6_3885 Depth=4
	s_andn2_saveexec_b64 s[40:41], s[40:41]
; %bb.4117:                             ;   in Loop: Header=BB6_3885 Depth=4
	v_mov_b32_e32 v30, v21
; %bb.4118:                             ;   in Loop: Header=BB6_3885 Depth=4
	s_or_b64 exec, exec, s[40:41]
.LBB6_4119:                             ;   in Loop: Header=BB6_3885 Depth=4
	s_or_b64 exec, exec, s[52:53]
                                        ; implicit-def: $vgpr21
.LBB6_4120:                             ;   in Loop: Header=BB6_3885 Depth=4
	s_andn2_saveexec_b64 s[40:41], s[50:51]
; %bb.4121:                             ;   in Loop: Header=BB6_3885 Depth=4
	v_or_b32_e32 v30, 0x7e, v21
; %bb.4122:                             ;   in Loop: Header=BB6_3885 Depth=4
	s_or_b64 exec, exec, s[40:41]
                                        ; implicit-def: $vgpr1
.LBB6_4123:                             ;   in Loop: Header=BB6_3885 Depth=4
	s_andn2_saveexec_b64 s[40:41], s[48:49]
; %bb.4124:                             ;   in Loop: Header=BB6_3885 Depth=4
	v_or_b32_sdwa v30, v1, s83 dst_sel:DWORD dst_unused:UNUSED_PAD src0_sel:BYTE_3 src1_sel:DWORD
; %bb.4125:                             ;   in Loop: Header=BB6_3885 Depth=4
	s_or_b64 exec, exec, s[40:41]
	v_and_b32_e32 v0, 0xff, v29
	v_cmp_ne_u16_e64 s[40:41], 0, v0
	s_and_b64 vcc, exec, s[28:29]
	s_mov_b64 s[48:49], -1
                                        ; implicit-def: $vgpr1
	s_cbranch_vccnz .LBB6_4139
; %bb.4126:                             ;   in Loop: Header=BB6_3885 Depth=4
	v_mov_b32_e32 v21, 0
	v_mov_b32_e32 v2, 0
	s_and_saveexec_b64 s[48:49], s[40:41]
	s_cbranch_execz .LBB6_4132
; %bb.4127:                             ;   in Loop: Header=BB6_3885 Depth=4
	v_cmp_ne_u16_e32 vcc, s82, v0
	v_bfrev_b32_e32 v2, 1
	s_and_saveexec_b64 s[50:51], vcc
	s_cbranch_execz .LBB6_4131
; %bb.4128:                             ;   in Loop: Header=BB6_3885 Depth=4
	v_and_b32_e32 v1, 0x7f, v29
	v_cmp_ne_u32_e32 vcc, s83, v1
	v_mov_b32_e32 v2, 0x7f800001
	s_and_saveexec_b64 s[52:53], vcc
	s_cbranch_execz .LBB6_4130
; %bb.4129:                             ;   in Loop: Header=BB6_3885 Depth=4
	v_and_b32_e32 v22, 7, v0
	v_lshrrev_b32_e32 v24, 3, v1
	v_cmp_gt_u32_e32 vcc, 8, v1
	v_ffbh_u32_e32 v1, v22
	v_min_u32_e32 v25, 32, v1
	v_subrev_u32_e32 v1, 28, v25
	v_lshlrev_b64 v[1:2], v1, v[0:1]
	v_sub_u32_e32 v2, 29, v25
	v_and_b32_e32 v1, 7, v1
	v_cndmask_b32_e32 v2, v24, v2, vcc
	v_cndmask_b32_e32 v1, v22, v1, vcc
	v_lshlrev_b32_e32 v22, 24, v29
	v_bfrev_b32_e32 v24, 60
	v_lshlrev_b32_e32 v1, 20, v1
	v_and_b32_e32 v22, 0x80000000, v22
	v_lshl_add_u32 v2, v2, 23, v24
	v_or3_b32 v2, v22, v2, v1
.LBB6_4130:                             ;   in Loop: Header=BB6_3885 Depth=4
	s_or_b64 exec, exec, s[52:53]
.LBB6_4131:                             ;   in Loop: Header=BB6_3885 Depth=4
	s_or_b64 exec, exec, s[50:51]
.LBB6_4132:                             ;   in Loop: Header=BB6_3885 Depth=4
	s_or_b64 exec, exec, s[48:49]
	v_and_b32_e32 v1, 0xff, v32
	v_cmp_ne_u16_e32 vcc, 0, v1
	s_and_saveexec_b64 s[48:49], vcc
	s_cbranch_execz .LBB6_4138
; %bb.4133:                             ;   in Loop: Header=BB6_3885 Depth=4
	v_cmp_ne_u16_e32 vcc, s82, v1
	v_bfrev_b32_e32 v21, 1
	s_and_saveexec_b64 s[50:51], vcc
	s_cbranch_execz .LBB6_4137
; %bb.4134:                             ;   in Loop: Header=BB6_3885 Depth=4
	v_and_b32_e32 v22, 0x7f, v32
	v_cmp_ne_u32_e32 vcc, s83, v22
	v_mov_b32_e32 v21, 0x7f800001
	s_and_saveexec_b64 s[52:53], vcc
	s_cbranch_execz .LBB6_4136
; %bb.4135:                             ;   in Loop: Header=BB6_3885 Depth=4
	v_and_b32_e32 v24, 7, v1
	v_ffbh_u32_e32 v21, v24
	v_min_u32_e32 v27, 32, v21
	v_subrev_u32_e32 v21, 28, v27
	v_lshrrev_b32_e32 v25, 3, v22
	v_cmp_gt_u32_e32 vcc, 8, v22
	v_lshlrev_b64 v[21:22], v21, v[1:2]
	v_sub_u32_e32 v1, 29, v27
	v_and_b32_e32 v21, 7, v21
	v_cndmask_b32_e32 v1, v25, v1, vcc
	v_cndmask_b32_e32 v21, v24, v21, vcc
	v_lshlrev_b32_e32 v22, 24, v32
	v_bfrev_b32_e32 v24, 60
	v_lshlrev_b32_e32 v21, 20, v21
	v_and_b32_e32 v22, 0x80000000, v22
	v_lshl_add_u32 v1, v1, 23, v24
	v_or3_b32 v21, v22, v1, v21
.LBB6_4136:                             ;   in Loop: Header=BB6_3885 Depth=4
	s_or_b64 exec, exec, s[52:53]
.LBB6_4137:                             ;   in Loop: Header=BB6_3885 Depth=4
	s_or_b64 exec, exec, s[50:51]
.LBB6_4138:                             ;   in Loop: Header=BB6_3885 Depth=4
	s_or_b64 exec, exec, s[48:49]
	v_max_f32_e32 v1, v21, v21
	v_max_f32_e32 v2, v2, v2
	;; [unrolled: 1-line block ×3, first 2 shown]
	s_mov_b64 s[48:49], 0
.LBB6_4139:                             ;   in Loop: Header=BB6_3885 Depth=4
	s_and_b64 vcc, exec, s[48:49]
	s_cbranch_vccz .LBB6_4153
; %bb.4140:                             ;   in Loop: Header=BB6_3885 Depth=4
	v_mov_b32_e32 v2, 0
	v_mov_b32_e32 v1, 0
	s_and_saveexec_b64 s[48:49], s[40:41]
	s_cbranch_execz .LBB6_4146
; %bb.4141:                             ;   in Loop: Header=BB6_3885 Depth=4
	v_cmp_ne_u16_e32 vcc, s82, v0
	v_bfrev_b32_e32 v1, 1
	s_and_saveexec_b64 s[40:41], vcc
	s_cbranch_execz .LBB6_4145
; %bb.4142:                             ;   in Loop: Header=BB6_3885 Depth=4
	v_and_b32_e32 v21, 0x7f, v29
	v_cmp_ne_u32_e32 vcc, s83, v21
	v_mov_b32_e32 v1, 0x7f800001
	s_and_saveexec_b64 s[50:51], vcc
	s_cbranch_execz .LBB6_4144
; %bb.4143:                             ;   in Loop: Header=BB6_3885 Depth=4
	v_and_b32_e32 v22, 7, v0
	v_ffbh_u32_e32 v1, v22
	v_lshrrev_b32_e32 v24, 3, v21
	v_cmp_gt_u32_e32 vcc, 8, v21
	v_min_u32_e32 v21, 32, v1
	v_subrev_u32_e32 v1, 28, v21
	v_lshlrev_b64 v[0:1], v1, v[0:1]
	v_sub_u32_e32 v1, 29, v21
	v_and_b32_e32 v0, 7, v0
	v_cndmask_b32_e32 v1, v24, v1, vcc
	v_cndmask_b32_e32 v0, v22, v0, vcc
	v_lshlrev_b32_e32 v21, 24, v29
	v_bfrev_b32_e32 v22, 60
	v_lshlrev_b32_e32 v0, 20, v0
	v_and_b32_e32 v21, 0x80000000, v21
	v_lshl_add_u32 v1, v1, 23, v22
	v_or3_b32 v1, v21, v1, v0
.LBB6_4144:                             ;   in Loop: Header=BB6_3885 Depth=4
	s_or_b64 exec, exec, s[50:51]
.LBB6_4145:                             ;   in Loop: Header=BB6_3885 Depth=4
	s_or_b64 exec, exec, s[40:41]
.LBB6_4146:                             ;   in Loop: Header=BB6_3885 Depth=4
	s_or_b64 exec, exec, s[48:49]
	v_and_b32_e32 v0, 0xff, v32
	v_cmp_ne_u16_e32 vcc, 0, v0
	s_and_saveexec_b64 s[40:41], vcc
	s_cbranch_execz .LBB6_4152
; %bb.4147:                             ;   in Loop: Header=BB6_3885 Depth=4
	v_cmp_ne_u16_e32 vcc, s82, v0
	v_bfrev_b32_e32 v2, 1
	s_and_saveexec_b64 s[48:49], vcc
	s_cbranch_execz .LBB6_4151
; %bb.4148:                             ;   in Loop: Header=BB6_3885 Depth=4
	v_and_b32_e32 v21, 0x7f, v32
	v_cmp_ne_u32_e32 vcc, s83, v21
	v_mov_b32_e32 v2, 0x7f800001
	s_and_saveexec_b64 s[50:51], vcc
	s_cbranch_execz .LBB6_4150
; %bb.4149:                             ;   in Loop: Header=BB6_3885 Depth=4
	v_and_b32_e32 v2, 7, v0
	v_lshrrev_b32_e32 v24, 3, v21
	v_cmp_gt_u32_e32 vcc, 8, v21
	v_ffbh_u32_e32 v21, v2
	v_min_u32_e32 v25, 32, v21
	v_subrev_u32_e32 v21, 28, v25
	v_lshlrev_b64 v[21:22], v21, v[0:1]
	v_sub_u32_e32 v0, 29, v25
	v_and_b32_e32 v21, 7, v21
	v_cndmask_b32_e32 v0, v24, v0, vcc
	v_cndmask_b32_e32 v2, v2, v21, vcc
	v_lshlrev_b32_e32 v21, 24, v32
	v_bfrev_b32_e32 v22, 60
	v_lshlrev_b32_e32 v2, 20, v2
	v_and_b32_e32 v21, 0x80000000, v21
	v_lshl_add_u32 v0, v0, 23, v22
	v_or3_b32 v2, v21, v0, v2
.LBB6_4150:                             ;   in Loop: Header=BB6_3885 Depth=4
	s_or_b64 exec, exec, s[50:51]
.LBB6_4151:                             ;   in Loop: Header=BB6_3885 Depth=4
	s_or_b64 exec, exec, s[48:49]
.LBB6_4152:                             ;   in Loop: Header=BB6_3885 Depth=4
	s_or_b64 exec, exec, s[40:41]
	v_max_f32_e32 v0, v2, v2
	v_max_f32_e32 v1, v1, v1
	v_min_f32_e32 v1, v1, v0
.LBB6_4153:                             ;   in Loop: Header=BB6_3885 Depth=4
	v_and_b32_e32 v52, 0x7f800000, v1
	v_cmp_ne_u64_e32 vcc, s[76:77], v[52:53]
                                        ; implicit-def: $vgpr32
	s_mov_b64 s[40:41], exec
	s_and_b64 vcc, s[40:41], vcc
	s_xor_b64 s[48:49], vcc, s[40:41]
	v_mov_b32_e32 v29, v48
	v_mov_b32_e32 v48, v46
	s_mov_b64 exec, vcc
	s_cbranch_execz .LBB6_4171
; %bb.4154:                             ;   in Loop: Header=BB6_3885 Depth=4
	v_and_b32_e32 v52, 0x7fffffff, v1
	v_cmp_gt_u64_e32 vcc, s[78:79], v[52:53]
	v_and_b32_sdwa v21, v1, s82 dst_sel:DWORD dst_unused:UNUSED_PAD src0_sel:BYTE_3 src1_sel:DWORD
                                        ; implicit-def: $vgpr32
	s_and_saveexec_b64 s[40:41], vcc
	s_xor_b64 s[50:51], exec, s[40:41]
	s_cbranch_execz .LBB6_4168
; %bb.4155:                             ;   in Loop: Header=BB6_3885 Depth=4
	v_cmp_ne_u32_e32 vcc, 0, v1
	v_mov_b32_e32 v32, 0
	s_and_saveexec_b64 s[52:53], vcc
	s_cbranch_execz .LBB6_4167
; %bb.4156:                             ;   in Loop: Header=BB6_3885 Depth=4
	v_bfe_u32 v22, v1, 23, 8
	v_and_b32_e32 v0, 0x7fffff, v1
	v_cmp_gt_u32_e64 s[40:41], s85, v22
	v_sub_u32_e32 v1, 0x79, v22
	v_cmp_eq_u32_e32 vcc, 0, v22
	v_cndmask_b32_e64 v1, 0, v1, s[40:41]
	v_mov_b32_e32 v24, 0x78
	v_or_b32_e32 v2, 0x800000, v0
	v_cndmask_b32_e32 v24, v1, v24, vcc
	v_cndmask_b32_e32 v52, v2, v0, vcc
	v_add_u32_e32 v0, 20, v24
	v_lshlrev_b64 v[0:1], v0, -1
	v_add_u32_e32 v2, 19, v24
	v_lshlrev_b64 v[27:28], v2, 1
	v_bfi_b32 v1, v1, 0, 0
	v_bfi_b32 v0, v0, 0, v52
	v_cmp_eq_u64_e64 s[40:41], v[0:1], v[27:28]
	v_lshrrev_b64 v[0:1], v24, v[52:53]
	v_mov_b32_e32 v2, v1
	v_mov_b32_e32 v1, v0
	s_and_saveexec_b64 s[54:55], s[40:41]
; %bb.4157:                             ;   in Loop: Header=BB6_3885 Depth=4
	v_bfe_u32 v1, v0, 20, 1
	v_add_co_u32_e64 v1, s[40:41], v0, v1
	v_add_co_u32_e64 v1, s[40:41], -1, v1
; %bb.4158:                             ;   in Loop: Header=BB6_3885 Depth=4
	s_or_b64 exec, exec, s[54:55]
	v_add_u32_e32 v2, 0xffffff81, v22
	v_mov_b32_e32 v22, 0xffffff82
	v_cndmask_b32_e32 v2, v2, v22, vcc
	v_lshrrev_b32_e32 v22, 23, v0
	v_add3_u32 v24, v24, v2, v22
	v_add_u32_e32 v22, 6, v24
	v_and_b32_e32 v1, 0xfffff, v1
	v_add_u32_e32 v52, v1, v0
	v_cmp_ne_u32_e32 vcc, 0, v22
                                        ; implicit-def: $vgpr0_vgpr1
                                        ; implicit-def: $vgpr2
	s_and_saveexec_b64 s[40:41], vcc
	s_xor_b64 s[40:41], exec, s[40:41]
; %bb.4159:                             ;   in Loop: Header=BB6_3885 Depth=4
	v_cmp_lt_u64_e32 vcc, s[88:89], v[52:53]
	v_add_u32_e32 v0, 7, v24
	v_cndmask_b32_e32 v2, v22, v0, vcc
	v_cndmask_b32_e64 v0, 0, 1, vcc
	v_lshrrev_b64 v[0:1], v0, v[52:53]
; %bb.4160:                             ;   in Loop: Header=BB6_3885 Depth=4
	s_andn2_saveexec_b64 s[40:41], s[40:41]
; %bb.4161:                             ;   in Loop: Header=BB6_3885 Depth=4
	v_mov_b32_e32 v0, v52
	v_bfe_u32 v2, v52, 23, 1
	v_mov_b32_e32 v1, v53
; %bb.4162:                             ;   in Loop: Header=BB6_3885 Depth=4
	s_or_b64 exec, exec, s[40:41]
	v_lshrrev_b64 v[0:1], 20, v[0:1]
	v_cmp_gt_i32_e32 vcc, 16, v2
	v_cndmask_b32_e32 v1, 0, v1, vcc
	v_cndmask_b32_e32 v0, 7, v0, vcc
	v_cmp_ne_u64_e32 vcc, 0, v[0:1]
	v_cmp_ne_u32_e64 s[40:41], 0, v2
	s_or_b64 s[40:41], s[40:41], vcc
                                        ; implicit-def: $vgpr32
	s_and_saveexec_b64 vcc, s[40:41]
	s_xor_b64 s[40:41], exec, vcc
; %bb.4163:                             ;   in Loop: Header=BB6_3885 Depth=4
	v_min_i32_e32 v1, 15, v2
	v_lshl_or_b32 v1, v1, 3, v21
	v_and_or_b32 v32, v0, 7, v1
                                        ; implicit-def: $vgpr21
; %bb.4164:                             ;   in Loop: Header=BB6_3885 Depth=4
	s_andn2_saveexec_b64 s[40:41], s[40:41]
; %bb.4165:                             ;   in Loop: Header=BB6_3885 Depth=4
	v_mov_b32_e32 v32, v21
; %bb.4166:                             ;   in Loop: Header=BB6_3885 Depth=4
	s_or_b64 exec, exec, s[40:41]
.LBB6_4167:                             ;   in Loop: Header=BB6_3885 Depth=4
	s_or_b64 exec, exec, s[52:53]
                                        ; implicit-def: $vgpr21
.LBB6_4168:                             ;   in Loop: Header=BB6_3885 Depth=4
	s_andn2_saveexec_b64 s[40:41], s[50:51]
; %bb.4169:                             ;   in Loop: Header=BB6_3885 Depth=4
	v_or_b32_e32 v32, 0x7e, v21
; %bb.4170:                             ;   in Loop: Header=BB6_3885 Depth=4
	s_or_b64 exec, exec, s[40:41]
                                        ; implicit-def: $vgpr1
.LBB6_4171:                             ;   in Loop: Header=BB6_3885 Depth=4
	s_andn2_saveexec_b64 s[40:41], s[48:49]
; %bb.4172:                             ;   in Loop: Header=BB6_3885 Depth=4
	v_or_b32_sdwa v32, v1, s83 dst_sel:DWORD dst_unused:UNUSED_PAD src0_sel:BYTE_3 src1_sel:DWORD
; %bb.4173:                             ;   in Loop: Header=BB6_3885 Depth=4
	s_or_b64 exec, exec, s[40:41]
	v_and_b32_e32 v0, 0xff, v19
	v_cmp_ne_u16_e64 s[40:41], 0, v0
	s_and_b64 vcc, exec, s[28:29]
	s_mov_b64 s[48:49], -1
                                        ; implicit-def: $vgpr1
	s_cbranch_vccnz .LBB6_4187
; %bb.4174:                             ;   in Loop: Header=BB6_3885 Depth=4
	v_mov_b32_e32 v21, 0
	v_mov_b32_e32 v2, 0
	s_and_saveexec_b64 s[48:49], s[40:41]
	s_cbranch_execz .LBB6_4180
; %bb.4175:                             ;   in Loop: Header=BB6_3885 Depth=4
	v_cmp_ne_u16_e32 vcc, s82, v0
	v_bfrev_b32_e32 v2, 1
	s_and_saveexec_b64 s[50:51], vcc
	s_cbranch_execz .LBB6_4179
; %bb.4176:                             ;   in Loop: Header=BB6_3885 Depth=4
	v_and_b32_e32 v1, 0x7f, v19
	v_cmp_ne_u32_e32 vcc, s83, v1
	v_mov_b32_e32 v2, 0x7f800001
	s_and_saveexec_b64 s[52:53], vcc
	s_cbranch_execz .LBB6_4178
; %bb.4177:                             ;   in Loop: Header=BB6_3885 Depth=4
	v_and_b32_e32 v22, 7, v0
	v_lshrrev_b32_e32 v24, 3, v1
	v_cmp_gt_u32_e32 vcc, 8, v1
	v_ffbh_u32_e32 v1, v22
	v_min_u32_e32 v25, 32, v1
	v_subrev_u32_e32 v1, 28, v25
	v_lshlrev_b64 v[1:2], v1, v[0:1]
	v_sub_u32_e32 v2, 29, v25
	v_and_b32_e32 v1, 7, v1
	v_cndmask_b32_e32 v2, v24, v2, vcc
	v_cndmask_b32_e32 v1, v22, v1, vcc
	v_lshlrev_b32_e32 v22, 24, v19
	v_bfrev_b32_e32 v24, 60
	v_lshlrev_b32_e32 v1, 20, v1
	v_and_b32_e32 v22, 0x80000000, v22
	v_lshl_add_u32 v2, v2, 23, v24
	v_or3_b32 v2, v22, v2, v1
.LBB6_4178:                             ;   in Loop: Header=BB6_3885 Depth=4
	s_or_b64 exec, exec, s[52:53]
.LBB6_4179:                             ;   in Loop: Header=BB6_3885 Depth=4
	s_or_b64 exec, exec, s[50:51]
.LBB6_4180:                             ;   in Loop: Header=BB6_3885 Depth=4
	s_or_b64 exec, exec, s[48:49]
	v_and_b32_e32 v1, 0xff, v35
	v_cmp_ne_u16_e32 vcc, 0, v1
	s_and_saveexec_b64 s[48:49], vcc
	s_cbranch_execz .LBB6_4186
; %bb.4181:                             ;   in Loop: Header=BB6_3885 Depth=4
	v_cmp_ne_u16_e32 vcc, s82, v1
	v_bfrev_b32_e32 v21, 1
	s_and_saveexec_b64 s[50:51], vcc
	s_cbranch_execz .LBB6_4185
; %bb.4182:                             ;   in Loop: Header=BB6_3885 Depth=4
	v_and_b32_e32 v22, 0x7f, v35
	v_cmp_ne_u32_e32 vcc, s83, v22
	v_mov_b32_e32 v21, 0x7f800001
	s_and_saveexec_b64 s[52:53], vcc
	s_cbranch_execz .LBB6_4184
; %bb.4183:                             ;   in Loop: Header=BB6_3885 Depth=4
	v_and_b32_e32 v24, 7, v1
	v_ffbh_u32_e32 v21, v24
	v_min_u32_e32 v27, 32, v21
	v_subrev_u32_e32 v21, 28, v27
	v_lshrrev_b32_e32 v25, 3, v22
	v_cmp_gt_u32_e32 vcc, 8, v22
	v_lshlrev_b64 v[21:22], v21, v[1:2]
	v_sub_u32_e32 v1, 29, v27
	v_and_b32_e32 v21, 7, v21
	v_cndmask_b32_e32 v1, v25, v1, vcc
	v_cndmask_b32_e32 v21, v24, v21, vcc
	v_lshlrev_b32_e32 v22, 24, v35
	v_bfrev_b32_e32 v24, 60
	v_lshlrev_b32_e32 v21, 20, v21
	v_and_b32_e32 v22, 0x80000000, v22
	v_lshl_add_u32 v1, v1, 23, v24
	v_or3_b32 v21, v22, v1, v21
.LBB6_4184:                             ;   in Loop: Header=BB6_3885 Depth=4
	s_or_b64 exec, exec, s[52:53]
.LBB6_4185:                             ;   in Loop: Header=BB6_3885 Depth=4
	s_or_b64 exec, exec, s[50:51]
.LBB6_4186:                             ;   in Loop: Header=BB6_3885 Depth=4
	s_or_b64 exec, exec, s[48:49]
	v_max_f32_e32 v1, v21, v21
	v_max_f32_e32 v2, v2, v2
	v_max_f32_e32 v1, v2, v1
	s_mov_b64 s[48:49], 0
.LBB6_4187:                             ;   in Loop: Header=BB6_3885 Depth=4
	s_and_b64 vcc, exec, s[48:49]
	s_cbranch_vccz .LBB6_4201
; %bb.4188:                             ;   in Loop: Header=BB6_3885 Depth=4
	v_mov_b32_e32 v2, 0
	v_mov_b32_e32 v1, 0
	s_and_saveexec_b64 s[48:49], s[40:41]
	s_cbranch_execz .LBB6_4194
; %bb.4189:                             ;   in Loop: Header=BB6_3885 Depth=4
	v_cmp_ne_u16_e32 vcc, s82, v0
	v_bfrev_b32_e32 v1, 1
	s_and_saveexec_b64 s[40:41], vcc
	s_cbranch_execz .LBB6_4193
; %bb.4190:                             ;   in Loop: Header=BB6_3885 Depth=4
	v_and_b32_e32 v21, 0x7f, v19
	v_cmp_ne_u32_e32 vcc, s83, v21
	v_mov_b32_e32 v1, 0x7f800001
	s_and_saveexec_b64 s[50:51], vcc
	s_cbranch_execz .LBB6_4192
; %bb.4191:                             ;   in Loop: Header=BB6_3885 Depth=4
	v_and_b32_e32 v22, 7, v0
	v_ffbh_u32_e32 v1, v22
	v_lshrrev_b32_e32 v24, 3, v21
	v_cmp_gt_u32_e32 vcc, 8, v21
	v_min_u32_e32 v21, 32, v1
	v_subrev_u32_e32 v1, 28, v21
	v_lshlrev_b64 v[0:1], v1, v[0:1]
	v_sub_u32_e32 v1, 29, v21
	v_and_b32_e32 v0, 7, v0
	v_cndmask_b32_e32 v1, v24, v1, vcc
	v_cndmask_b32_e32 v0, v22, v0, vcc
	v_lshlrev_b32_e32 v19, 24, v19
	v_bfrev_b32_e32 v21, 60
	v_lshlrev_b32_e32 v0, 20, v0
	v_and_b32_e32 v19, 0x80000000, v19
	v_lshl_add_u32 v1, v1, 23, v21
	v_or3_b32 v1, v19, v1, v0
.LBB6_4192:                             ;   in Loop: Header=BB6_3885 Depth=4
	s_or_b64 exec, exec, s[50:51]
.LBB6_4193:                             ;   in Loop: Header=BB6_3885 Depth=4
	s_or_b64 exec, exec, s[40:41]
.LBB6_4194:                             ;   in Loop: Header=BB6_3885 Depth=4
	s_or_b64 exec, exec, s[48:49]
	v_and_b32_e32 v0, 0xff, v35
	v_cmp_ne_u16_e32 vcc, 0, v0
	s_and_saveexec_b64 s[40:41], vcc
	s_cbranch_execz .LBB6_4200
; %bb.4195:                             ;   in Loop: Header=BB6_3885 Depth=4
	v_cmp_ne_u16_e32 vcc, s82, v0
	v_bfrev_b32_e32 v2, 1
	s_and_saveexec_b64 s[48:49], vcc
	s_cbranch_execz .LBB6_4199
; %bb.4196:                             ;   in Loop: Header=BB6_3885 Depth=4
	v_and_b32_e32 v19, 0x7f, v35
	v_cmp_ne_u32_e32 vcc, s83, v19
	v_mov_b32_e32 v2, 0x7f800001
	s_and_saveexec_b64 s[50:51], vcc
	s_cbranch_execz .LBB6_4198
; %bb.4197:                             ;   in Loop: Header=BB6_3885 Depth=4
	v_and_b32_e32 v2, 7, v0
	v_lshrrev_b32_e32 v24, 3, v19
	v_cmp_gt_u32_e32 vcc, 8, v19
	v_ffbh_u32_e32 v19, v2
	v_min_u32_e32 v19, 32, v19
	v_subrev_u32_e32 v21, 28, v19
	v_lshlrev_b64 v[21:22], v21, v[0:1]
	v_sub_u32_e32 v0, 29, v19
	v_and_b32_e32 v19, 7, v21
	v_cndmask_b32_e32 v0, v24, v0, vcc
	v_cndmask_b32_e32 v2, v2, v19, vcc
	v_lshlrev_b32_e32 v19, 24, v35
	v_bfrev_b32_e32 v21, 60
	v_lshlrev_b32_e32 v2, 20, v2
	v_and_b32_e32 v19, 0x80000000, v19
	v_lshl_add_u32 v0, v0, 23, v21
	v_or3_b32 v2, v19, v0, v2
.LBB6_4198:                             ;   in Loop: Header=BB6_3885 Depth=4
	s_or_b64 exec, exec, s[50:51]
.LBB6_4199:                             ;   in Loop: Header=BB6_3885 Depth=4
	s_or_b64 exec, exec, s[48:49]
.LBB6_4200:                             ;   in Loop: Header=BB6_3885 Depth=4
	s_or_b64 exec, exec, s[40:41]
	v_max_f32_e32 v0, v2, v2
	v_max_f32_e32 v1, v1, v1
	v_min_f32_e32 v1, v1, v0
.LBB6_4201:                             ;   in Loop: Header=BB6_3885 Depth=4
	v_and_b32_e32 v52, 0x7f800000, v1
	v_cmp_ne_u64_e32 vcc, s[76:77], v[52:53]
                                        ; implicit-def: $vgpr35
	s_and_saveexec_b64 s[40:41], vcc
	s_xor_b64 s[48:49], exec, s[40:41]
	s_cbranch_execz .LBB6_4219
; %bb.4202:                             ;   in Loop: Header=BB6_3885 Depth=4
	v_and_b32_e32 v52, 0x7fffffff, v1
	v_cmp_gt_u64_e32 vcc, s[78:79], v[52:53]
	v_and_b32_sdwa v19, v1, s82 dst_sel:DWORD dst_unused:UNUSED_PAD src0_sel:BYTE_3 src1_sel:DWORD
                                        ; implicit-def: $vgpr35
	s_and_saveexec_b64 s[40:41], vcc
	s_xor_b64 s[50:51], exec, s[40:41]
	s_cbranch_execz .LBB6_4216
; %bb.4203:                             ;   in Loop: Header=BB6_3885 Depth=4
	v_cmp_ne_u32_e32 vcc, 0, v1
	v_mov_b32_e32 v35, 0
	s_and_saveexec_b64 s[52:53], vcc
	s_cbranch_execz .LBB6_4215
; %bb.4204:                             ;   in Loop: Header=BB6_3885 Depth=4
	v_bfe_u32 v21, v1, 23, 8
	v_and_b32_e32 v0, 0x7fffff, v1
	v_cmp_gt_u32_e64 s[40:41], s85, v21
	v_sub_u32_e32 v1, 0x79, v21
	v_cmp_eq_u32_e32 vcc, 0, v21
	v_cndmask_b32_e64 v1, 0, v1, s[40:41]
	v_mov_b32_e32 v22, 0x78
	v_or_b32_e32 v2, 0x800000, v0
	v_cndmask_b32_e32 v22, v1, v22, vcc
	v_cndmask_b32_e32 v52, v2, v0, vcc
	v_add_u32_e32 v0, 20, v22
	v_lshlrev_b64 v[0:1], v0, -1
	v_add_u32_e32 v2, 19, v22
	v_lshlrev_b64 v[24:25], v2, 1
	v_bfi_b32 v1, v1, 0, 0
	v_bfi_b32 v0, v0, 0, v52
	v_cmp_eq_u64_e64 s[40:41], v[0:1], v[24:25]
	v_lshrrev_b64 v[0:1], v22, v[52:53]
	v_mov_b32_e32 v2, v1
	v_mov_b32_e32 v1, v0
	s_and_saveexec_b64 s[54:55], s[40:41]
; %bb.4205:                             ;   in Loop: Header=BB6_3885 Depth=4
	v_bfe_u32 v1, v0, 20, 1
	v_add_co_u32_e64 v1, s[40:41], v0, v1
	v_add_co_u32_e64 v1, s[40:41], -1, v1
; %bb.4206:                             ;   in Loop: Header=BB6_3885 Depth=4
	s_or_b64 exec, exec, s[54:55]
	v_add_u32_e32 v2, 0xffffff81, v21
	v_mov_b32_e32 v21, 0xffffff82
	v_cndmask_b32_e32 v2, v2, v21, vcc
	v_lshrrev_b32_e32 v21, 23, v0
	v_add3_u32 v22, v22, v2, v21
	v_add_u32_e32 v21, 6, v22
	v_and_b32_e32 v1, 0xfffff, v1
	v_add_u32_e32 v52, v1, v0
	v_cmp_ne_u32_e32 vcc, 0, v21
                                        ; implicit-def: $vgpr0_vgpr1
                                        ; implicit-def: $vgpr2
	s_and_saveexec_b64 s[40:41], vcc
	s_xor_b64 s[40:41], exec, s[40:41]
; %bb.4207:                             ;   in Loop: Header=BB6_3885 Depth=4
	v_cmp_lt_u64_e32 vcc, s[88:89], v[52:53]
	v_add_u32_e32 v0, 7, v22
	v_cndmask_b32_e32 v2, v21, v0, vcc
	v_cndmask_b32_e64 v0, 0, 1, vcc
	v_lshrrev_b64 v[0:1], v0, v[52:53]
; %bb.4208:                             ;   in Loop: Header=BB6_3885 Depth=4
	s_andn2_saveexec_b64 s[40:41], s[40:41]
; %bb.4209:                             ;   in Loop: Header=BB6_3885 Depth=4
	v_mov_b32_e32 v0, v52
	v_bfe_u32 v2, v52, 23, 1
	v_mov_b32_e32 v1, v53
; %bb.4210:                             ;   in Loop: Header=BB6_3885 Depth=4
	s_or_b64 exec, exec, s[40:41]
	v_lshrrev_b64 v[0:1], 20, v[0:1]
	v_cmp_gt_i32_e32 vcc, 16, v2
	v_cndmask_b32_e32 v1, 0, v1, vcc
	v_cndmask_b32_e32 v0, 7, v0, vcc
	v_cmp_ne_u64_e32 vcc, 0, v[0:1]
	v_cmp_ne_u32_e64 s[40:41], 0, v2
	s_or_b64 s[40:41], s[40:41], vcc
                                        ; implicit-def: $vgpr35
	s_and_saveexec_b64 vcc, s[40:41]
	s_xor_b64 s[40:41], exec, vcc
; %bb.4211:                             ;   in Loop: Header=BB6_3885 Depth=4
	v_min_i32_e32 v1, 15, v2
	v_lshl_or_b32 v1, v1, 3, v19
	v_and_or_b32 v35, v0, 7, v1
                                        ; implicit-def: $vgpr19
; %bb.4212:                             ;   in Loop: Header=BB6_3885 Depth=4
	s_andn2_saveexec_b64 s[40:41], s[40:41]
; %bb.4213:                             ;   in Loop: Header=BB6_3885 Depth=4
	v_mov_b32_e32 v35, v19
; %bb.4214:                             ;   in Loop: Header=BB6_3885 Depth=4
	s_or_b64 exec, exec, s[40:41]
.LBB6_4215:                             ;   in Loop: Header=BB6_3885 Depth=4
	s_or_b64 exec, exec, s[52:53]
                                        ; implicit-def: $vgpr19
.LBB6_4216:                             ;   in Loop: Header=BB6_3885 Depth=4
	s_andn2_saveexec_b64 s[40:41], s[50:51]
; %bb.4217:                             ;   in Loop: Header=BB6_3885 Depth=4
	v_or_b32_e32 v35, 0x7e, v19
; %bb.4218:                             ;   in Loop: Header=BB6_3885 Depth=4
	s_or_b64 exec, exec, s[40:41]
                                        ; implicit-def: $vgpr1
.LBB6_4219:                             ;   in Loop: Header=BB6_3885 Depth=4
	s_andn2_saveexec_b64 s[40:41], s[48:49]
; %bb.4220:                             ;   in Loop: Header=BB6_3885 Depth=4
	v_or_b32_sdwa v35, v1, s83 dst_sel:DWORD dst_unused:UNUSED_PAD src0_sel:BYTE_3 src1_sel:DWORD
; %bb.4221:                             ;   in Loop: Header=BB6_3885 Depth=4
	s_or_b64 exec, exec, s[40:41]
	v_and_b32_e32 v0, 0xff, v18
	v_cmp_ne_u16_e64 s[40:41], 0, v0
	s_and_b64 vcc, exec, s[28:29]
	s_mov_b64 s[48:49], -1
                                        ; implicit-def: $vgpr1
	s_cbranch_vccnz .LBB6_4235
; %bb.4222:                             ;   in Loop: Header=BB6_3885 Depth=4
	v_mov_b32_e32 v19, 0
	v_mov_b32_e32 v2, 0
	s_and_saveexec_b64 s[48:49], s[40:41]
	s_cbranch_execz .LBB6_4228
; %bb.4223:                             ;   in Loop: Header=BB6_3885 Depth=4
	v_cmp_ne_u16_e32 vcc, s82, v0
	v_bfrev_b32_e32 v2, 1
	s_and_saveexec_b64 s[50:51], vcc
	s_cbranch_execz .LBB6_4227
; %bb.4224:                             ;   in Loop: Header=BB6_3885 Depth=4
	v_and_b32_e32 v1, 0x7f, v18
	v_cmp_ne_u32_e32 vcc, s83, v1
	v_mov_b32_e32 v2, 0x7f800001
	s_and_saveexec_b64 s[52:53], vcc
	s_cbranch_execz .LBB6_4226
; %bb.4225:                             ;   in Loop: Header=BB6_3885 Depth=4
	v_and_b32_e32 v21, 7, v0
	v_lshrrev_b32_e32 v22, 3, v1
	v_cmp_gt_u32_e32 vcc, 8, v1
	v_ffbh_u32_e32 v1, v21
	v_min_u32_e32 v24, 32, v1
	v_subrev_u32_e32 v1, 28, v24
	v_lshlrev_b64 v[1:2], v1, v[0:1]
	v_sub_u32_e32 v2, 29, v24
	v_and_b32_e32 v1, 7, v1
	v_cndmask_b32_e32 v2, v22, v2, vcc
	v_cndmask_b32_e32 v1, v21, v1, vcc
	v_lshlrev_b32_e32 v21, 24, v18
	v_bfrev_b32_e32 v22, 60
	v_lshlrev_b32_e32 v1, 20, v1
	v_and_b32_e32 v21, 0x80000000, v21
	v_lshl_add_u32 v2, v2, 23, v22
	v_or3_b32 v2, v21, v2, v1
.LBB6_4226:                             ;   in Loop: Header=BB6_3885 Depth=4
	s_or_b64 exec, exec, s[52:53]
.LBB6_4227:                             ;   in Loop: Header=BB6_3885 Depth=4
	s_or_b64 exec, exec, s[50:51]
.LBB6_4228:                             ;   in Loop: Header=BB6_3885 Depth=4
	s_or_b64 exec, exec, s[48:49]
	v_and_b32_e32 v1, 0xff, v38
	v_cmp_ne_u16_e32 vcc, 0, v1
	s_and_saveexec_b64 s[48:49], vcc
	s_cbranch_execz .LBB6_4234
; %bb.4229:                             ;   in Loop: Header=BB6_3885 Depth=4
	v_cmp_ne_u16_e32 vcc, s82, v1
	v_bfrev_b32_e32 v19, 1
	s_and_saveexec_b64 s[50:51], vcc
	s_cbranch_execz .LBB6_4233
; %bb.4230:                             ;   in Loop: Header=BB6_3885 Depth=4
	v_and_b32_e32 v21, 0x7f, v38
	v_cmp_ne_u32_e32 vcc, s83, v21
	v_mov_b32_e32 v19, 0x7f800001
	s_and_saveexec_b64 s[52:53], vcc
	s_cbranch_execz .LBB6_4232
; %bb.4231:                             ;   in Loop: Header=BB6_3885 Depth=4
	v_and_b32_e32 v19, 7, v1
	v_lshrrev_b32_e32 v24, 3, v21
	v_cmp_gt_u32_e32 vcc, 8, v21
	v_ffbh_u32_e32 v21, v19
	v_min_u32_e32 v25, 32, v21
	v_subrev_u32_e32 v21, 28, v25
	v_lshlrev_b64 v[21:22], v21, v[1:2]
	v_sub_u32_e32 v1, 29, v25
	v_and_b32_e32 v21, 7, v21
	v_cndmask_b32_e32 v1, v24, v1, vcc
	v_cndmask_b32_e32 v19, v19, v21, vcc
	v_lshlrev_b32_e32 v21, 24, v38
	v_bfrev_b32_e32 v22, 60
	v_lshlrev_b32_e32 v19, 20, v19
	v_and_b32_e32 v21, 0x80000000, v21
	v_lshl_add_u32 v1, v1, 23, v22
	v_or3_b32 v19, v21, v1, v19
.LBB6_4232:                             ;   in Loop: Header=BB6_3885 Depth=4
	s_or_b64 exec, exec, s[52:53]
.LBB6_4233:                             ;   in Loop: Header=BB6_3885 Depth=4
	s_or_b64 exec, exec, s[50:51]
.LBB6_4234:                             ;   in Loop: Header=BB6_3885 Depth=4
	s_or_b64 exec, exec, s[48:49]
	v_max_f32_e32 v1, v19, v19
	v_max_f32_e32 v2, v2, v2
	;; [unrolled: 1-line block ×3, first 2 shown]
	s_mov_b64 s[48:49], 0
.LBB6_4235:                             ;   in Loop: Header=BB6_3885 Depth=4
	s_and_b64 vcc, exec, s[48:49]
	s_cbranch_vccz .LBB6_4249
; %bb.4236:                             ;   in Loop: Header=BB6_3885 Depth=4
	v_mov_b32_e32 v2, 0
	v_mov_b32_e32 v1, 0
	s_and_saveexec_b64 s[48:49], s[40:41]
	s_cbranch_execz .LBB6_4242
; %bb.4237:                             ;   in Loop: Header=BB6_3885 Depth=4
	v_cmp_ne_u16_e32 vcc, s82, v0
	v_bfrev_b32_e32 v1, 1
	s_and_saveexec_b64 s[40:41], vcc
	s_cbranch_execz .LBB6_4241
; %bb.4238:                             ;   in Loop: Header=BB6_3885 Depth=4
	v_and_b32_e32 v19, 0x7f, v18
	v_cmp_ne_u32_e32 vcc, s83, v19
	v_mov_b32_e32 v1, 0x7f800001
	s_and_saveexec_b64 s[50:51], vcc
	s_cbranch_execz .LBB6_4240
; %bb.4239:                             ;   in Loop: Header=BB6_3885 Depth=4
	v_and_b32_e32 v21, 7, v0
	v_ffbh_u32_e32 v1, v21
	v_lshrrev_b32_e32 v22, 3, v19
	v_cmp_gt_u32_e32 vcc, 8, v19
	v_min_u32_e32 v19, 32, v1
	v_subrev_u32_e32 v1, 28, v19
	v_lshlrev_b64 v[0:1], v1, v[0:1]
	v_sub_u32_e32 v1, 29, v19
	v_and_b32_e32 v0, 7, v0
	v_cndmask_b32_e32 v1, v22, v1, vcc
	v_cndmask_b32_e32 v0, v21, v0, vcc
	v_lshlrev_b32_e32 v18, 24, v18
	v_bfrev_b32_e32 v19, 60
	v_lshlrev_b32_e32 v0, 20, v0
	v_and_b32_e32 v18, 0x80000000, v18
	v_lshl_add_u32 v1, v1, 23, v19
	v_or3_b32 v1, v18, v1, v0
.LBB6_4240:                             ;   in Loop: Header=BB6_3885 Depth=4
	s_or_b64 exec, exec, s[50:51]
.LBB6_4241:                             ;   in Loop: Header=BB6_3885 Depth=4
	s_or_b64 exec, exec, s[40:41]
.LBB6_4242:                             ;   in Loop: Header=BB6_3885 Depth=4
	s_or_b64 exec, exec, s[48:49]
	v_and_b32_e32 v0, 0xff, v38
	v_cmp_ne_u16_e32 vcc, 0, v0
	s_and_saveexec_b64 s[40:41], vcc
	s_cbranch_execz .LBB6_4248
; %bb.4243:                             ;   in Loop: Header=BB6_3885 Depth=4
	v_cmp_ne_u16_e32 vcc, s82, v0
	v_bfrev_b32_e32 v2, 1
	s_and_saveexec_b64 s[48:49], vcc
	s_cbranch_execz .LBB6_4247
; %bb.4244:                             ;   in Loop: Header=BB6_3885 Depth=4
	v_and_b32_e32 v18, 0x7f, v38
	v_cmp_ne_u32_e32 vcc, s83, v18
	v_mov_b32_e32 v2, 0x7f800001
	s_and_saveexec_b64 s[50:51], vcc
	s_cbranch_execz .LBB6_4246
; %bb.4245:                             ;   in Loop: Header=BB6_3885 Depth=4
	v_and_b32_e32 v2, 7, v0
	v_lshrrev_b32_e32 v21, 3, v18
	v_cmp_gt_u32_e32 vcc, 8, v18
	v_ffbh_u32_e32 v18, v2
	v_min_u32_e32 v22, 32, v18
	v_subrev_u32_e32 v18, 28, v22
	v_lshlrev_b64 v[18:19], v18, v[0:1]
	v_sub_u32_e32 v0, 29, v22
	v_and_b32_e32 v18, 7, v18
	v_cndmask_b32_e32 v0, v21, v0, vcc
	v_cndmask_b32_e32 v2, v2, v18, vcc
	v_lshlrev_b32_e32 v18, 24, v38
	v_bfrev_b32_e32 v19, 60
	v_lshlrev_b32_e32 v2, 20, v2
	v_and_b32_e32 v18, 0x80000000, v18
	v_lshl_add_u32 v0, v0, 23, v19
	v_or3_b32 v2, v18, v0, v2
.LBB6_4246:                             ;   in Loop: Header=BB6_3885 Depth=4
	s_or_b64 exec, exec, s[50:51]
.LBB6_4247:                             ;   in Loop: Header=BB6_3885 Depth=4
	s_or_b64 exec, exec, s[48:49]
.LBB6_4248:                             ;   in Loop: Header=BB6_3885 Depth=4
	s_or_b64 exec, exec, s[40:41]
	v_max_f32_e32 v0, v2, v2
	v_max_f32_e32 v1, v1, v1
	v_min_f32_e32 v1, v1, v0
.LBB6_4249:                             ;   in Loop: Header=BB6_3885 Depth=4
	v_and_b32_e32 v52, 0x7f800000, v1
	v_cmp_ne_u64_e32 vcc, s[76:77], v[52:53]
                                        ; implicit-def: $vgpr38
	s_and_saveexec_b64 s[40:41], vcc
	s_xor_b64 s[48:49], exec, s[40:41]
	s_cbranch_execz .LBB6_4267
; %bb.4250:                             ;   in Loop: Header=BB6_3885 Depth=4
	v_and_b32_e32 v52, 0x7fffffff, v1
	v_cmp_gt_u64_e32 vcc, s[78:79], v[52:53]
	v_and_b32_sdwa v18, v1, s82 dst_sel:DWORD dst_unused:UNUSED_PAD src0_sel:BYTE_3 src1_sel:DWORD
                                        ; implicit-def: $vgpr38
	s_and_saveexec_b64 s[40:41], vcc
	s_xor_b64 s[50:51], exec, s[40:41]
	s_cbranch_execz .LBB6_4264
; %bb.4251:                             ;   in Loop: Header=BB6_3885 Depth=4
	v_cmp_ne_u32_e32 vcc, 0, v1
	v_mov_b32_e32 v38, 0
	s_and_saveexec_b64 s[52:53], vcc
	s_cbranch_execz .LBB6_4263
; %bb.4252:                             ;   in Loop: Header=BB6_3885 Depth=4
	v_bfe_u32 v19, v1, 23, 8
	v_and_b32_e32 v0, 0x7fffff, v1
	v_cmp_gt_u32_e64 s[40:41], s85, v19
	v_sub_u32_e32 v1, 0x79, v19
	v_cmp_eq_u32_e32 vcc, 0, v19
	v_cndmask_b32_e64 v1, 0, v1, s[40:41]
	v_mov_b32_e32 v21, 0x78
	v_or_b32_e32 v2, 0x800000, v0
	v_cndmask_b32_e32 v21, v1, v21, vcc
	v_cndmask_b32_e32 v52, v2, v0, vcc
	v_add_u32_e32 v0, 20, v21
	v_lshlrev_b64 v[0:1], v0, -1
	v_add_u32_e32 v2, 19, v21
	v_lshlrev_b64 v[24:25], v2, 1
	v_bfi_b32 v1, v1, 0, 0
	v_bfi_b32 v0, v0, 0, v52
	v_cmp_eq_u64_e64 s[40:41], v[0:1], v[24:25]
	v_lshrrev_b64 v[0:1], v21, v[52:53]
	v_mov_b32_e32 v2, v1
	v_mov_b32_e32 v1, v0
	s_and_saveexec_b64 s[54:55], s[40:41]
; %bb.4253:                             ;   in Loop: Header=BB6_3885 Depth=4
	v_bfe_u32 v1, v0, 20, 1
	v_add_co_u32_e64 v1, s[40:41], v0, v1
	v_add_co_u32_e64 v1, s[40:41], -1, v1
; %bb.4254:                             ;   in Loop: Header=BB6_3885 Depth=4
	s_or_b64 exec, exec, s[54:55]
	v_add_u32_e32 v2, 0xffffff81, v19
	v_mov_b32_e32 v19, 0xffffff82
	v_cndmask_b32_e32 v2, v2, v19, vcc
	v_lshrrev_b32_e32 v19, 23, v0
	v_add3_u32 v21, v21, v2, v19
	v_add_u32_e32 v19, 6, v21
	v_and_b32_e32 v1, 0xfffff, v1
	v_add_u32_e32 v52, v1, v0
	v_cmp_ne_u32_e32 vcc, 0, v19
                                        ; implicit-def: $vgpr0_vgpr1
                                        ; implicit-def: $vgpr2
	s_and_saveexec_b64 s[40:41], vcc
	s_xor_b64 s[40:41], exec, s[40:41]
; %bb.4255:                             ;   in Loop: Header=BB6_3885 Depth=4
	v_cmp_lt_u64_e32 vcc, s[88:89], v[52:53]
	v_add_u32_e32 v0, 7, v21
	v_cndmask_b32_e32 v2, v19, v0, vcc
	v_cndmask_b32_e64 v0, 0, 1, vcc
	v_lshrrev_b64 v[0:1], v0, v[52:53]
; %bb.4256:                             ;   in Loop: Header=BB6_3885 Depth=4
	s_andn2_saveexec_b64 s[40:41], s[40:41]
; %bb.4257:                             ;   in Loop: Header=BB6_3885 Depth=4
	v_mov_b32_e32 v0, v52
	v_bfe_u32 v2, v52, 23, 1
	v_mov_b32_e32 v1, v53
; %bb.4258:                             ;   in Loop: Header=BB6_3885 Depth=4
	s_or_b64 exec, exec, s[40:41]
	v_lshrrev_b64 v[0:1], 20, v[0:1]
	v_cmp_gt_i32_e32 vcc, 16, v2
	v_cndmask_b32_e32 v1, 0, v1, vcc
	v_cndmask_b32_e32 v0, 7, v0, vcc
	v_cmp_ne_u64_e32 vcc, 0, v[0:1]
	v_cmp_ne_u32_e64 s[40:41], 0, v2
	s_or_b64 s[40:41], s[40:41], vcc
                                        ; implicit-def: $vgpr38
	s_and_saveexec_b64 vcc, s[40:41]
	s_xor_b64 s[40:41], exec, vcc
; %bb.4259:                             ;   in Loop: Header=BB6_3885 Depth=4
	v_min_i32_e32 v1, 15, v2
	v_lshl_or_b32 v1, v1, 3, v18
	v_and_or_b32 v38, v0, 7, v1
                                        ; implicit-def: $vgpr18
; %bb.4260:                             ;   in Loop: Header=BB6_3885 Depth=4
	s_andn2_saveexec_b64 s[40:41], s[40:41]
; %bb.4261:                             ;   in Loop: Header=BB6_3885 Depth=4
	v_mov_b32_e32 v38, v18
; %bb.4262:                             ;   in Loop: Header=BB6_3885 Depth=4
	s_or_b64 exec, exec, s[40:41]
.LBB6_4263:                             ;   in Loop: Header=BB6_3885 Depth=4
	s_or_b64 exec, exec, s[52:53]
                                        ; implicit-def: $vgpr18
.LBB6_4264:                             ;   in Loop: Header=BB6_3885 Depth=4
	s_andn2_saveexec_b64 s[40:41], s[50:51]
; %bb.4265:                             ;   in Loop: Header=BB6_3885 Depth=4
	v_or_b32_e32 v38, 0x7e, v18
; %bb.4266:                             ;   in Loop: Header=BB6_3885 Depth=4
	s_or_b64 exec, exec, s[40:41]
                                        ; implicit-def: $vgpr1
.LBB6_4267:                             ;   in Loop: Header=BB6_3885 Depth=4
	s_andn2_saveexec_b64 s[40:41], s[48:49]
; %bb.4268:                             ;   in Loop: Header=BB6_3885 Depth=4
	v_or_b32_sdwa v38, v1, s83 dst_sel:DWORD dst_unused:UNUSED_PAD src0_sel:BYTE_3 src1_sel:DWORD
; %bb.4269:                             ;   in Loop: Header=BB6_3885 Depth=4
	s_or_b64 exec, exec, s[40:41]
	v_and_b32_e32 v0, 0xff, v26
	v_cmp_ne_u16_e64 s[40:41], 0, v0
	s_and_b64 vcc, exec, s[28:29]
	s_mov_b64 s[48:49], -1
                                        ; implicit-def: $vgpr1
	s_cbranch_vccnz .LBB6_4283
; %bb.4270:                             ;   in Loop: Header=BB6_3885 Depth=4
	v_mov_b32_e32 v18, 0
	v_mov_b32_e32 v2, 0
	s_and_saveexec_b64 s[48:49], s[40:41]
	s_cbranch_execz .LBB6_4276
; %bb.4271:                             ;   in Loop: Header=BB6_3885 Depth=4
	v_cmp_ne_u16_e32 vcc, s82, v0
	v_bfrev_b32_e32 v2, 1
	s_and_saveexec_b64 s[50:51], vcc
	s_cbranch_execz .LBB6_4275
; %bb.4272:                             ;   in Loop: Header=BB6_3885 Depth=4
	v_and_b32_e32 v1, 0x7f, v26
	v_cmp_ne_u32_e32 vcc, s83, v1
	v_mov_b32_e32 v2, 0x7f800001
	s_and_saveexec_b64 s[52:53], vcc
	s_cbranch_execz .LBB6_4274
; %bb.4273:                             ;   in Loop: Header=BB6_3885 Depth=4
	v_and_b32_e32 v19, 7, v0
	v_lshrrev_b32_e32 v21, 3, v1
	v_cmp_gt_u32_e32 vcc, 8, v1
	v_ffbh_u32_e32 v1, v19
	v_min_u32_e32 v22, 32, v1
	v_subrev_u32_e32 v1, 28, v22
	v_lshlrev_b64 v[1:2], v1, v[0:1]
	v_sub_u32_e32 v2, 29, v22
	v_and_b32_e32 v1, 7, v1
	v_cndmask_b32_e32 v2, v21, v2, vcc
	v_cndmask_b32_e32 v1, v19, v1, vcc
	v_lshlrev_b32_e32 v19, 24, v26
	v_bfrev_b32_e32 v21, 60
	v_lshlrev_b32_e32 v1, 20, v1
	v_and_b32_e32 v19, 0x80000000, v19
	v_lshl_add_u32 v2, v2, 23, v21
	v_or3_b32 v2, v19, v2, v1
.LBB6_4274:                             ;   in Loop: Header=BB6_3885 Depth=4
	s_or_b64 exec, exec, s[52:53]
.LBB6_4275:                             ;   in Loop: Header=BB6_3885 Depth=4
	s_or_b64 exec, exec, s[50:51]
.LBB6_4276:                             ;   in Loop: Header=BB6_3885 Depth=4
	s_or_b64 exec, exec, s[48:49]
	v_and_b32_e32 v1, 0xff, v49
	v_cmp_ne_u16_e32 vcc, 0, v1
	s_and_saveexec_b64 s[48:49], vcc
	s_cbranch_execz .LBB6_4282
; %bb.4277:                             ;   in Loop: Header=BB6_3885 Depth=4
	v_cmp_ne_u16_e32 vcc, s82, v1
	v_bfrev_b32_e32 v18, 1
	s_and_saveexec_b64 s[50:51], vcc
	s_cbranch_execz .LBB6_4281
; %bb.4278:                             ;   in Loop: Header=BB6_3885 Depth=4
	v_and_b32_e32 v19, 0x7f, v49
	v_cmp_ne_u32_e32 vcc, s83, v19
	v_mov_b32_e32 v18, 0x7f800001
	s_and_saveexec_b64 s[52:53], vcc
	s_cbranch_execz .LBB6_4280
; %bb.4279:                             ;   in Loop: Header=BB6_3885 Depth=4
	v_and_b32_e32 v21, 7, v1
	v_ffbh_u32_e32 v18, v21
	v_min_u32_e32 v24, 32, v18
	v_subrev_u32_e32 v18, 28, v24
	v_lshrrev_b32_e32 v22, 3, v19
	v_cmp_gt_u32_e32 vcc, 8, v19
	v_lshlrev_b64 v[18:19], v18, v[1:2]
	v_sub_u32_e32 v1, 29, v24
	v_and_b32_e32 v18, 7, v18
	v_cndmask_b32_e32 v1, v22, v1, vcc
	v_cndmask_b32_e32 v18, v21, v18, vcc
	v_lshlrev_b32_e32 v19, 24, v49
	v_bfrev_b32_e32 v21, 60
	v_lshlrev_b32_e32 v18, 20, v18
	v_and_b32_e32 v19, 0x80000000, v19
	v_lshl_add_u32 v1, v1, 23, v21
	v_or3_b32 v18, v19, v1, v18
.LBB6_4280:                             ;   in Loop: Header=BB6_3885 Depth=4
	s_or_b64 exec, exec, s[52:53]
.LBB6_4281:                             ;   in Loop: Header=BB6_3885 Depth=4
	s_or_b64 exec, exec, s[50:51]
.LBB6_4282:                             ;   in Loop: Header=BB6_3885 Depth=4
	s_or_b64 exec, exec, s[48:49]
	v_max_f32_e32 v1, v18, v18
	v_max_f32_e32 v2, v2, v2
	;; [unrolled: 1-line block ×3, first 2 shown]
	s_mov_b64 s[48:49], 0
.LBB6_4283:                             ;   in Loop: Header=BB6_3885 Depth=4
	s_and_b64 vcc, exec, s[48:49]
	s_cbranch_vccz .LBB6_4297
; %bb.4284:                             ;   in Loop: Header=BB6_3885 Depth=4
	v_mov_b32_e32 v2, 0
	v_mov_b32_e32 v1, 0
	s_and_saveexec_b64 s[48:49], s[40:41]
	s_cbranch_execz .LBB6_4290
; %bb.4285:                             ;   in Loop: Header=BB6_3885 Depth=4
	v_cmp_ne_u16_e32 vcc, s82, v0
	v_bfrev_b32_e32 v1, 1
	s_and_saveexec_b64 s[40:41], vcc
	s_cbranch_execz .LBB6_4289
; %bb.4286:                             ;   in Loop: Header=BB6_3885 Depth=4
	v_and_b32_e32 v18, 0x7f, v26
	v_cmp_ne_u32_e32 vcc, s83, v18
	v_mov_b32_e32 v1, 0x7f800001
	s_and_saveexec_b64 s[50:51], vcc
	s_cbranch_execz .LBB6_4288
; %bb.4287:                             ;   in Loop: Header=BB6_3885 Depth=4
	v_and_b32_e32 v19, 7, v0
	v_ffbh_u32_e32 v1, v19
	v_lshrrev_b32_e32 v21, 3, v18
	v_cmp_gt_u32_e32 vcc, 8, v18
	v_min_u32_e32 v18, 32, v1
	v_subrev_u32_e32 v1, 28, v18
	v_lshlrev_b64 v[0:1], v1, v[0:1]
	v_sub_u32_e32 v1, 29, v18
	v_and_b32_e32 v0, 7, v0
	v_cndmask_b32_e32 v1, v21, v1, vcc
	v_cndmask_b32_e32 v0, v19, v0, vcc
	v_lshlrev_b32_e32 v18, 24, v26
	v_bfrev_b32_e32 v19, 60
	v_lshlrev_b32_e32 v0, 20, v0
	v_and_b32_e32 v18, 0x80000000, v18
	v_lshl_add_u32 v1, v1, 23, v19
	v_or3_b32 v1, v18, v1, v0
.LBB6_4288:                             ;   in Loop: Header=BB6_3885 Depth=4
	s_or_b64 exec, exec, s[50:51]
.LBB6_4289:                             ;   in Loop: Header=BB6_3885 Depth=4
	s_or_b64 exec, exec, s[40:41]
.LBB6_4290:                             ;   in Loop: Header=BB6_3885 Depth=4
	s_or_b64 exec, exec, s[48:49]
	v_and_b32_e32 v0, 0xff, v49
	v_cmp_ne_u16_e32 vcc, 0, v0
	s_and_saveexec_b64 s[40:41], vcc
	s_cbranch_execz .LBB6_4296
; %bb.4291:                             ;   in Loop: Header=BB6_3885 Depth=4
	v_cmp_ne_u16_e32 vcc, s82, v0
	v_bfrev_b32_e32 v2, 1
	s_and_saveexec_b64 s[48:49], vcc
	s_cbranch_execz .LBB6_4295
; %bb.4292:                             ;   in Loop: Header=BB6_3885 Depth=4
	v_and_b32_e32 v18, 0x7f, v49
	v_cmp_ne_u32_e32 vcc, s83, v18
	v_mov_b32_e32 v2, 0x7f800001
	s_and_saveexec_b64 s[50:51], vcc
	s_cbranch_execz .LBB6_4294
; %bb.4293:                             ;   in Loop: Header=BB6_3885 Depth=4
	v_and_b32_e32 v2, 7, v0
	v_lshrrev_b32_e32 v21, 3, v18
	v_cmp_gt_u32_e32 vcc, 8, v18
	v_ffbh_u32_e32 v18, v2
	v_min_u32_e32 v22, 32, v18
	v_subrev_u32_e32 v18, 28, v22
	v_lshlrev_b64 v[18:19], v18, v[0:1]
	v_sub_u32_e32 v0, 29, v22
	v_and_b32_e32 v18, 7, v18
	v_cndmask_b32_e32 v0, v21, v0, vcc
	v_cndmask_b32_e32 v2, v2, v18, vcc
	v_lshlrev_b32_e32 v18, 24, v49
	v_bfrev_b32_e32 v19, 60
	v_lshlrev_b32_e32 v2, 20, v2
	v_and_b32_e32 v18, 0x80000000, v18
	v_lshl_add_u32 v0, v0, 23, v19
	v_or3_b32 v2, v18, v0, v2
.LBB6_4294:                             ;   in Loop: Header=BB6_3885 Depth=4
	s_or_b64 exec, exec, s[50:51]
.LBB6_4295:                             ;   in Loop: Header=BB6_3885 Depth=4
	s_or_b64 exec, exec, s[48:49]
.LBB6_4296:                             ;   in Loop: Header=BB6_3885 Depth=4
	s_or_b64 exec, exec, s[40:41]
	v_max_f32_e32 v0, v2, v2
	v_max_f32_e32 v1, v1, v1
	v_min_f32_e32 v1, v1, v0
.LBB6_4297:                             ;   in Loop: Header=BB6_3885 Depth=4
	v_and_b32_e32 v52, 0x7f800000, v1
	v_cmp_ne_u64_e32 vcc, s[76:77], v[52:53]
                                        ; implicit-def: $vgpr49
	s_mov_b64 s[40:41], exec
	s_and_b64 vcc, s[40:41], vcc
	s_xor_b64 s[48:49], vcc, s[40:41]
	v_mov_b32_e32 v26, v42
	s_mov_b64 exec, vcc
	s_cbranch_execz .LBB6_4315
; %bb.4298:                             ;   in Loop: Header=BB6_3885 Depth=4
	v_and_b32_e32 v52, 0x7fffffff, v1
	v_cmp_gt_u64_e32 vcc, s[78:79], v[52:53]
	v_and_b32_sdwa v18, v1, s82 dst_sel:DWORD dst_unused:UNUSED_PAD src0_sel:BYTE_3 src1_sel:DWORD
                                        ; implicit-def: $vgpr49
	s_and_saveexec_b64 s[40:41], vcc
	s_xor_b64 s[50:51], exec, s[40:41]
	s_cbranch_execz .LBB6_4312
; %bb.4299:                             ;   in Loop: Header=BB6_3885 Depth=4
	v_cmp_ne_u32_e32 vcc, 0, v1
	v_mov_b32_e32 v49, 0
	s_and_saveexec_b64 s[52:53], vcc
	s_cbranch_execz .LBB6_4311
; %bb.4300:                             ;   in Loop: Header=BB6_3885 Depth=4
	v_bfe_u32 v19, v1, 23, 8
	v_and_b32_e32 v0, 0x7fffff, v1
	v_cmp_gt_u32_e64 s[40:41], s85, v19
	v_sub_u32_e32 v1, 0x79, v19
	v_cmp_eq_u32_e32 vcc, 0, v19
	v_cndmask_b32_e64 v1, 0, v1, s[40:41]
	v_mov_b32_e32 v21, 0x78
	v_or_b32_e32 v2, 0x800000, v0
	v_cndmask_b32_e32 v21, v1, v21, vcc
	v_cndmask_b32_e32 v52, v2, v0, vcc
	v_add_u32_e32 v0, 20, v21
	v_lshlrev_b64 v[0:1], v0, -1
	v_add_u32_e32 v2, 19, v21
	v_lshlrev_b64 v[24:25], v2, 1
	v_bfi_b32 v1, v1, 0, 0
	v_bfi_b32 v0, v0, 0, v52
	v_cmp_eq_u64_e64 s[40:41], v[0:1], v[24:25]
	v_lshrrev_b64 v[0:1], v21, v[52:53]
	v_mov_b32_e32 v2, v1
	v_mov_b32_e32 v1, v0
	s_and_saveexec_b64 s[54:55], s[40:41]
; %bb.4301:                             ;   in Loop: Header=BB6_3885 Depth=4
	v_bfe_u32 v1, v0, 20, 1
	v_add_co_u32_e64 v1, s[40:41], v0, v1
	v_add_co_u32_e64 v1, s[40:41], -1, v1
; %bb.4302:                             ;   in Loop: Header=BB6_3885 Depth=4
	s_or_b64 exec, exec, s[54:55]
	v_add_u32_e32 v2, 0xffffff81, v19
	v_mov_b32_e32 v19, 0xffffff82
	v_cndmask_b32_e32 v2, v2, v19, vcc
	v_lshrrev_b32_e32 v19, 23, v0
	v_add3_u32 v21, v21, v2, v19
	v_add_u32_e32 v19, 6, v21
	v_and_b32_e32 v1, 0xfffff, v1
	v_add_u32_e32 v52, v1, v0
	v_cmp_ne_u32_e32 vcc, 0, v19
                                        ; implicit-def: $vgpr0_vgpr1
                                        ; implicit-def: $vgpr2
	s_and_saveexec_b64 s[40:41], vcc
	s_xor_b64 s[40:41], exec, s[40:41]
; %bb.4303:                             ;   in Loop: Header=BB6_3885 Depth=4
	v_cmp_lt_u64_e32 vcc, s[88:89], v[52:53]
	v_add_u32_e32 v0, 7, v21
	v_cndmask_b32_e32 v2, v19, v0, vcc
	v_cndmask_b32_e64 v0, 0, 1, vcc
	v_lshrrev_b64 v[0:1], v0, v[52:53]
; %bb.4304:                             ;   in Loop: Header=BB6_3885 Depth=4
	s_andn2_saveexec_b64 s[40:41], s[40:41]
; %bb.4305:                             ;   in Loop: Header=BB6_3885 Depth=4
	v_mov_b32_e32 v0, v52
	v_bfe_u32 v2, v52, 23, 1
	v_mov_b32_e32 v1, v53
; %bb.4306:                             ;   in Loop: Header=BB6_3885 Depth=4
	s_or_b64 exec, exec, s[40:41]
	v_lshrrev_b64 v[0:1], 20, v[0:1]
	v_cmp_gt_i32_e32 vcc, 16, v2
	v_cndmask_b32_e32 v1, 0, v1, vcc
	v_cndmask_b32_e32 v0, 7, v0, vcc
	v_cmp_ne_u64_e32 vcc, 0, v[0:1]
	v_cmp_ne_u32_e64 s[40:41], 0, v2
	s_or_b64 s[40:41], s[40:41], vcc
                                        ; implicit-def: $vgpr49
	s_and_saveexec_b64 vcc, s[40:41]
	s_xor_b64 s[40:41], exec, vcc
; %bb.4307:                             ;   in Loop: Header=BB6_3885 Depth=4
	v_min_i32_e32 v1, 15, v2
	v_lshl_or_b32 v1, v1, 3, v18
	v_and_or_b32 v49, v0, 7, v1
                                        ; implicit-def: $vgpr18
; %bb.4308:                             ;   in Loop: Header=BB6_3885 Depth=4
	s_andn2_saveexec_b64 s[40:41], s[40:41]
; %bb.4309:                             ;   in Loop: Header=BB6_3885 Depth=4
	v_mov_b32_e32 v49, v18
; %bb.4310:                             ;   in Loop: Header=BB6_3885 Depth=4
	s_or_b64 exec, exec, s[40:41]
.LBB6_4311:                             ;   in Loop: Header=BB6_3885 Depth=4
	s_or_b64 exec, exec, s[52:53]
                                        ; implicit-def: $vgpr18
.LBB6_4312:                             ;   in Loop: Header=BB6_3885 Depth=4
	s_andn2_saveexec_b64 s[40:41], s[50:51]
; %bb.4313:                             ;   in Loop: Header=BB6_3885 Depth=4
	v_or_b32_e32 v49, 0x7e, v18
; %bb.4314:                             ;   in Loop: Header=BB6_3885 Depth=4
	s_or_b64 exec, exec, s[40:41]
                                        ; implicit-def: $vgpr1
.LBB6_4315:                             ;   in Loop: Header=BB6_3885 Depth=4
	s_andn2_saveexec_b64 s[40:41], s[48:49]
; %bb.4316:                             ;   in Loop: Header=BB6_3885 Depth=4
	v_or_b32_sdwa v49, v1, s83 dst_sel:DWORD dst_unused:UNUSED_PAD src0_sel:BYTE_3 src1_sel:DWORD
; %bb.4317:                             ;   in Loop: Header=BB6_3885 Depth=4
	s_or_b64 exec, exec, s[40:41]
	v_and_b32_e32 v0, 0xff, v16
	v_cmp_ne_u16_e64 s[40:41], 0, v0
	s_and_b64 vcc, exec, s[28:29]
	s_mov_b64 s[48:49], -1
                                        ; implicit-def: $vgpr1
	s_cbranch_vccnz .LBB6_4331
; %bb.4318:                             ;   in Loop: Header=BB6_3885 Depth=4
	v_mov_b32_e32 v18, 0
	v_mov_b32_e32 v2, 0
	s_and_saveexec_b64 s[48:49], s[40:41]
	s_cbranch_execz .LBB6_4324
; %bb.4319:                             ;   in Loop: Header=BB6_3885 Depth=4
	v_cmp_ne_u16_e32 vcc, s82, v0
	v_bfrev_b32_e32 v2, 1
	s_and_saveexec_b64 s[50:51], vcc
	s_cbranch_execz .LBB6_4323
; %bb.4320:                             ;   in Loop: Header=BB6_3885 Depth=4
	v_and_b32_e32 v1, 0x7f, v16
	v_cmp_ne_u32_e32 vcc, s83, v1
	v_mov_b32_e32 v2, 0x7f800001
	s_and_saveexec_b64 s[52:53], vcc
	s_cbranch_execz .LBB6_4322
; %bb.4321:                             ;   in Loop: Header=BB6_3885 Depth=4
	v_and_b32_e32 v19, 7, v0
	v_lshrrev_b32_e32 v21, 3, v1
	v_cmp_gt_u32_e32 vcc, 8, v1
	v_ffbh_u32_e32 v1, v19
	v_min_u32_e32 v22, 32, v1
	v_subrev_u32_e32 v1, 28, v22
	v_lshlrev_b64 v[1:2], v1, v[0:1]
	v_sub_u32_e32 v2, 29, v22
	v_and_b32_e32 v1, 7, v1
	v_cndmask_b32_e32 v2, v21, v2, vcc
	v_cndmask_b32_e32 v1, v19, v1, vcc
	v_lshlrev_b32_e32 v19, 24, v16
	v_bfrev_b32_e32 v21, 60
	v_lshlrev_b32_e32 v1, 20, v1
	v_and_b32_e32 v19, 0x80000000, v19
	v_lshl_add_u32 v2, v2, 23, v21
	v_or3_b32 v2, v19, v2, v1
.LBB6_4322:                             ;   in Loop: Header=BB6_3885 Depth=4
	s_or_b64 exec, exec, s[52:53]
.LBB6_4323:                             ;   in Loop: Header=BB6_3885 Depth=4
	s_or_b64 exec, exec, s[50:51]
.LBB6_4324:                             ;   in Loop: Header=BB6_3885 Depth=4
	s_or_b64 exec, exec, s[48:49]
	v_and_b32_e32 v1, 0xff, v54
	v_cmp_ne_u16_e32 vcc, 0, v1
	s_and_saveexec_b64 s[48:49], vcc
	s_cbranch_execz .LBB6_4330
; %bb.4325:                             ;   in Loop: Header=BB6_3885 Depth=4
	v_cmp_ne_u16_e32 vcc, s82, v1
	v_bfrev_b32_e32 v18, 1
	s_and_saveexec_b64 s[50:51], vcc
	s_cbranch_execz .LBB6_4329
; %bb.4326:                             ;   in Loop: Header=BB6_3885 Depth=4
	v_and_b32_e32 v19, 0x7f, v54
	v_cmp_ne_u32_e32 vcc, s83, v19
	v_mov_b32_e32 v18, 0x7f800001
	s_and_saveexec_b64 s[52:53], vcc
	s_cbranch_execz .LBB6_4328
; %bb.4327:                             ;   in Loop: Header=BB6_3885 Depth=4
	v_and_b32_e32 v21, 7, v1
	v_ffbh_u32_e32 v18, v21
	v_min_u32_e32 v24, 32, v18
	v_subrev_u32_e32 v18, 28, v24
	v_lshrrev_b32_e32 v22, 3, v19
	v_cmp_gt_u32_e32 vcc, 8, v19
	v_lshlrev_b64 v[18:19], v18, v[1:2]
	v_sub_u32_e32 v1, 29, v24
	v_and_b32_e32 v18, 7, v18
	v_cndmask_b32_e32 v1, v22, v1, vcc
	v_cndmask_b32_e32 v18, v21, v18, vcc
	v_lshlrev_b32_e32 v19, 24, v54
	v_bfrev_b32_e32 v21, 60
	v_lshlrev_b32_e32 v18, 20, v18
	v_and_b32_e32 v19, 0x80000000, v19
	v_lshl_add_u32 v1, v1, 23, v21
	v_or3_b32 v18, v19, v1, v18
.LBB6_4328:                             ;   in Loop: Header=BB6_3885 Depth=4
	s_or_b64 exec, exec, s[52:53]
.LBB6_4329:                             ;   in Loop: Header=BB6_3885 Depth=4
	s_or_b64 exec, exec, s[50:51]
.LBB6_4330:                             ;   in Loop: Header=BB6_3885 Depth=4
	s_or_b64 exec, exec, s[48:49]
	v_max_f32_e32 v1, v18, v18
	v_max_f32_e32 v2, v2, v2
	v_max_f32_e32 v1, v2, v1
	s_mov_b64 s[48:49], 0
.LBB6_4331:                             ;   in Loop: Header=BB6_3885 Depth=4
	s_and_b64 vcc, exec, s[48:49]
	s_cbranch_vccz .LBB6_4345
; %bb.4332:                             ;   in Loop: Header=BB6_3885 Depth=4
	v_mov_b32_e32 v2, 0
	v_mov_b32_e32 v1, 0
	s_and_saveexec_b64 s[48:49], s[40:41]
	s_cbranch_execz .LBB6_4338
; %bb.4333:                             ;   in Loop: Header=BB6_3885 Depth=4
	v_cmp_ne_u16_e32 vcc, s82, v0
	v_bfrev_b32_e32 v1, 1
	s_and_saveexec_b64 s[40:41], vcc
	s_cbranch_execz .LBB6_4337
; %bb.4334:                             ;   in Loop: Header=BB6_3885 Depth=4
	v_and_b32_e32 v18, 0x7f, v16
	v_cmp_ne_u32_e32 vcc, s83, v18
	v_mov_b32_e32 v1, 0x7f800001
	s_and_saveexec_b64 s[50:51], vcc
	s_cbranch_execz .LBB6_4336
; %bb.4335:                             ;   in Loop: Header=BB6_3885 Depth=4
	v_and_b32_e32 v19, 7, v0
	v_ffbh_u32_e32 v1, v19
	v_lshrrev_b32_e32 v21, 3, v18
	v_cmp_gt_u32_e32 vcc, 8, v18
	v_min_u32_e32 v18, 32, v1
	v_subrev_u32_e32 v1, 28, v18
	v_lshlrev_b64 v[0:1], v1, v[0:1]
	v_sub_u32_e32 v1, 29, v18
	v_and_b32_e32 v0, 7, v0
	v_cndmask_b32_e32 v1, v21, v1, vcc
	v_cndmask_b32_e32 v0, v19, v0, vcc
	v_lshlrev_b32_e32 v16, 24, v16
	v_bfrev_b32_e32 v18, 60
	v_lshlrev_b32_e32 v0, 20, v0
	v_and_b32_e32 v16, 0x80000000, v16
	v_lshl_add_u32 v1, v1, 23, v18
	v_or3_b32 v1, v16, v1, v0
.LBB6_4336:                             ;   in Loop: Header=BB6_3885 Depth=4
	s_or_b64 exec, exec, s[50:51]
.LBB6_4337:                             ;   in Loop: Header=BB6_3885 Depth=4
	s_or_b64 exec, exec, s[40:41]
.LBB6_4338:                             ;   in Loop: Header=BB6_3885 Depth=4
	s_or_b64 exec, exec, s[48:49]
	v_and_b32_e32 v0, 0xff, v54
	v_cmp_ne_u16_e32 vcc, 0, v0
	s_and_saveexec_b64 s[40:41], vcc
	s_cbranch_execz .LBB6_4344
; %bb.4339:                             ;   in Loop: Header=BB6_3885 Depth=4
	v_cmp_ne_u16_e32 vcc, s82, v0
	v_bfrev_b32_e32 v2, 1
	s_and_saveexec_b64 s[48:49], vcc
	s_cbranch_execz .LBB6_4343
; %bb.4340:                             ;   in Loop: Header=BB6_3885 Depth=4
	v_and_b32_e32 v16, 0x7f, v54
	v_cmp_ne_u32_e32 vcc, s83, v16
	v_mov_b32_e32 v2, 0x7f800001
	s_and_saveexec_b64 s[50:51], vcc
	s_cbranch_execz .LBB6_4342
; %bb.4341:                             ;   in Loop: Header=BB6_3885 Depth=4
	v_and_b32_e32 v2, 7, v0
	v_lshrrev_b32_e32 v21, 3, v16
	v_cmp_gt_u32_e32 vcc, 8, v16
	v_ffbh_u32_e32 v16, v2
	v_min_u32_e32 v16, 32, v16
	v_subrev_u32_e32 v18, 28, v16
	v_lshlrev_b64 v[18:19], v18, v[0:1]
	v_sub_u32_e32 v0, 29, v16
	v_and_b32_e32 v16, 7, v18
	v_cndmask_b32_e32 v0, v21, v0, vcc
	v_cndmask_b32_e32 v2, v2, v16, vcc
	v_lshlrev_b32_e32 v16, 24, v54
	v_bfrev_b32_e32 v18, 60
	v_lshlrev_b32_e32 v2, 20, v2
	v_and_b32_e32 v16, 0x80000000, v16
	v_lshl_add_u32 v0, v0, 23, v18
	v_or3_b32 v2, v16, v0, v2
.LBB6_4342:                             ;   in Loop: Header=BB6_3885 Depth=4
	s_or_b64 exec, exec, s[50:51]
.LBB6_4343:                             ;   in Loop: Header=BB6_3885 Depth=4
	s_or_b64 exec, exec, s[48:49]
.LBB6_4344:                             ;   in Loop: Header=BB6_3885 Depth=4
	s_or_b64 exec, exec, s[40:41]
	v_max_f32_e32 v0, v2, v2
	v_max_f32_e32 v1, v1, v1
	v_min_f32_e32 v1, v1, v0
.LBB6_4345:                             ;   in Loop: Header=BB6_3885 Depth=4
	v_and_b32_e32 v52, 0x7f800000, v1
	v_cmp_ne_u64_e32 vcc, s[76:77], v[52:53]
                                        ; implicit-def: $vgpr54
	s_and_saveexec_b64 s[40:41], vcc
	s_xor_b64 s[48:49], exec, s[40:41]
	s_cbranch_execz .LBB6_4363
; %bb.4346:                             ;   in Loop: Header=BB6_3885 Depth=4
	v_and_b32_e32 v52, 0x7fffffff, v1
	v_cmp_gt_u64_e32 vcc, s[78:79], v[52:53]
	v_and_b32_sdwa v16, v1, s82 dst_sel:DWORD dst_unused:UNUSED_PAD src0_sel:BYTE_3 src1_sel:DWORD
                                        ; implicit-def: $vgpr54
	s_and_saveexec_b64 s[40:41], vcc
	s_xor_b64 s[50:51], exec, s[40:41]
	s_cbranch_execz .LBB6_4360
; %bb.4347:                             ;   in Loop: Header=BB6_3885 Depth=4
	v_cmp_ne_u32_e32 vcc, 0, v1
	v_mov_b32_e32 v54, 0
	s_and_saveexec_b64 s[52:53], vcc
	s_cbranch_execz .LBB6_4359
; %bb.4348:                             ;   in Loop: Header=BB6_3885 Depth=4
	v_bfe_u32 v18, v1, 23, 8
	v_and_b32_e32 v0, 0x7fffff, v1
	v_cmp_gt_u32_e64 s[40:41], s85, v18
	v_sub_u32_e32 v1, 0x79, v18
	v_cmp_eq_u32_e32 vcc, 0, v18
	v_cndmask_b32_e64 v1, 0, v1, s[40:41]
	v_mov_b32_e32 v19, 0x78
	v_or_b32_e32 v2, 0x800000, v0
	v_cndmask_b32_e32 v19, v1, v19, vcc
	v_cndmask_b32_e32 v52, v2, v0, vcc
	v_add_u32_e32 v0, 20, v19
	v_lshlrev_b64 v[0:1], v0, -1
	v_add_u32_e32 v2, 19, v19
	v_lshlrev_b64 v[21:22], v2, 1
	v_bfi_b32 v1, v1, 0, 0
	v_bfi_b32 v0, v0, 0, v52
	v_cmp_eq_u64_e64 s[40:41], v[0:1], v[21:22]
	v_lshrrev_b64 v[0:1], v19, v[52:53]
	v_mov_b32_e32 v2, v1
	v_mov_b32_e32 v1, v0
	s_and_saveexec_b64 s[54:55], s[40:41]
; %bb.4349:                             ;   in Loop: Header=BB6_3885 Depth=4
	v_bfe_u32 v1, v0, 20, 1
	v_add_co_u32_e64 v1, s[40:41], v0, v1
	v_add_co_u32_e64 v1, s[40:41], -1, v1
; %bb.4350:                             ;   in Loop: Header=BB6_3885 Depth=4
	s_or_b64 exec, exec, s[54:55]
	v_add_u32_e32 v2, 0xffffff81, v18
	v_mov_b32_e32 v18, 0xffffff82
	v_cndmask_b32_e32 v2, v2, v18, vcc
	v_lshrrev_b32_e32 v18, 23, v0
	v_add3_u32 v19, v19, v2, v18
	v_add_u32_e32 v18, 6, v19
	v_and_b32_e32 v1, 0xfffff, v1
	v_add_u32_e32 v52, v1, v0
	v_cmp_ne_u32_e32 vcc, 0, v18
                                        ; implicit-def: $vgpr0_vgpr1
                                        ; implicit-def: $vgpr2
	s_and_saveexec_b64 s[40:41], vcc
	s_xor_b64 s[40:41], exec, s[40:41]
; %bb.4351:                             ;   in Loop: Header=BB6_3885 Depth=4
	v_cmp_lt_u64_e32 vcc, s[88:89], v[52:53]
	v_add_u32_e32 v0, 7, v19
	v_cndmask_b32_e32 v2, v18, v0, vcc
	v_cndmask_b32_e64 v0, 0, 1, vcc
	v_lshrrev_b64 v[0:1], v0, v[52:53]
; %bb.4352:                             ;   in Loop: Header=BB6_3885 Depth=4
	s_andn2_saveexec_b64 s[40:41], s[40:41]
; %bb.4353:                             ;   in Loop: Header=BB6_3885 Depth=4
	v_mov_b32_e32 v0, v52
	v_bfe_u32 v2, v52, 23, 1
	v_mov_b32_e32 v1, v53
; %bb.4354:                             ;   in Loop: Header=BB6_3885 Depth=4
	s_or_b64 exec, exec, s[40:41]
	v_lshrrev_b64 v[0:1], 20, v[0:1]
	v_cmp_gt_i32_e32 vcc, 16, v2
	v_cndmask_b32_e32 v1, 0, v1, vcc
	v_cndmask_b32_e32 v0, 7, v0, vcc
	v_cmp_ne_u64_e32 vcc, 0, v[0:1]
	v_cmp_ne_u32_e64 s[40:41], 0, v2
	s_or_b64 s[40:41], s[40:41], vcc
                                        ; implicit-def: $vgpr54
	s_and_saveexec_b64 vcc, s[40:41]
	s_xor_b64 s[40:41], exec, vcc
; %bb.4355:                             ;   in Loop: Header=BB6_3885 Depth=4
	v_min_i32_e32 v1, 15, v2
	v_lshl_or_b32 v1, v1, 3, v16
	v_and_or_b32 v54, v0, 7, v1
                                        ; implicit-def: $vgpr16
; %bb.4356:                             ;   in Loop: Header=BB6_3885 Depth=4
	s_andn2_saveexec_b64 s[40:41], s[40:41]
; %bb.4357:                             ;   in Loop: Header=BB6_3885 Depth=4
	v_mov_b32_e32 v54, v16
; %bb.4358:                             ;   in Loop: Header=BB6_3885 Depth=4
	s_or_b64 exec, exec, s[40:41]
.LBB6_4359:                             ;   in Loop: Header=BB6_3885 Depth=4
	s_or_b64 exec, exec, s[52:53]
                                        ; implicit-def: $vgpr16
.LBB6_4360:                             ;   in Loop: Header=BB6_3885 Depth=4
	s_andn2_saveexec_b64 s[40:41], s[50:51]
; %bb.4361:                             ;   in Loop: Header=BB6_3885 Depth=4
	v_or_b32_e32 v54, 0x7e, v16
; %bb.4362:                             ;   in Loop: Header=BB6_3885 Depth=4
	s_or_b64 exec, exec, s[40:41]
                                        ; implicit-def: $vgpr1
.LBB6_4363:                             ;   in Loop: Header=BB6_3885 Depth=4
	s_andn2_saveexec_b64 s[40:41], s[48:49]
; %bb.4364:                             ;   in Loop: Header=BB6_3885 Depth=4
	v_or_b32_sdwa v54, v1, s83 dst_sel:DWORD dst_unused:UNUSED_PAD src0_sel:BYTE_3 src1_sel:DWORD
; %bb.4365:                             ;   in Loop: Header=BB6_3885 Depth=4
	s_or_b64 exec, exec, s[40:41]
	v_and_b32_e32 v0, 0xff, v15
	v_cmp_ne_u16_e64 s[40:41], 0, v0
	s_and_b64 vcc, exec, s[28:29]
	s_mov_b64 s[48:49], -1
                                        ; implicit-def: $vgpr1
	s_cbranch_vccnz .LBB6_4379
; %bb.4366:                             ;   in Loop: Header=BB6_3885 Depth=4
	v_mov_b32_e32 v16, 0
	v_mov_b32_e32 v2, 0
	s_and_saveexec_b64 s[48:49], s[40:41]
	s_cbranch_execz .LBB6_4372
; %bb.4367:                             ;   in Loop: Header=BB6_3885 Depth=4
	v_cmp_ne_u16_e32 vcc, s82, v0
	v_bfrev_b32_e32 v2, 1
	s_and_saveexec_b64 s[50:51], vcc
	s_cbranch_execz .LBB6_4371
; %bb.4368:                             ;   in Loop: Header=BB6_3885 Depth=4
	v_and_b32_e32 v1, 0x7f, v15
	v_cmp_ne_u32_e32 vcc, s83, v1
	v_mov_b32_e32 v2, 0x7f800001
	s_and_saveexec_b64 s[52:53], vcc
	s_cbranch_execz .LBB6_4370
; %bb.4369:                             ;   in Loop: Header=BB6_3885 Depth=4
	v_and_b32_e32 v18, 7, v0
	v_lshrrev_b32_e32 v19, 3, v1
	v_cmp_gt_u32_e32 vcc, 8, v1
	v_ffbh_u32_e32 v1, v18
	v_min_u32_e32 v21, 32, v1
	v_subrev_u32_e32 v1, 28, v21
	v_lshlrev_b64 v[1:2], v1, v[0:1]
	v_sub_u32_e32 v2, 29, v21
	v_and_b32_e32 v1, 7, v1
	v_cndmask_b32_e32 v2, v19, v2, vcc
	v_cndmask_b32_e32 v1, v18, v1, vcc
	v_lshlrev_b32_e32 v18, 24, v15
	v_bfrev_b32_e32 v19, 60
	v_lshlrev_b32_e32 v1, 20, v1
	v_and_b32_e32 v18, 0x80000000, v18
	v_lshl_add_u32 v2, v2, 23, v19
	v_or3_b32 v2, v18, v2, v1
.LBB6_4370:                             ;   in Loop: Header=BB6_3885 Depth=4
	s_or_b64 exec, exec, s[52:53]
.LBB6_4371:                             ;   in Loop: Header=BB6_3885 Depth=4
	s_or_b64 exec, exec, s[50:51]
.LBB6_4372:                             ;   in Loop: Header=BB6_3885 Depth=4
	s_or_b64 exec, exec, s[48:49]
	v_and_b32_e32 v1, 0xff, v43
	v_cmp_ne_u16_e32 vcc, 0, v1
	s_and_saveexec_b64 s[48:49], vcc
	s_cbranch_execz .LBB6_4378
; %bb.4373:                             ;   in Loop: Header=BB6_3885 Depth=4
	v_cmp_ne_u16_e32 vcc, s82, v1
	v_bfrev_b32_e32 v16, 1
	s_and_saveexec_b64 s[50:51], vcc
	s_cbranch_execz .LBB6_4377
; %bb.4374:                             ;   in Loop: Header=BB6_3885 Depth=4
	v_and_b32_e32 v18, 0x7f, v43
	v_cmp_ne_u32_e32 vcc, s83, v18
	v_mov_b32_e32 v16, 0x7f800001
	s_and_saveexec_b64 s[52:53], vcc
	s_cbranch_execz .LBB6_4376
; %bb.4375:                             ;   in Loop: Header=BB6_3885 Depth=4
	v_and_b32_e32 v16, 7, v1
	v_lshrrev_b32_e32 v21, 3, v18
	v_cmp_gt_u32_e32 vcc, 8, v18
	v_ffbh_u32_e32 v18, v16
	v_min_u32_e32 v22, 32, v18
	v_subrev_u32_e32 v18, 28, v22
	v_lshlrev_b64 v[18:19], v18, v[1:2]
	v_sub_u32_e32 v1, 29, v22
	v_and_b32_e32 v18, 7, v18
	v_cndmask_b32_e32 v1, v21, v1, vcc
	v_cndmask_b32_e32 v16, v16, v18, vcc
	v_lshlrev_b32_e32 v18, 24, v43
	v_bfrev_b32_e32 v19, 60
	v_lshlrev_b32_e32 v16, 20, v16
	v_and_b32_e32 v18, 0x80000000, v18
	v_lshl_add_u32 v1, v1, 23, v19
	v_or3_b32 v16, v18, v1, v16
.LBB6_4376:                             ;   in Loop: Header=BB6_3885 Depth=4
	s_or_b64 exec, exec, s[52:53]
.LBB6_4377:                             ;   in Loop: Header=BB6_3885 Depth=4
	s_or_b64 exec, exec, s[50:51]
.LBB6_4378:                             ;   in Loop: Header=BB6_3885 Depth=4
	s_or_b64 exec, exec, s[48:49]
	v_max_f32_e32 v1, v16, v16
	v_max_f32_e32 v2, v2, v2
	;; [unrolled: 1-line block ×3, first 2 shown]
	s_mov_b64 s[48:49], 0
.LBB6_4379:                             ;   in Loop: Header=BB6_3885 Depth=4
	s_and_b64 vcc, exec, s[48:49]
	s_cbranch_vccz .LBB6_4393
; %bb.4380:                             ;   in Loop: Header=BB6_3885 Depth=4
	v_mov_b32_e32 v2, 0
	v_mov_b32_e32 v1, 0
	s_and_saveexec_b64 s[48:49], s[40:41]
	s_cbranch_execz .LBB6_4386
; %bb.4381:                             ;   in Loop: Header=BB6_3885 Depth=4
	v_cmp_ne_u16_e32 vcc, s82, v0
	v_bfrev_b32_e32 v1, 1
	s_and_saveexec_b64 s[40:41], vcc
	s_cbranch_execz .LBB6_4385
; %bb.4382:                             ;   in Loop: Header=BB6_3885 Depth=4
	v_and_b32_e32 v16, 0x7f, v15
	v_cmp_ne_u32_e32 vcc, s83, v16
	v_mov_b32_e32 v1, 0x7f800001
	s_and_saveexec_b64 s[50:51], vcc
	s_cbranch_execz .LBB6_4384
; %bb.4383:                             ;   in Loop: Header=BB6_3885 Depth=4
	v_and_b32_e32 v18, 7, v0
	v_ffbh_u32_e32 v1, v18
	v_lshrrev_b32_e32 v19, 3, v16
	v_cmp_gt_u32_e32 vcc, 8, v16
	v_min_u32_e32 v16, 32, v1
	v_subrev_u32_e32 v1, 28, v16
	v_lshlrev_b64 v[0:1], v1, v[0:1]
	v_sub_u32_e32 v1, 29, v16
	v_and_b32_e32 v0, 7, v0
	v_cndmask_b32_e32 v1, v19, v1, vcc
	v_cndmask_b32_e32 v0, v18, v0, vcc
	v_lshlrev_b32_e32 v15, 24, v15
	v_bfrev_b32_e32 v16, 60
	v_lshlrev_b32_e32 v0, 20, v0
	v_and_b32_e32 v15, 0x80000000, v15
	v_lshl_add_u32 v1, v1, 23, v16
	v_or3_b32 v1, v15, v1, v0
.LBB6_4384:                             ;   in Loop: Header=BB6_3885 Depth=4
	s_or_b64 exec, exec, s[50:51]
.LBB6_4385:                             ;   in Loop: Header=BB6_3885 Depth=4
	s_or_b64 exec, exec, s[40:41]
.LBB6_4386:                             ;   in Loop: Header=BB6_3885 Depth=4
	s_or_b64 exec, exec, s[48:49]
	v_and_b32_e32 v0, 0xff, v43
	v_cmp_ne_u16_e32 vcc, 0, v0
	s_and_saveexec_b64 s[40:41], vcc
	s_cbranch_execz .LBB6_4392
; %bb.4387:                             ;   in Loop: Header=BB6_3885 Depth=4
	v_cmp_ne_u16_e32 vcc, s82, v0
	v_bfrev_b32_e32 v2, 1
	s_and_saveexec_b64 s[48:49], vcc
	s_cbranch_execz .LBB6_4391
; %bb.4388:                             ;   in Loop: Header=BB6_3885 Depth=4
	v_and_b32_e32 v15, 0x7f, v43
	v_cmp_ne_u32_e32 vcc, s83, v15
	v_mov_b32_e32 v2, 0x7f800001
	s_and_saveexec_b64 s[50:51], vcc
	s_cbranch_execz .LBB6_4390
; %bb.4389:                             ;   in Loop: Header=BB6_3885 Depth=4
	v_and_b32_e32 v2, 7, v0
	v_lshrrev_b32_e32 v18, 3, v15
	v_cmp_gt_u32_e32 vcc, 8, v15
	v_ffbh_u32_e32 v15, v2
	v_min_u32_e32 v19, 32, v15
	v_subrev_u32_e32 v15, 28, v19
	v_lshlrev_b64 v[15:16], v15, v[0:1]
	v_sub_u32_e32 v0, 29, v19
	v_and_b32_e32 v15, 7, v15
	v_cndmask_b32_e32 v0, v18, v0, vcc
	v_cndmask_b32_e32 v2, v2, v15, vcc
	v_lshlrev_b32_e32 v15, 24, v43
	v_bfrev_b32_e32 v16, 60
	v_lshlrev_b32_e32 v2, 20, v2
	v_and_b32_e32 v15, 0x80000000, v15
	v_lshl_add_u32 v0, v0, 23, v16
	v_or3_b32 v2, v15, v0, v2
.LBB6_4390:                             ;   in Loop: Header=BB6_3885 Depth=4
	s_or_b64 exec, exec, s[50:51]
.LBB6_4391:                             ;   in Loop: Header=BB6_3885 Depth=4
	s_or_b64 exec, exec, s[48:49]
.LBB6_4392:                             ;   in Loop: Header=BB6_3885 Depth=4
	s_or_b64 exec, exec, s[40:41]
	v_max_f32_e32 v0, v2, v2
	v_max_f32_e32 v1, v1, v1
	v_min_f32_e32 v1, v1, v0
.LBB6_4393:                             ;   in Loop: Header=BB6_3885 Depth=4
	v_and_b32_e32 v52, 0x7f800000, v1
	v_cmp_ne_u64_e32 vcc, s[76:77], v[52:53]
                                        ; implicit-def: $vgpr43
	s_and_saveexec_b64 s[40:41], vcc
	s_xor_b64 s[48:49], exec, s[40:41]
	s_cbranch_execz .LBB6_4411
; %bb.4394:                             ;   in Loop: Header=BB6_3885 Depth=4
	v_and_b32_e32 v52, 0x7fffffff, v1
	v_cmp_gt_u64_e32 vcc, s[78:79], v[52:53]
	v_and_b32_sdwa v15, v1, s82 dst_sel:DWORD dst_unused:UNUSED_PAD src0_sel:BYTE_3 src1_sel:DWORD
                                        ; implicit-def: $vgpr43
	s_and_saveexec_b64 s[40:41], vcc
	s_xor_b64 s[50:51], exec, s[40:41]
	s_cbranch_execz .LBB6_4408
; %bb.4395:                             ;   in Loop: Header=BB6_3885 Depth=4
	v_cmp_ne_u32_e32 vcc, 0, v1
	v_mov_b32_e32 v43, 0
	s_and_saveexec_b64 s[52:53], vcc
	s_cbranch_execz .LBB6_4407
; %bb.4396:                             ;   in Loop: Header=BB6_3885 Depth=4
	v_bfe_u32 v16, v1, 23, 8
	v_and_b32_e32 v0, 0x7fffff, v1
	v_cmp_gt_u32_e64 s[40:41], s85, v16
	v_sub_u32_e32 v1, 0x79, v16
	v_cmp_eq_u32_e32 vcc, 0, v16
	v_cndmask_b32_e64 v1, 0, v1, s[40:41]
	v_mov_b32_e32 v18, 0x78
	v_or_b32_e32 v2, 0x800000, v0
	v_cndmask_b32_e32 v18, v1, v18, vcc
	v_cndmask_b32_e32 v52, v2, v0, vcc
	v_add_u32_e32 v0, 20, v18
	v_lshlrev_b64 v[0:1], v0, -1
	v_add_u32_e32 v2, 19, v18
	v_lshlrev_b64 v[21:22], v2, 1
	v_bfi_b32 v1, v1, 0, 0
	v_bfi_b32 v0, v0, 0, v52
	v_cmp_eq_u64_e64 s[40:41], v[0:1], v[21:22]
	v_lshrrev_b64 v[0:1], v18, v[52:53]
	v_mov_b32_e32 v2, v1
	v_mov_b32_e32 v1, v0
	s_and_saveexec_b64 s[54:55], s[40:41]
; %bb.4397:                             ;   in Loop: Header=BB6_3885 Depth=4
	v_bfe_u32 v1, v0, 20, 1
	v_add_co_u32_e64 v1, s[40:41], v0, v1
	v_add_co_u32_e64 v1, s[40:41], -1, v1
; %bb.4398:                             ;   in Loop: Header=BB6_3885 Depth=4
	s_or_b64 exec, exec, s[54:55]
	v_add_u32_e32 v2, 0xffffff81, v16
	v_mov_b32_e32 v16, 0xffffff82
	v_cndmask_b32_e32 v2, v2, v16, vcc
	v_lshrrev_b32_e32 v16, 23, v0
	v_add3_u32 v18, v18, v2, v16
	v_add_u32_e32 v16, 6, v18
	v_and_b32_e32 v1, 0xfffff, v1
	v_add_u32_e32 v52, v1, v0
	v_cmp_ne_u32_e32 vcc, 0, v16
                                        ; implicit-def: $vgpr0_vgpr1
                                        ; implicit-def: $vgpr2
	s_and_saveexec_b64 s[40:41], vcc
	s_xor_b64 s[40:41], exec, s[40:41]
; %bb.4399:                             ;   in Loop: Header=BB6_3885 Depth=4
	v_cmp_lt_u64_e32 vcc, s[88:89], v[52:53]
	v_add_u32_e32 v0, 7, v18
	v_cndmask_b32_e32 v2, v16, v0, vcc
	v_cndmask_b32_e64 v0, 0, 1, vcc
	v_lshrrev_b64 v[0:1], v0, v[52:53]
; %bb.4400:                             ;   in Loop: Header=BB6_3885 Depth=4
	s_andn2_saveexec_b64 s[40:41], s[40:41]
; %bb.4401:                             ;   in Loop: Header=BB6_3885 Depth=4
	v_mov_b32_e32 v0, v52
	v_bfe_u32 v2, v52, 23, 1
	v_mov_b32_e32 v1, v53
; %bb.4402:                             ;   in Loop: Header=BB6_3885 Depth=4
	s_or_b64 exec, exec, s[40:41]
	v_lshrrev_b64 v[0:1], 20, v[0:1]
	v_cmp_gt_i32_e32 vcc, 16, v2
	v_cndmask_b32_e32 v1, 0, v1, vcc
	v_cndmask_b32_e32 v0, 7, v0, vcc
	v_cmp_ne_u64_e32 vcc, 0, v[0:1]
	v_cmp_ne_u32_e64 s[40:41], 0, v2
	s_or_b64 s[40:41], s[40:41], vcc
                                        ; implicit-def: $vgpr43
	s_and_saveexec_b64 vcc, s[40:41]
	s_xor_b64 s[40:41], exec, vcc
; %bb.4403:                             ;   in Loop: Header=BB6_3885 Depth=4
	v_min_i32_e32 v1, 15, v2
	v_lshl_or_b32 v1, v1, 3, v15
	v_and_or_b32 v43, v0, 7, v1
                                        ; implicit-def: $vgpr15
; %bb.4404:                             ;   in Loop: Header=BB6_3885 Depth=4
	s_andn2_saveexec_b64 s[40:41], s[40:41]
; %bb.4405:                             ;   in Loop: Header=BB6_3885 Depth=4
	v_mov_b32_e32 v43, v15
; %bb.4406:                             ;   in Loop: Header=BB6_3885 Depth=4
	s_or_b64 exec, exec, s[40:41]
.LBB6_4407:                             ;   in Loop: Header=BB6_3885 Depth=4
	s_or_b64 exec, exec, s[52:53]
                                        ; implicit-def: $vgpr15
.LBB6_4408:                             ;   in Loop: Header=BB6_3885 Depth=4
	s_andn2_saveexec_b64 s[40:41], s[50:51]
; %bb.4409:                             ;   in Loop: Header=BB6_3885 Depth=4
	v_or_b32_e32 v43, 0x7e, v15
; %bb.4410:                             ;   in Loop: Header=BB6_3885 Depth=4
	s_or_b64 exec, exec, s[40:41]
                                        ; implicit-def: $vgpr1
.LBB6_4411:                             ;   in Loop: Header=BB6_3885 Depth=4
	s_andn2_saveexec_b64 s[40:41], s[48:49]
; %bb.4412:                             ;   in Loop: Header=BB6_3885 Depth=4
	v_or_b32_sdwa v43, v1, s83 dst_sel:DWORD dst_unused:UNUSED_PAD src0_sel:BYTE_3 src1_sel:DWORD
; %bb.4413:                             ;   in Loop: Header=BB6_3885 Depth=4
	s_or_b64 exec, exec, s[40:41]
	v_and_b32_e32 v0, 0xff, v23
	v_cmp_ne_u16_e64 s[40:41], 0, v0
	s_and_b64 vcc, exec, s[28:29]
	s_mov_b64 s[48:49], -1
                                        ; implicit-def: $vgpr1
	s_cbranch_vccnz .LBB6_4427
; %bb.4414:                             ;   in Loop: Header=BB6_3885 Depth=4
	v_mov_b32_e32 v15, 0
	v_mov_b32_e32 v2, 0
	s_and_saveexec_b64 s[48:49], s[40:41]
	s_cbranch_execz .LBB6_4420
; %bb.4415:                             ;   in Loop: Header=BB6_3885 Depth=4
	v_cmp_ne_u16_e32 vcc, s82, v0
	v_bfrev_b32_e32 v2, 1
	s_and_saveexec_b64 s[50:51], vcc
	s_cbranch_execz .LBB6_4419
; %bb.4416:                             ;   in Loop: Header=BB6_3885 Depth=4
	v_and_b32_e32 v1, 0x7f, v23
	v_cmp_ne_u32_e32 vcc, s83, v1
	v_mov_b32_e32 v2, 0x7f800001
	s_and_saveexec_b64 s[52:53], vcc
	s_cbranch_execz .LBB6_4418
; %bb.4417:                             ;   in Loop: Header=BB6_3885 Depth=4
	v_and_b32_e32 v16, 7, v0
	v_lshrrev_b32_e32 v18, 3, v1
	v_cmp_gt_u32_e32 vcc, 8, v1
	v_ffbh_u32_e32 v1, v16
	v_min_u32_e32 v19, 32, v1
	v_subrev_u32_e32 v1, 28, v19
	v_lshlrev_b64 v[1:2], v1, v[0:1]
	v_sub_u32_e32 v2, 29, v19
	v_and_b32_e32 v1, 7, v1
	v_cndmask_b32_e32 v2, v18, v2, vcc
	v_cndmask_b32_e32 v1, v16, v1, vcc
	v_lshlrev_b32_e32 v16, 24, v23
	v_bfrev_b32_e32 v18, 60
	v_lshlrev_b32_e32 v1, 20, v1
	v_and_b32_e32 v16, 0x80000000, v16
	v_lshl_add_u32 v2, v2, 23, v18
	v_or3_b32 v2, v16, v2, v1
.LBB6_4418:                             ;   in Loop: Header=BB6_3885 Depth=4
	s_or_b64 exec, exec, s[52:53]
.LBB6_4419:                             ;   in Loop: Header=BB6_3885 Depth=4
	s_or_b64 exec, exec, s[50:51]
.LBB6_4420:                             ;   in Loop: Header=BB6_3885 Depth=4
	s_or_b64 exec, exec, s[48:49]
	v_and_b32_e32 v1, 0xff, v44
	v_cmp_ne_u16_e32 vcc, 0, v1
	s_and_saveexec_b64 s[48:49], vcc
	s_cbranch_execz .LBB6_4426
; %bb.4421:                             ;   in Loop: Header=BB6_3885 Depth=4
	v_cmp_ne_u16_e32 vcc, s82, v1
	v_bfrev_b32_e32 v15, 1
	s_and_saveexec_b64 s[50:51], vcc
	s_cbranch_execz .LBB6_4425
; %bb.4422:                             ;   in Loop: Header=BB6_3885 Depth=4
	v_and_b32_e32 v16, 0x7f, v44
	v_cmp_ne_u32_e32 vcc, s83, v16
	v_mov_b32_e32 v15, 0x7f800001
	s_and_saveexec_b64 s[52:53], vcc
	s_cbranch_execz .LBB6_4424
; %bb.4423:                             ;   in Loop: Header=BB6_3885 Depth=4
	v_and_b32_e32 v18, 7, v1
	v_ffbh_u32_e32 v15, v18
	v_min_u32_e32 v21, 32, v15
	v_subrev_u32_e32 v15, 28, v21
	v_lshrrev_b32_e32 v19, 3, v16
	v_cmp_gt_u32_e32 vcc, 8, v16
	v_lshlrev_b64 v[15:16], v15, v[1:2]
	v_sub_u32_e32 v1, 29, v21
	v_and_b32_e32 v15, 7, v15
	v_cndmask_b32_e32 v1, v19, v1, vcc
	v_cndmask_b32_e32 v15, v18, v15, vcc
	v_lshlrev_b32_e32 v16, 24, v44
	v_bfrev_b32_e32 v18, 60
	v_lshlrev_b32_e32 v15, 20, v15
	v_and_b32_e32 v16, 0x80000000, v16
	v_lshl_add_u32 v1, v1, 23, v18
	v_or3_b32 v15, v16, v1, v15
.LBB6_4424:                             ;   in Loop: Header=BB6_3885 Depth=4
	s_or_b64 exec, exec, s[52:53]
.LBB6_4425:                             ;   in Loop: Header=BB6_3885 Depth=4
	s_or_b64 exec, exec, s[50:51]
.LBB6_4426:                             ;   in Loop: Header=BB6_3885 Depth=4
	s_or_b64 exec, exec, s[48:49]
	v_max_f32_e32 v1, v15, v15
	v_max_f32_e32 v2, v2, v2
	;; [unrolled: 1-line block ×3, first 2 shown]
	s_mov_b64 s[48:49], 0
.LBB6_4427:                             ;   in Loop: Header=BB6_3885 Depth=4
	s_and_b64 vcc, exec, s[48:49]
	s_cbranch_vccz .LBB6_4441
; %bb.4428:                             ;   in Loop: Header=BB6_3885 Depth=4
	v_mov_b32_e32 v2, 0
	v_mov_b32_e32 v1, 0
	s_and_saveexec_b64 s[48:49], s[40:41]
	s_cbranch_execz .LBB6_4434
; %bb.4429:                             ;   in Loop: Header=BB6_3885 Depth=4
	v_cmp_ne_u16_e32 vcc, s82, v0
	v_bfrev_b32_e32 v1, 1
	s_and_saveexec_b64 s[40:41], vcc
	s_cbranch_execz .LBB6_4433
; %bb.4430:                             ;   in Loop: Header=BB6_3885 Depth=4
	v_and_b32_e32 v15, 0x7f, v23
	v_cmp_ne_u32_e32 vcc, s83, v15
	v_mov_b32_e32 v1, 0x7f800001
	s_and_saveexec_b64 s[50:51], vcc
	s_cbranch_execz .LBB6_4432
; %bb.4431:                             ;   in Loop: Header=BB6_3885 Depth=4
	v_and_b32_e32 v16, 7, v0
	v_ffbh_u32_e32 v1, v16
	v_lshrrev_b32_e32 v18, 3, v15
	v_cmp_gt_u32_e32 vcc, 8, v15
	v_min_u32_e32 v15, 32, v1
	v_subrev_u32_e32 v1, 28, v15
	v_lshlrev_b64 v[0:1], v1, v[0:1]
	v_sub_u32_e32 v1, 29, v15
	v_and_b32_e32 v0, 7, v0
	v_cndmask_b32_e32 v1, v18, v1, vcc
	v_cndmask_b32_e32 v0, v16, v0, vcc
	v_lshlrev_b32_e32 v15, 24, v23
	v_bfrev_b32_e32 v16, 60
	v_lshlrev_b32_e32 v0, 20, v0
	v_and_b32_e32 v15, 0x80000000, v15
	v_lshl_add_u32 v1, v1, 23, v16
	v_or3_b32 v1, v15, v1, v0
.LBB6_4432:                             ;   in Loop: Header=BB6_3885 Depth=4
	s_or_b64 exec, exec, s[50:51]
.LBB6_4433:                             ;   in Loop: Header=BB6_3885 Depth=4
	s_or_b64 exec, exec, s[40:41]
.LBB6_4434:                             ;   in Loop: Header=BB6_3885 Depth=4
	s_or_b64 exec, exec, s[48:49]
	v_and_b32_e32 v0, 0xff, v44
	v_cmp_ne_u16_e32 vcc, 0, v0
	s_and_saveexec_b64 s[40:41], vcc
	s_cbranch_execz .LBB6_4440
; %bb.4435:                             ;   in Loop: Header=BB6_3885 Depth=4
	v_cmp_ne_u16_e32 vcc, s82, v0
	v_bfrev_b32_e32 v2, 1
	s_and_saveexec_b64 s[48:49], vcc
	s_cbranch_execz .LBB6_4439
; %bb.4436:                             ;   in Loop: Header=BB6_3885 Depth=4
	v_and_b32_e32 v15, 0x7f, v44
	v_cmp_ne_u32_e32 vcc, s83, v15
	v_mov_b32_e32 v2, 0x7f800001
	s_and_saveexec_b64 s[50:51], vcc
	s_cbranch_execz .LBB6_4438
; %bb.4437:                             ;   in Loop: Header=BB6_3885 Depth=4
	v_and_b32_e32 v2, 7, v0
	v_lshrrev_b32_e32 v18, 3, v15
	v_cmp_gt_u32_e32 vcc, 8, v15
	v_ffbh_u32_e32 v15, v2
	v_min_u32_e32 v19, 32, v15
	v_subrev_u32_e32 v15, 28, v19
	v_lshlrev_b64 v[15:16], v15, v[0:1]
	v_sub_u32_e32 v0, 29, v19
	v_and_b32_e32 v15, 7, v15
	v_cndmask_b32_e32 v0, v18, v0, vcc
	v_cndmask_b32_e32 v2, v2, v15, vcc
	v_lshlrev_b32_e32 v15, 24, v44
	v_bfrev_b32_e32 v16, 60
	v_lshlrev_b32_e32 v2, 20, v2
	v_and_b32_e32 v15, 0x80000000, v15
	v_lshl_add_u32 v0, v0, 23, v16
	v_or3_b32 v2, v15, v0, v2
.LBB6_4438:                             ;   in Loop: Header=BB6_3885 Depth=4
	s_or_b64 exec, exec, s[50:51]
.LBB6_4439:                             ;   in Loop: Header=BB6_3885 Depth=4
	s_or_b64 exec, exec, s[48:49]
.LBB6_4440:                             ;   in Loop: Header=BB6_3885 Depth=4
	s_or_b64 exec, exec, s[40:41]
	v_max_f32_e32 v0, v2, v2
	v_max_f32_e32 v1, v1, v1
	v_min_f32_e32 v1, v1, v0
.LBB6_4441:                             ;   in Loop: Header=BB6_3885 Depth=4
	v_and_b32_e32 v52, 0x7f800000, v1
	v_cmp_ne_u64_e32 vcc, s[76:77], v[52:53]
                                        ; implicit-def: $vgpr44
	s_mov_b64 s[40:41], exec
	s_and_b64 vcc, s[40:41], vcc
	s_xor_b64 s[48:49], vcc, s[40:41]
	v_mov_b32_e32 v23, v14
	s_mov_b64 exec, vcc
	s_cbranch_execz .LBB6_4459
; %bb.4442:                             ;   in Loop: Header=BB6_3885 Depth=4
	v_and_b32_e32 v52, 0x7fffffff, v1
	v_cmp_gt_u64_e32 vcc, s[78:79], v[52:53]
	v_and_b32_sdwa v15, v1, s82 dst_sel:DWORD dst_unused:UNUSED_PAD src0_sel:BYTE_3 src1_sel:DWORD
                                        ; implicit-def: $vgpr44
	s_and_saveexec_b64 s[40:41], vcc
	s_xor_b64 s[50:51], exec, s[40:41]
	s_cbranch_execz .LBB6_4456
; %bb.4443:                             ;   in Loop: Header=BB6_3885 Depth=4
	v_cmp_ne_u32_e32 vcc, 0, v1
	v_mov_b32_e32 v44, 0
	s_and_saveexec_b64 s[52:53], vcc
	s_cbranch_execz .LBB6_4455
; %bb.4444:                             ;   in Loop: Header=BB6_3885 Depth=4
	v_bfe_u32 v16, v1, 23, 8
	v_and_b32_e32 v0, 0x7fffff, v1
	v_cmp_gt_u32_e64 s[40:41], s85, v16
	v_sub_u32_e32 v1, 0x79, v16
	v_cmp_eq_u32_e32 vcc, 0, v16
	v_cndmask_b32_e64 v1, 0, v1, s[40:41]
	v_mov_b32_e32 v18, 0x78
	v_or_b32_e32 v2, 0x800000, v0
	v_cndmask_b32_e32 v18, v1, v18, vcc
	v_cndmask_b32_e32 v52, v2, v0, vcc
	v_add_u32_e32 v0, 20, v18
	v_lshlrev_b64 v[0:1], v0, -1
	v_add_u32_e32 v2, 19, v18
	v_lshlrev_b64 v[21:22], v2, 1
	v_bfi_b32 v1, v1, 0, 0
	v_bfi_b32 v0, v0, 0, v52
	v_cmp_eq_u64_e64 s[40:41], v[0:1], v[21:22]
	v_lshrrev_b64 v[0:1], v18, v[52:53]
	v_mov_b32_e32 v2, v1
	v_mov_b32_e32 v1, v0
	s_and_saveexec_b64 s[54:55], s[40:41]
; %bb.4445:                             ;   in Loop: Header=BB6_3885 Depth=4
	v_bfe_u32 v1, v0, 20, 1
	v_add_co_u32_e64 v1, s[40:41], v0, v1
	v_add_co_u32_e64 v1, s[40:41], -1, v1
; %bb.4446:                             ;   in Loop: Header=BB6_3885 Depth=4
	s_or_b64 exec, exec, s[54:55]
	v_add_u32_e32 v2, 0xffffff81, v16
	v_mov_b32_e32 v16, 0xffffff82
	v_cndmask_b32_e32 v2, v2, v16, vcc
	v_lshrrev_b32_e32 v16, 23, v0
	v_add3_u32 v18, v18, v2, v16
	v_add_u32_e32 v16, 6, v18
	v_and_b32_e32 v1, 0xfffff, v1
	v_add_u32_e32 v52, v1, v0
	v_cmp_ne_u32_e32 vcc, 0, v16
                                        ; implicit-def: $vgpr0_vgpr1
                                        ; implicit-def: $vgpr2
	s_and_saveexec_b64 s[40:41], vcc
	s_xor_b64 s[40:41], exec, s[40:41]
; %bb.4447:                             ;   in Loop: Header=BB6_3885 Depth=4
	v_cmp_lt_u64_e32 vcc, s[88:89], v[52:53]
	v_add_u32_e32 v0, 7, v18
	v_cndmask_b32_e32 v2, v16, v0, vcc
	v_cndmask_b32_e64 v0, 0, 1, vcc
	v_lshrrev_b64 v[0:1], v0, v[52:53]
; %bb.4448:                             ;   in Loop: Header=BB6_3885 Depth=4
	s_andn2_saveexec_b64 s[40:41], s[40:41]
; %bb.4449:                             ;   in Loop: Header=BB6_3885 Depth=4
	v_mov_b32_e32 v0, v52
	v_bfe_u32 v2, v52, 23, 1
	v_mov_b32_e32 v1, v53
; %bb.4450:                             ;   in Loop: Header=BB6_3885 Depth=4
	s_or_b64 exec, exec, s[40:41]
	v_lshrrev_b64 v[0:1], 20, v[0:1]
	v_cmp_gt_i32_e32 vcc, 16, v2
	v_cndmask_b32_e32 v1, 0, v1, vcc
	v_cndmask_b32_e32 v0, 7, v0, vcc
	v_cmp_ne_u64_e32 vcc, 0, v[0:1]
	v_cmp_ne_u32_e64 s[40:41], 0, v2
	s_or_b64 s[40:41], s[40:41], vcc
                                        ; implicit-def: $vgpr44
	s_and_saveexec_b64 vcc, s[40:41]
	s_xor_b64 s[40:41], exec, vcc
; %bb.4451:                             ;   in Loop: Header=BB6_3885 Depth=4
	v_min_i32_e32 v1, 15, v2
	v_lshl_or_b32 v1, v1, 3, v15
	v_and_or_b32 v44, v0, 7, v1
                                        ; implicit-def: $vgpr15
; %bb.4452:                             ;   in Loop: Header=BB6_3885 Depth=4
	s_andn2_saveexec_b64 s[40:41], s[40:41]
; %bb.4453:                             ;   in Loop: Header=BB6_3885 Depth=4
	v_mov_b32_e32 v44, v15
; %bb.4454:                             ;   in Loop: Header=BB6_3885 Depth=4
	s_or_b64 exec, exec, s[40:41]
.LBB6_4455:                             ;   in Loop: Header=BB6_3885 Depth=4
	s_or_b64 exec, exec, s[52:53]
                                        ; implicit-def: $vgpr15
.LBB6_4456:                             ;   in Loop: Header=BB6_3885 Depth=4
	s_andn2_saveexec_b64 s[40:41], s[50:51]
; %bb.4457:                             ;   in Loop: Header=BB6_3885 Depth=4
	v_or_b32_e32 v44, 0x7e, v15
; %bb.4458:                             ;   in Loop: Header=BB6_3885 Depth=4
	s_or_b64 exec, exec, s[40:41]
                                        ; implicit-def: $vgpr1
.LBB6_4459:                             ;   in Loop: Header=BB6_3885 Depth=4
	s_andn2_saveexec_b64 s[40:41], s[48:49]
; %bb.4460:                             ;   in Loop: Header=BB6_3885 Depth=4
	v_or_b32_sdwa v44, v1, s83 dst_sel:DWORD dst_unused:UNUSED_PAD src0_sel:BYTE_3 src1_sel:DWORD
; %bb.4461:                             ;   in Loop: Header=BB6_3885 Depth=4
	s_or_b64 exec, exec, s[40:41]
	v_and_b32_e32 v0, 0xff, v20
	v_cmp_ne_u16_e64 s[40:41], 0, v0
	s_and_b64 vcc, exec, s[28:29]
	s_mov_b64 s[48:49], -1
                                        ; implicit-def: $vgpr1
	s_cbranch_vccnz .LBB6_4475
; %bb.4462:                             ;   in Loop: Header=BB6_3885 Depth=4
	v_mov_b32_e32 v15, 0
	v_mov_b32_e32 v2, 0
	s_and_saveexec_b64 s[48:49], s[40:41]
	s_cbranch_execz .LBB6_4468
; %bb.4463:                             ;   in Loop: Header=BB6_3885 Depth=4
	v_cmp_ne_u16_e32 vcc, s82, v0
	v_bfrev_b32_e32 v2, 1
	s_and_saveexec_b64 s[50:51], vcc
	s_cbranch_execz .LBB6_4467
; %bb.4464:                             ;   in Loop: Header=BB6_3885 Depth=4
	v_and_b32_e32 v1, 0x7f, v20
	v_cmp_ne_u32_e32 vcc, s83, v1
	v_mov_b32_e32 v2, 0x7f800001
	s_and_saveexec_b64 s[52:53], vcc
	s_cbranch_execz .LBB6_4466
; %bb.4465:                             ;   in Loop: Header=BB6_3885 Depth=4
	v_and_b32_e32 v16, 7, v0
	v_lshrrev_b32_e32 v18, 3, v1
	v_cmp_gt_u32_e32 vcc, 8, v1
	v_ffbh_u32_e32 v1, v16
	v_min_u32_e32 v19, 32, v1
	v_subrev_u32_e32 v1, 28, v19
	v_lshlrev_b64 v[1:2], v1, v[0:1]
	v_sub_u32_e32 v2, 29, v19
	v_and_b32_e32 v1, 7, v1
	v_cndmask_b32_e32 v2, v18, v2, vcc
	v_cndmask_b32_e32 v1, v16, v1, vcc
	v_lshlrev_b32_e32 v16, 24, v20
	v_bfrev_b32_e32 v18, 60
	v_lshlrev_b32_e32 v1, 20, v1
	v_and_b32_e32 v16, 0x80000000, v16
	v_lshl_add_u32 v2, v2, 23, v18
	v_or3_b32 v2, v16, v2, v1
.LBB6_4466:                             ;   in Loop: Header=BB6_3885 Depth=4
	s_or_b64 exec, exec, s[52:53]
.LBB6_4467:                             ;   in Loop: Header=BB6_3885 Depth=4
	s_or_b64 exec, exec, s[50:51]
.LBB6_4468:                             ;   in Loop: Header=BB6_3885 Depth=4
	s_or_b64 exec, exec, s[48:49]
	v_and_b32_e32 v1, 0xff, v47
	v_cmp_ne_u16_e32 vcc, 0, v1
	s_and_saveexec_b64 s[48:49], vcc
	s_cbranch_execz .LBB6_4474
; %bb.4469:                             ;   in Loop: Header=BB6_3885 Depth=4
	v_cmp_ne_u16_e32 vcc, s82, v1
	v_bfrev_b32_e32 v15, 1
	s_and_saveexec_b64 s[50:51], vcc
	s_cbranch_execz .LBB6_4473
; %bb.4470:                             ;   in Loop: Header=BB6_3885 Depth=4
	v_and_b32_e32 v16, 0x7f, v47
	v_cmp_ne_u32_e32 vcc, s83, v16
	v_mov_b32_e32 v15, 0x7f800001
	s_and_saveexec_b64 s[52:53], vcc
	s_cbranch_execz .LBB6_4472
; %bb.4471:                             ;   in Loop: Header=BB6_3885 Depth=4
	v_and_b32_e32 v18, 7, v1
	v_ffbh_u32_e32 v15, v18
	v_min_u32_e32 v21, 32, v15
	v_subrev_u32_e32 v15, 28, v21
	v_lshrrev_b32_e32 v19, 3, v16
	v_cmp_gt_u32_e32 vcc, 8, v16
	v_lshlrev_b64 v[15:16], v15, v[1:2]
	v_sub_u32_e32 v1, 29, v21
	v_and_b32_e32 v15, 7, v15
	v_cndmask_b32_e32 v1, v19, v1, vcc
	v_cndmask_b32_e32 v15, v18, v15, vcc
	v_lshlrev_b32_e32 v16, 24, v47
	v_bfrev_b32_e32 v18, 60
	v_lshlrev_b32_e32 v15, 20, v15
	v_and_b32_e32 v16, 0x80000000, v16
	v_lshl_add_u32 v1, v1, 23, v18
	v_or3_b32 v15, v16, v1, v15
.LBB6_4472:                             ;   in Loop: Header=BB6_3885 Depth=4
	s_or_b64 exec, exec, s[52:53]
.LBB6_4473:                             ;   in Loop: Header=BB6_3885 Depth=4
	s_or_b64 exec, exec, s[50:51]
.LBB6_4474:                             ;   in Loop: Header=BB6_3885 Depth=4
	s_or_b64 exec, exec, s[48:49]
	v_max_f32_e32 v1, v15, v15
	v_max_f32_e32 v2, v2, v2
	;; [unrolled: 1-line block ×3, first 2 shown]
	s_mov_b64 s[48:49], 0
.LBB6_4475:                             ;   in Loop: Header=BB6_3885 Depth=4
	s_and_b64 vcc, exec, s[48:49]
	s_cbranch_vccz .LBB6_4489
; %bb.4476:                             ;   in Loop: Header=BB6_3885 Depth=4
	v_mov_b32_e32 v2, 0
	v_mov_b32_e32 v1, 0
	s_and_saveexec_b64 s[48:49], s[40:41]
	s_cbranch_execz .LBB6_4482
; %bb.4477:                             ;   in Loop: Header=BB6_3885 Depth=4
	v_cmp_ne_u16_e32 vcc, s82, v0
	v_bfrev_b32_e32 v1, 1
	s_and_saveexec_b64 s[40:41], vcc
	s_cbranch_execz .LBB6_4481
; %bb.4478:                             ;   in Loop: Header=BB6_3885 Depth=4
	v_and_b32_e32 v15, 0x7f, v20
	v_cmp_ne_u32_e32 vcc, s83, v15
	v_mov_b32_e32 v1, 0x7f800001
	s_and_saveexec_b64 s[50:51], vcc
	s_cbranch_execz .LBB6_4480
; %bb.4479:                             ;   in Loop: Header=BB6_3885 Depth=4
	v_and_b32_e32 v16, 7, v0
	v_ffbh_u32_e32 v1, v16
	v_lshrrev_b32_e32 v18, 3, v15
	v_cmp_gt_u32_e32 vcc, 8, v15
	v_min_u32_e32 v15, 32, v1
	v_subrev_u32_e32 v1, 28, v15
	v_lshlrev_b64 v[0:1], v1, v[0:1]
	v_sub_u32_e32 v1, 29, v15
	v_and_b32_e32 v0, 7, v0
	v_cndmask_b32_e32 v1, v18, v1, vcc
	v_cndmask_b32_e32 v0, v16, v0, vcc
	v_lshlrev_b32_e32 v15, 24, v20
	v_bfrev_b32_e32 v16, 60
	v_lshlrev_b32_e32 v0, 20, v0
	v_and_b32_e32 v15, 0x80000000, v15
	v_lshl_add_u32 v1, v1, 23, v16
	v_or3_b32 v1, v15, v1, v0
.LBB6_4480:                             ;   in Loop: Header=BB6_3885 Depth=4
	s_or_b64 exec, exec, s[50:51]
.LBB6_4481:                             ;   in Loop: Header=BB6_3885 Depth=4
	s_or_b64 exec, exec, s[40:41]
.LBB6_4482:                             ;   in Loop: Header=BB6_3885 Depth=4
	s_or_b64 exec, exec, s[48:49]
	v_and_b32_e32 v0, 0xff, v47
	v_cmp_ne_u16_e32 vcc, 0, v0
	s_and_saveexec_b64 s[40:41], vcc
	s_cbranch_execz .LBB6_4488
; %bb.4483:                             ;   in Loop: Header=BB6_3885 Depth=4
	v_cmp_ne_u16_e32 vcc, s82, v0
	v_bfrev_b32_e32 v2, 1
	s_and_saveexec_b64 s[48:49], vcc
	s_cbranch_execz .LBB6_4487
; %bb.4484:                             ;   in Loop: Header=BB6_3885 Depth=4
	v_and_b32_e32 v15, 0x7f, v47
	v_cmp_ne_u32_e32 vcc, s83, v15
	v_mov_b32_e32 v2, 0x7f800001
	s_and_saveexec_b64 s[50:51], vcc
	s_cbranch_execz .LBB6_4486
; %bb.4485:                             ;   in Loop: Header=BB6_3885 Depth=4
	v_and_b32_e32 v2, 7, v0
	v_lshrrev_b32_e32 v18, 3, v15
	v_cmp_gt_u32_e32 vcc, 8, v15
	v_ffbh_u32_e32 v15, v2
	v_min_u32_e32 v19, 32, v15
	v_subrev_u32_e32 v15, 28, v19
	v_lshlrev_b64 v[15:16], v15, v[0:1]
	v_sub_u32_e32 v0, 29, v19
	v_and_b32_e32 v15, 7, v15
	v_cndmask_b32_e32 v0, v18, v0, vcc
	v_cndmask_b32_e32 v2, v2, v15, vcc
	v_lshlrev_b32_e32 v15, 24, v47
	v_bfrev_b32_e32 v16, 60
	v_lshlrev_b32_e32 v2, 20, v2
	v_and_b32_e32 v15, 0x80000000, v15
	v_lshl_add_u32 v0, v0, 23, v16
	v_or3_b32 v2, v15, v0, v2
.LBB6_4486:                             ;   in Loop: Header=BB6_3885 Depth=4
	s_or_b64 exec, exec, s[50:51]
.LBB6_4487:                             ;   in Loop: Header=BB6_3885 Depth=4
	s_or_b64 exec, exec, s[48:49]
.LBB6_4488:                             ;   in Loop: Header=BB6_3885 Depth=4
	s_or_b64 exec, exec, s[40:41]
	v_max_f32_e32 v0, v2, v2
	v_max_f32_e32 v1, v1, v1
	v_min_f32_e32 v1, v1, v0
.LBB6_4489:                             ;   in Loop: Header=BB6_3885 Depth=4
	v_and_b32_e32 v52, 0x7f800000, v1
	v_cmp_ne_u64_e32 vcc, s[76:77], v[52:53]
                                        ; implicit-def: $vgpr47
	s_and_saveexec_b64 s[40:41], vcc
	s_xor_b64 s[48:49], exec, s[40:41]
	s_cbranch_execz .LBB6_4507
; %bb.4490:                             ;   in Loop: Header=BB6_3885 Depth=4
	v_and_b32_e32 v52, 0x7fffffff, v1
	v_cmp_gt_u64_e32 vcc, s[78:79], v[52:53]
	v_and_b32_sdwa v15, v1, s82 dst_sel:DWORD dst_unused:UNUSED_PAD src0_sel:BYTE_3 src1_sel:DWORD
                                        ; implicit-def: $vgpr47
	s_and_saveexec_b64 s[40:41], vcc
	s_xor_b64 s[50:51], exec, s[40:41]
	s_cbranch_execz .LBB6_4504
; %bb.4491:                             ;   in Loop: Header=BB6_3885 Depth=4
	v_cmp_ne_u32_e32 vcc, 0, v1
	v_mov_b32_e32 v47, 0
	s_and_saveexec_b64 s[52:53], vcc
	s_cbranch_execz .LBB6_4503
; %bb.4492:                             ;   in Loop: Header=BB6_3885 Depth=4
	v_bfe_u32 v16, v1, 23, 8
	v_and_b32_e32 v0, 0x7fffff, v1
	v_cmp_gt_u32_e64 s[40:41], s85, v16
	v_sub_u32_e32 v1, 0x79, v16
	v_cmp_eq_u32_e32 vcc, 0, v16
	v_cndmask_b32_e64 v1, 0, v1, s[40:41]
	v_mov_b32_e32 v18, 0x78
	v_or_b32_e32 v2, 0x800000, v0
	v_cndmask_b32_e32 v18, v1, v18, vcc
	v_cndmask_b32_e32 v52, v2, v0, vcc
	v_add_u32_e32 v0, 20, v18
	v_lshlrev_b64 v[0:1], v0, -1
	v_add_u32_e32 v2, 19, v18
	v_lshlrev_b64 v[19:20], v2, 1
	v_bfi_b32 v1, v1, 0, 0
	v_bfi_b32 v0, v0, 0, v52
	v_cmp_eq_u64_e64 s[40:41], v[0:1], v[19:20]
	v_lshrrev_b64 v[0:1], v18, v[52:53]
	v_mov_b32_e32 v2, v1
	v_mov_b32_e32 v1, v0
	s_and_saveexec_b64 s[54:55], s[40:41]
; %bb.4493:                             ;   in Loop: Header=BB6_3885 Depth=4
	v_bfe_u32 v1, v0, 20, 1
	v_add_co_u32_e64 v1, s[40:41], v0, v1
	v_add_co_u32_e64 v1, s[40:41], -1, v1
; %bb.4494:                             ;   in Loop: Header=BB6_3885 Depth=4
	s_or_b64 exec, exec, s[54:55]
	v_add_u32_e32 v2, 0xffffff81, v16
	v_mov_b32_e32 v16, 0xffffff82
	v_cndmask_b32_e32 v2, v2, v16, vcc
	v_lshrrev_b32_e32 v16, 23, v0
	v_add3_u32 v18, v18, v2, v16
	v_add_u32_e32 v16, 6, v18
	v_and_b32_e32 v1, 0xfffff, v1
	v_add_u32_e32 v52, v1, v0
	v_cmp_ne_u32_e32 vcc, 0, v16
                                        ; implicit-def: $vgpr0_vgpr1
                                        ; implicit-def: $vgpr2
	s_and_saveexec_b64 s[40:41], vcc
	s_xor_b64 s[40:41], exec, s[40:41]
; %bb.4495:                             ;   in Loop: Header=BB6_3885 Depth=4
	v_cmp_lt_u64_e32 vcc, s[88:89], v[52:53]
	v_add_u32_e32 v0, 7, v18
	v_cndmask_b32_e32 v2, v16, v0, vcc
	v_cndmask_b32_e64 v0, 0, 1, vcc
	v_lshrrev_b64 v[0:1], v0, v[52:53]
; %bb.4496:                             ;   in Loop: Header=BB6_3885 Depth=4
	s_andn2_saveexec_b64 s[40:41], s[40:41]
; %bb.4497:                             ;   in Loop: Header=BB6_3885 Depth=4
	v_mov_b32_e32 v0, v52
	v_bfe_u32 v2, v52, 23, 1
	v_mov_b32_e32 v1, v53
; %bb.4498:                             ;   in Loop: Header=BB6_3885 Depth=4
	s_or_b64 exec, exec, s[40:41]
	v_lshrrev_b64 v[0:1], 20, v[0:1]
	v_cmp_gt_i32_e32 vcc, 16, v2
	v_cndmask_b32_e32 v1, 0, v1, vcc
	v_cndmask_b32_e32 v0, 7, v0, vcc
	v_cmp_ne_u64_e32 vcc, 0, v[0:1]
	v_cmp_ne_u32_e64 s[40:41], 0, v2
	s_or_b64 s[40:41], s[40:41], vcc
                                        ; implicit-def: $vgpr47
	s_and_saveexec_b64 vcc, s[40:41]
	s_xor_b64 s[40:41], exec, vcc
; %bb.4499:                             ;   in Loop: Header=BB6_3885 Depth=4
	v_min_i32_e32 v1, 15, v2
	v_lshl_or_b32 v1, v1, 3, v15
	v_and_or_b32 v47, v0, 7, v1
                                        ; implicit-def: $vgpr15
; %bb.4500:                             ;   in Loop: Header=BB6_3885 Depth=4
	s_andn2_saveexec_b64 s[40:41], s[40:41]
; %bb.4501:                             ;   in Loop: Header=BB6_3885 Depth=4
	v_mov_b32_e32 v47, v15
; %bb.4502:                             ;   in Loop: Header=BB6_3885 Depth=4
	s_or_b64 exec, exec, s[40:41]
.LBB6_4503:                             ;   in Loop: Header=BB6_3885 Depth=4
	s_or_b64 exec, exec, s[52:53]
                                        ; implicit-def: $vgpr15
.LBB6_4504:                             ;   in Loop: Header=BB6_3885 Depth=4
	s_andn2_saveexec_b64 s[40:41], s[50:51]
; %bb.4505:                             ;   in Loop: Header=BB6_3885 Depth=4
	v_or_b32_e32 v47, 0x7e, v15
; %bb.4506:                             ;   in Loop: Header=BB6_3885 Depth=4
	s_or_b64 exec, exec, s[40:41]
                                        ; implicit-def: $vgpr1
.LBB6_4507:                             ;   in Loop: Header=BB6_3885 Depth=4
	s_andn2_saveexec_b64 s[40:41], s[48:49]
; %bb.4508:                             ;   in Loop: Header=BB6_3885 Depth=4
	v_or_b32_sdwa v47, v1, s83 dst_sel:DWORD dst_unused:UNUSED_PAD src0_sel:BYTE_3 src1_sel:DWORD
; %bb.4509:                             ;   in Loop: Header=BB6_3885 Depth=4
	s_or_b64 exec, exec, s[40:41]
	v_and_b32_e32 v0, 0xff, v17
	v_cmp_ne_u16_e64 s[40:41], 0, v0
	s_and_b64 vcc, exec, s[28:29]
	s_mov_b64 s[48:49], -1
                                        ; implicit-def: $vgpr1
	s_cbranch_vccnz .LBB6_4523
; %bb.4510:                             ;   in Loop: Header=BB6_3885 Depth=4
	v_mov_b32_e32 v15, 0
	v_mov_b32_e32 v2, 0
	s_and_saveexec_b64 s[48:49], s[40:41]
	s_cbranch_execz .LBB6_4516
; %bb.4511:                             ;   in Loop: Header=BB6_3885 Depth=4
	v_cmp_ne_u16_e32 vcc, s82, v0
	v_bfrev_b32_e32 v2, 1
	s_and_saveexec_b64 s[50:51], vcc
	s_cbranch_execz .LBB6_4515
; %bb.4512:                             ;   in Loop: Header=BB6_3885 Depth=4
	v_and_b32_e32 v1, 0x7f, v17
	v_cmp_ne_u32_e32 vcc, s83, v1
	v_mov_b32_e32 v2, 0x7f800001
	s_and_saveexec_b64 s[52:53], vcc
	s_cbranch_execz .LBB6_4514
; %bb.4513:                             ;   in Loop: Header=BB6_3885 Depth=4
	v_and_b32_e32 v16, 7, v0
	v_lshrrev_b32_e32 v18, 3, v1
	v_cmp_gt_u32_e32 vcc, 8, v1
	v_ffbh_u32_e32 v1, v16
	v_min_u32_e32 v19, 32, v1
	v_subrev_u32_e32 v1, 28, v19
	v_lshlrev_b64 v[1:2], v1, v[0:1]
	v_sub_u32_e32 v2, 29, v19
	v_and_b32_e32 v1, 7, v1
	v_cndmask_b32_e32 v2, v18, v2, vcc
	v_cndmask_b32_e32 v1, v16, v1, vcc
	v_lshlrev_b32_e32 v16, 24, v17
	v_bfrev_b32_e32 v18, 60
	v_lshlrev_b32_e32 v1, 20, v1
	v_and_b32_e32 v16, 0x80000000, v16
	v_lshl_add_u32 v2, v2, 23, v18
	v_or3_b32 v2, v16, v2, v1
.LBB6_4514:                             ;   in Loop: Header=BB6_3885 Depth=4
	s_or_b64 exec, exec, s[52:53]
.LBB6_4515:                             ;   in Loop: Header=BB6_3885 Depth=4
	s_or_b64 exec, exec, s[50:51]
.LBB6_4516:                             ;   in Loop: Header=BB6_3885 Depth=4
	s_or_b64 exec, exec, s[48:49]
	v_and_b32_e32 v1, 0xff, v6
	v_cmp_ne_u16_e32 vcc, 0, v1
	s_and_saveexec_b64 s[48:49], vcc
	s_cbranch_execz .LBB6_4522
; %bb.4517:                             ;   in Loop: Header=BB6_3885 Depth=4
	v_cmp_ne_u16_e32 vcc, s82, v1
	v_bfrev_b32_e32 v15, 1
	s_and_saveexec_b64 s[50:51], vcc
	s_cbranch_execz .LBB6_4521
; %bb.4518:                             ;   in Loop: Header=BB6_3885 Depth=4
	v_and_b32_e32 v16, 0x7f, v6
	v_cmp_ne_u32_e32 vcc, s83, v16
	v_mov_b32_e32 v15, 0x7f800001
	s_and_saveexec_b64 s[52:53], vcc
	s_cbranch_execz .LBB6_4520
; %bb.4519:                             ;   in Loop: Header=BB6_3885 Depth=4
	v_and_b32_e32 v18, 7, v1
	v_ffbh_u32_e32 v15, v18
	v_min_u32_e32 v20, 32, v15
	v_subrev_u32_e32 v15, 28, v20
	v_lshrrev_b32_e32 v19, 3, v16
	v_cmp_gt_u32_e32 vcc, 8, v16
	v_lshlrev_b64 v[15:16], v15, v[1:2]
	v_sub_u32_e32 v1, 29, v20
	v_and_b32_e32 v15, 7, v15
	v_cndmask_b32_e32 v1, v19, v1, vcc
	v_cndmask_b32_e32 v15, v18, v15, vcc
	v_lshlrev_b32_e32 v16, 24, v6
	v_bfrev_b32_e32 v18, 60
	v_lshlrev_b32_e32 v15, 20, v15
	v_and_b32_e32 v16, 0x80000000, v16
	v_lshl_add_u32 v1, v1, 23, v18
	v_or3_b32 v15, v16, v1, v15
.LBB6_4520:                             ;   in Loop: Header=BB6_3885 Depth=4
	s_or_b64 exec, exec, s[52:53]
.LBB6_4521:                             ;   in Loop: Header=BB6_3885 Depth=4
	s_or_b64 exec, exec, s[50:51]
.LBB6_4522:                             ;   in Loop: Header=BB6_3885 Depth=4
	s_or_b64 exec, exec, s[48:49]
	v_max_f32_e32 v1, v15, v15
	v_max_f32_e32 v2, v2, v2
	;; [unrolled: 1-line block ×3, first 2 shown]
	s_mov_b64 s[48:49], 0
.LBB6_4523:                             ;   in Loop: Header=BB6_3885 Depth=4
	s_and_b64 vcc, exec, s[48:49]
	s_cbranch_vccz .LBB6_4537
; %bb.4524:                             ;   in Loop: Header=BB6_3885 Depth=4
	v_mov_b32_e32 v2, 0
	v_mov_b32_e32 v1, 0
	s_and_saveexec_b64 s[48:49], s[40:41]
	s_cbranch_execz .LBB6_4530
; %bb.4525:                             ;   in Loop: Header=BB6_3885 Depth=4
	v_cmp_ne_u16_e32 vcc, s82, v0
	v_bfrev_b32_e32 v1, 1
	s_and_saveexec_b64 s[40:41], vcc
	s_cbranch_execz .LBB6_4529
; %bb.4526:                             ;   in Loop: Header=BB6_3885 Depth=4
	v_and_b32_e32 v15, 0x7f, v17
	v_cmp_ne_u32_e32 vcc, s83, v15
	v_mov_b32_e32 v1, 0x7f800001
	s_and_saveexec_b64 s[50:51], vcc
	s_cbranch_execz .LBB6_4528
; %bb.4527:                             ;   in Loop: Header=BB6_3885 Depth=4
	v_and_b32_e32 v16, 7, v0
	v_ffbh_u32_e32 v1, v16
	v_lshrrev_b32_e32 v18, 3, v15
	v_cmp_gt_u32_e32 vcc, 8, v15
	v_min_u32_e32 v15, 32, v1
	v_subrev_u32_e32 v1, 28, v15
	v_lshlrev_b64 v[0:1], v1, v[0:1]
	v_sub_u32_e32 v1, 29, v15
	v_and_b32_e32 v0, 7, v0
	v_cndmask_b32_e32 v1, v18, v1, vcc
	v_cndmask_b32_e32 v0, v16, v0, vcc
	v_lshlrev_b32_e32 v15, 24, v17
	v_bfrev_b32_e32 v16, 60
	v_lshlrev_b32_e32 v0, 20, v0
	v_and_b32_e32 v15, 0x80000000, v15
	v_lshl_add_u32 v1, v1, 23, v16
	v_or3_b32 v1, v15, v1, v0
.LBB6_4528:                             ;   in Loop: Header=BB6_3885 Depth=4
	s_or_b64 exec, exec, s[50:51]
.LBB6_4529:                             ;   in Loop: Header=BB6_3885 Depth=4
	s_or_b64 exec, exec, s[40:41]
.LBB6_4530:                             ;   in Loop: Header=BB6_3885 Depth=4
	s_or_b64 exec, exec, s[48:49]
	v_and_b32_e32 v0, 0xff, v6
	v_cmp_ne_u16_e32 vcc, 0, v0
	s_and_saveexec_b64 s[40:41], vcc
	s_cbranch_execz .LBB6_4536
; %bb.4531:                             ;   in Loop: Header=BB6_3885 Depth=4
	v_cmp_ne_u16_e32 vcc, s82, v0
	v_bfrev_b32_e32 v2, 1
	s_and_saveexec_b64 s[48:49], vcc
	s_cbranch_execz .LBB6_4535
; %bb.4532:                             ;   in Loop: Header=BB6_3885 Depth=4
	v_and_b32_e32 v15, 0x7f, v6
	v_cmp_ne_u32_e32 vcc, s83, v15
	v_mov_b32_e32 v2, 0x7f800001
	s_and_saveexec_b64 s[50:51], vcc
	s_cbranch_execz .LBB6_4534
; %bb.4533:                             ;   in Loop: Header=BB6_3885 Depth=4
	v_and_b32_e32 v2, 7, v0
	v_lshrrev_b32_e32 v17, 3, v15
	v_cmp_gt_u32_e32 vcc, 8, v15
	v_ffbh_u32_e32 v15, v2
	v_min_u32_e32 v18, 32, v15
	v_subrev_u32_e32 v15, 28, v18
	v_lshlrev_b64 v[15:16], v15, v[0:1]
	v_sub_u32_e32 v0, 29, v18
	v_and_b32_e32 v15, 7, v15
	v_cndmask_b32_e32 v0, v17, v0, vcc
	v_cndmask_b32_e32 v2, v2, v15, vcc
	v_lshlrev_b32_e32 v6, 24, v6
	v_bfrev_b32_e32 v15, 60
	v_lshlrev_b32_e32 v2, 20, v2
	v_and_b32_e32 v6, 0x80000000, v6
	v_lshl_add_u32 v0, v0, 23, v15
	v_or3_b32 v2, v6, v0, v2
.LBB6_4534:                             ;   in Loop: Header=BB6_3885 Depth=4
	s_or_b64 exec, exec, s[50:51]
.LBB6_4535:                             ;   in Loop: Header=BB6_3885 Depth=4
	s_or_b64 exec, exec, s[48:49]
.LBB6_4536:                             ;   in Loop: Header=BB6_3885 Depth=4
	s_or_b64 exec, exec, s[40:41]
	v_max_f32_e32 v0, v2, v2
	v_max_f32_e32 v1, v1, v1
	v_min_f32_e32 v1, v1, v0
.LBB6_4537:                             ;   in Loop: Header=BB6_3885 Depth=4
	v_and_b32_e32 v52, 0x7f800000, v1
	v_cmp_ne_u64_e32 vcc, s[76:77], v[52:53]
                                        ; implicit-def: $vgpr6
	s_and_saveexec_b64 s[40:41], vcc
	s_xor_b64 s[48:49], exec, s[40:41]
	s_cbranch_execz .LBB6_4555
; %bb.4538:                             ;   in Loop: Header=BB6_3885 Depth=4
	v_and_b32_e32 v52, 0x7fffffff, v1
	v_cmp_gt_u64_e32 vcc, s[78:79], v[52:53]
	v_and_b32_sdwa v15, v1, s82 dst_sel:DWORD dst_unused:UNUSED_PAD src0_sel:BYTE_3 src1_sel:DWORD
                                        ; implicit-def: $vgpr6
	s_and_saveexec_b64 s[40:41], vcc
	s_xor_b64 s[50:51], exec, s[40:41]
	s_cbranch_execz .LBB6_4552
; %bb.4539:                             ;   in Loop: Header=BB6_3885 Depth=4
	v_cmp_ne_u32_e32 vcc, 0, v1
	v_mov_b32_e32 v6, 0
	s_and_saveexec_b64 s[52:53], vcc
	s_cbranch_execz .LBB6_4551
; %bb.4540:                             ;   in Loop: Header=BB6_3885 Depth=4
	v_bfe_u32 v6, v1, 23, 8
	v_and_b32_e32 v0, 0x7fffff, v1
	v_cmp_gt_u32_e64 s[40:41], s85, v6
	v_sub_u32_e32 v1, 0x79, v6
	v_cmp_eq_u32_e32 vcc, 0, v6
	v_cndmask_b32_e64 v1, 0, v1, s[40:41]
	v_mov_b32_e32 v16, 0x78
	v_or_b32_e32 v2, 0x800000, v0
	v_cndmask_b32_e32 v16, v1, v16, vcc
	v_cndmask_b32_e32 v52, v2, v0, vcc
	v_add_u32_e32 v0, 20, v16
	v_lshlrev_b64 v[0:1], v0, -1
	v_add_u32_e32 v2, 19, v16
	v_lshlrev_b64 v[17:18], v2, 1
	v_bfi_b32 v1, v1, 0, 0
	v_bfi_b32 v0, v0, 0, v52
	v_cmp_eq_u64_e64 s[40:41], v[0:1], v[17:18]
	v_lshrrev_b64 v[0:1], v16, v[52:53]
	v_mov_b32_e32 v2, v1
	v_mov_b32_e32 v1, v0
	s_and_saveexec_b64 s[54:55], s[40:41]
; %bb.4541:                             ;   in Loop: Header=BB6_3885 Depth=4
	v_bfe_u32 v1, v0, 20, 1
	v_add_co_u32_e64 v1, s[40:41], v0, v1
	v_add_co_u32_e64 v1, s[40:41], -1, v1
; %bb.4542:                             ;   in Loop: Header=BB6_3885 Depth=4
	s_or_b64 exec, exec, s[54:55]
	v_add_u32_e32 v2, 0xffffff81, v6
	v_mov_b32_e32 v6, 0xffffff82
	v_cndmask_b32_e32 v2, v2, v6, vcc
	v_lshrrev_b32_e32 v6, 23, v0
	v_add3_u32 v16, v16, v2, v6
	v_add_u32_e32 v6, 6, v16
	v_and_b32_e32 v1, 0xfffff, v1
	v_add_u32_e32 v52, v1, v0
	v_cmp_ne_u32_e32 vcc, 0, v6
                                        ; implicit-def: $vgpr0_vgpr1
                                        ; implicit-def: $vgpr2
	s_and_saveexec_b64 s[40:41], vcc
	s_xor_b64 s[40:41], exec, s[40:41]
; %bb.4543:                             ;   in Loop: Header=BB6_3885 Depth=4
	v_cmp_lt_u64_e32 vcc, s[88:89], v[52:53]
	v_add_u32_e32 v0, 7, v16
	v_cndmask_b32_e32 v2, v6, v0, vcc
	v_cndmask_b32_e64 v0, 0, 1, vcc
	v_lshrrev_b64 v[0:1], v0, v[52:53]
; %bb.4544:                             ;   in Loop: Header=BB6_3885 Depth=4
	s_andn2_saveexec_b64 s[40:41], s[40:41]
; %bb.4545:                             ;   in Loop: Header=BB6_3885 Depth=4
	v_mov_b32_e32 v0, v52
	v_bfe_u32 v2, v52, 23, 1
	v_mov_b32_e32 v1, v53
; %bb.4546:                             ;   in Loop: Header=BB6_3885 Depth=4
	s_or_b64 exec, exec, s[40:41]
	v_lshrrev_b64 v[0:1], 20, v[0:1]
	v_cmp_gt_i32_e32 vcc, 16, v2
	v_cndmask_b32_e32 v1, 0, v1, vcc
	v_cndmask_b32_e32 v0, 7, v0, vcc
	v_cmp_ne_u64_e32 vcc, 0, v[0:1]
	v_cmp_ne_u32_e64 s[40:41], 0, v2
	s_or_b64 s[40:41], s[40:41], vcc
                                        ; implicit-def: $vgpr6
	s_and_saveexec_b64 vcc, s[40:41]
	s_xor_b64 s[40:41], exec, vcc
; %bb.4547:                             ;   in Loop: Header=BB6_3885 Depth=4
	v_min_i32_e32 v1, 15, v2
	v_lshl_or_b32 v1, v1, 3, v15
	v_and_or_b32 v6, v0, 7, v1
                                        ; implicit-def: $vgpr15
; %bb.4548:                             ;   in Loop: Header=BB6_3885 Depth=4
	s_andn2_saveexec_b64 s[40:41], s[40:41]
; %bb.4549:                             ;   in Loop: Header=BB6_3885 Depth=4
	v_mov_b32_e32 v6, v15
; %bb.4550:                             ;   in Loop: Header=BB6_3885 Depth=4
	s_or_b64 exec, exec, s[40:41]
.LBB6_4551:                             ;   in Loop: Header=BB6_3885 Depth=4
	s_or_b64 exec, exec, s[52:53]
                                        ; implicit-def: $vgpr15
.LBB6_4552:                             ;   in Loop: Header=BB6_3885 Depth=4
	s_andn2_saveexec_b64 s[40:41], s[50:51]
; %bb.4553:                             ;   in Loop: Header=BB6_3885 Depth=4
	v_or_b32_e32 v6, 0x7e, v15
; %bb.4554:                             ;   in Loop: Header=BB6_3885 Depth=4
	s_or_b64 exec, exec, s[40:41]
                                        ; implicit-def: $vgpr1
.LBB6_4555:                             ;   in Loop: Header=BB6_3885 Depth=4
	s_andn2_saveexec_b64 s[40:41], s[48:49]
; %bb.4556:                             ;   in Loop: Header=BB6_3885 Depth=4
	v_or_b32_sdwa v6, v1, s83 dst_sel:DWORD dst_unused:UNUSED_PAD src0_sel:BYTE_3 src1_sel:DWORD
; %bb.4557:                             ;   in Loop: Header=BB6_3885 Depth=4
	s_or_b64 exec, exec, s[40:41]
	v_and_b32_e32 v0, 0xff, v57
	v_cmp_ne_u16_e64 s[40:41], 0, v0
	s_and_b64 vcc, exec, s[28:29]
	s_mov_b64 s[48:49], -1
                                        ; implicit-def: $vgpr1
	s_cbranch_vccnz .LBB6_4571
; %bb.4558:                             ;   in Loop: Header=BB6_3885 Depth=4
	v_mov_b32_e32 v15, 0
	v_mov_b32_e32 v2, 0
	s_and_saveexec_b64 s[48:49], s[40:41]
	s_cbranch_execz .LBB6_4564
; %bb.4559:                             ;   in Loop: Header=BB6_3885 Depth=4
	v_cmp_ne_u16_e32 vcc, s82, v0
	v_bfrev_b32_e32 v2, 1
	s_and_saveexec_b64 s[50:51], vcc
	s_cbranch_execz .LBB6_4563
; %bb.4560:                             ;   in Loop: Header=BB6_3885 Depth=4
	v_and_b32_e32 v1, 0x7f, v57
	v_cmp_ne_u32_e32 vcc, s83, v1
	v_mov_b32_e32 v2, 0x7f800001
	s_and_saveexec_b64 s[52:53], vcc
	s_cbranch_execz .LBB6_4562
; %bb.4561:                             ;   in Loop: Header=BB6_3885 Depth=4
	v_and_b32_e32 v16, 7, v0
	v_lshrrev_b32_e32 v17, 3, v1
	v_cmp_gt_u32_e32 vcc, 8, v1
	v_ffbh_u32_e32 v1, v16
	v_min_u32_e32 v18, 32, v1
	v_subrev_u32_e32 v1, 28, v18
	v_lshlrev_b64 v[1:2], v1, v[0:1]
	v_sub_u32_e32 v2, 29, v18
	v_and_b32_e32 v1, 7, v1
	v_cndmask_b32_e32 v2, v17, v2, vcc
	v_cndmask_b32_e32 v1, v16, v1, vcc
	v_lshlrev_b32_e32 v16, 24, v57
	v_bfrev_b32_e32 v17, 60
	v_lshlrev_b32_e32 v1, 20, v1
	v_and_b32_e32 v16, 0x80000000, v16
	v_lshl_add_u32 v2, v2, 23, v17
	v_or3_b32 v2, v16, v2, v1
.LBB6_4562:                             ;   in Loop: Header=BB6_3885 Depth=4
	s_or_b64 exec, exec, s[52:53]
.LBB6_4563:                             ;   in Loop: Header=BB6_3885 Depth=4
	s_or_b64 exec, exec, s[50:51]
.LBB6_4564:                             ;   in Loop: Header=BB6_3885 Depth=4
	s_or_b64 exec, exec, s[48:49]
	v_and_b32_e32 v1, 0xff, v5
	v_cmp_ne_u16_e32 vcc, 0, v1
	s_and_saveexec_b64 s[48:49], vcc
	s_cbranch_execz .LBB6_4570
; %bb.4565:                             ;   in Loop: Header=BB6_3885 Depth=4
	v_cmp_ne_u16_e32 vcc, s82, v1
	v_bfrev_b32_e32 v15, 1
	s_and_saveexec_b64 s[50:51], vcc
	s_cbranch_execz .LBB6_4569
; %bb.4566:                             ;   in Loop: Header=BB6_3885 Depth=4
	v_and_b32_e32 v16, 0x7f, v5
	v_cmp_ne_u32_e32 vcc, s83, v16
	v_mov_b32_e32 v15, 0x7f800001
	s_and_saveexec_b64 s[52:53], vcc
	s_cbranch_execz .LBB6_4568
; %bb.4567:                             ;   in Loop: Header=BB6_3885 Depth=4
	v_and_b32_e32 v17, 7, v1
	v_ffbh_u32_e32 v15, v17
	v_min_u32_e32 v19, 32, v15
	v_subrev_u32_e32 v15, 28, v19
	v_lshrrev_b32_e32 v18, 3, v16
	v_cmp_gt_u32_e32 vcc, 8, v16
	v_lshlrev_b64 v[15:16], v15, v[1:2]
	v_sub_u32_e32 v1, 29, v19
	v_and_b32_e32 v15, 7, v15
	v_cndmask_b32_e32 v1, v18, v1, vcc
	v_cndmask_b32_e32 v15, v17, v15, vcc
	v_lshlrev_b32_e32 v16, 24, v5
	v_bfrev_b32_e32 v17, 60
	v_lshlrev_b32_e32 v15, 20, v15
	v_and_b32_e32 v16, 0x80000000, v16
	v_lshl_add_u32 v1, v1, 23, v17
	v_or3_b32 v15, v16, v1, v15
.LBB6_4568:                             ;   in Loop: Header=BB6_3885 Depth=4
	s_or_b64 exec, exec, s[52:53]
.LBB6_4569:                             ;   in Loop: Header=BB6_3885 Depth=4
	s_or_b64 exec, exec, s[50:51]
.LBB6_4570:                             ;   in Loop: Header=BB6_3885 Depth=4
	s_or_b64 exec, exec, s[48:49]
	v_max_f32_e32 v1, v15, v15
	v_max_f32_e32 v2, v2, v2
	;; [unrolled: 1-line block ×3, first 2 shown]
	s_mov_b64 s[48:49], 0
.LBB6_4571:                             ;   in Loop: Header=BB6_3885 Depth=4
	s_and_b64 vcc, exec, s[48:49]
	s_cbranch_vccz .LBB6_4585
; %bb.4572:                             ;   in Loop: Header=BB6_3885 Depth=4
	v_mov_b32_e32 v2, 0
	v_mov_b32_e32 v1, 0
	s_and_saveexec_b64 s[48:49], s[40:41]
	s_cbranch_execz .LBB6_4578
; %bb.4573:                             ;   in Loop: Header=BB6_3885 Depth=4
	v_cmp_ne_u16_e32 vcc, s82, v0
	v_bfrev_b32_e32 v1, 1
	s_and_saveexec_b64 s[40:41], vcc
	s_cbranch_execz .LBB6_4577
; %bb.4574:                             ;   in Loop: Header=BB6_3885 Depth=4
	v_and_b32_e32 v15, 0x7f, v57
	v_cmp_ne_u32_e32 vcc, s83, v15
	v_mov_b32_e32 v1, 0x7f800001
	s_and_saveexec_b64 s[50:51], vcc
	s_cbranch_execz .LBB6_4576
; %bb.4575:                             ;   in Loop: Header=BB6_3885 Depth=4
	v_and_b32_e32 v16, 7, v0
	v_ffbh_u32_e32 v1, v16
	v_lshrrev_b32_e32 v17, 3, v15
	v_cmp_gt_u32_e32 vcc, 8, v15
	v_min_u32_e32 v15, 32, v1
	v_subrev_u32_e32 v1, 28, v15
	v_lshlrev_b64 v[0:1], v1, v[0:1]
	v_sub_u32_e32 v1, 29, v15
	v_and_b32_e32 v0, 7, v0
	v_cndmask_b32_e32 v1, v17, v1, vcc
	v_cndmask_b32_e32 v0, v16, v0, vcc
	v_lshlrev_b32_e32 v15, 24, v57
	v_bfrev_b32_e32 v16, 60
	v_lshlrev_b32_e32 v0, 20, v0
	v_and_b32_e32 v15, 0x80000000, v15
	v_lshl_add_u32 v1, v1, 23, v16
	v_or3_b32 v1, v15, v1, v0
.LBB6_4576:                             ;   in Loop: Header=BB6_3885 Depth=4
	s_or_b64 exec, exec, s[50:51]
.LBB6_4577:                             ;   in Loop: Header=BB6_3885 Depth=4
	s_or_b64 exec, exec, s[40:41]
.LBB6_4578:                             ;   in Loop: Header=BB6_3885 Depth=4
	s_or_b64 exec, exec, s[48:49]
	v_and_b32_e32 v0, 0xff, v5
	v_cmp_ne_u16_e32 vcc, 0, v0
	s_and_saveexec_b64 s[40:41], vcc
	s_cbranch_execz .LBB6_4584
; %bb.4579:                             ;   in Loop: Header=BB6_3885 Depth=4
	v_cmp_ne_u16_e32 vcc, s82, v0
	v_bfrev_b32_e32 v2, 1
	s_and_saveexec_b64 s[48:49], vcc
	s_cbranch_execz .LBB6_4583
; %bb.4580:                             ;   in Loop: Header=BB6_3885 Depth=4
	v_and_b32_e32 v15, 0x7f, v5
	v_cmp_ne_u32_e32 vcc, s83, v15
	v_mov_b32_e32 v2, 0x7f800001
	s_and_saveexec_b64 s[50:51], vcc
	s_cbranch_execz .LBB6_4582
; %bb.4581:                             ;   in Loop: Header=BB6_3885 Depth=4
	v_and_b32_e32 v2, 7, v0
	v_lshrrev_b32_e32 v17, 3, v15
	v_cmp_gt_u32_e32 vcc, 8, v15
	v_ffbh_u32_e32 v15, v2
	v_min_u32_e32 v18, 32, v15
	v_subrev_u32_e32 v15, 28, v18
	v_lshlrev_b64 v[15:16], v15, v[0:1]
	v_sub_u32_e32 v0, 29, v18
	v_and_b32_e32 v15, 7, v15
	v_cndmask_b32_e32 v0, v17, v0, vcc
	v_cndmask_b32_e32 v2, v2, v15, vcc
	v_lshlrev_b32_e32 v5, 24, v5
	v_bfrev_b32_e32 v15, 60
	v_lshlrev_b32_e32 v2, 20, v2
	v_and_b32_e32 v5, 0x80000000, v5
	v_lshl_add_u32 v0, v0, 23, v15
	v_or3_b32 v2, v5, v0, v2
.LBB6_4582:                             ;   in Loop: Header=BB6_3885 Depth=4
	s_or_b64 exec, exec, s[50:51]
.LBB6_4583:                             ;   in Loop: Header=BB6_3885 Depth=4
	s_or_b64 exec, exec, s[48:49]
.LBB6_4584:                             ;   in Loop: Header=BB6_3885 Depth=4
	s_or_b64 exec, exec, s[40:41]
	v_max_f32_e32 v0, v2, v2
	v_max_f32_e32 v1, v1, v1
	v_min_f32_e32 v1, v1, v0
.LBB6_4585:                             ;   in Loop: Header=BB6_3885 Depth=4
	v_and_b32_e32 v52, 0x7f800000, v1
	v_cmp_ne_u64_e32 vcc, s[76:77], v[52:53]
                                        ; implicit-def: $vgpr5
	s_mov_b64 s[40:41], exec
	buffer_load_dword v57, off, s[0:3], s33 offset:160 ; 4-byte Folded Reload
	buffer_load_dword v20, off, s[0:3], s33 offset:152 ; 4-byte Folded Reload
	v_mov_b32_e32 v21, v3
	buffer_load_dword v22, off, s[0:3], s33 offset:156 ; 4-byte Folded Reload
	buffer_load_dword v3, off, s[0:3], s33 offset:164 ; 4-byte Folded Reload
	s_and_b64 vcc, s[40:41], vcc
	s_xor_b64 s[48:49], vcc, s[40:41]
	v_mov_b32_e32 v25, v40
	v_mov_b32_e32 v24, v41
	s_mov_b64 exec, vcc
	s_cbranch_execz .LBB6_4603
; %bb.4586:                             ;   in Loop: Header=BB6_3885 Depth=4
	v_and_b32_e32 v52, 0x7fffffff, v1
	v_cmp_gt_u64_e32 vcc, s[78:79], v[52:53]
	v_and_b32_sdwa v15, v1, s82 dst_sel:DWORD dst_unused:UNUSED_PAD src0_sel:BYTE_3 src1_sel:DWORD
                                        ; implicit-def: $vgpr5
	s_and_saveexec_b64 s[40:41], vcc
	s_xor_b64 s[50:51], exec, s[40:41]
	s_cbranch_execz .LBB6_4600
; %bb.4587:                             ;   in Loop: Header=BB6_3885 Depth=4
	v_cmp_ne_u32_e32 vcc, 0, v1
	v_mov_b32_e32 v5, 0
	s_and_saveexec_b64 s[52:53], vcc
	s_cbranch_execz .LBB6_4599
; %bb.4588:                             ;   in Loop: Header=BB6_3885 Depth=4
	v_bfe_u32 v5, v1, 23, 8
	v_and_b32_e32 v0, 0x7fffff, v1
	v_cmp_gt_u32_e64 s[40:41], s85, v5
	v_sub_u32_e32 v1, 0x79, v5
	v_cmp_eq_u32_e32 vcc, 0, v5
	v_cndmask_b32_e64 v1, 0, v1, s[40:41]
	v_mov_b32_e32 v16, 0x78
	v_or_b32_e32 v2, 0x800000, v0
	v_cndmask_b32_e32 v16, v1, v16, vcc
	v_cndmask_b32_e32 v52, v2, v0, vcc
	v_add_u32_e32 v0, 20, v16
	v_lshlrev_b64 v[0:1], v0, -1
	v_add_u32_e32 v2, 19, v16
	v_lshlrev_b64 v[17:18], v2, 1
	v_bfi_b32 v1, v1, 0, 0
	v_bfi_b32 v0, v0, 0, v52
	v_cmp_eq_u64_e64 s[40:41], v[0:1], v[17:18]
	v_lshrrev_b64 v[0:1], v16, v[52:53]
	v_mov_b32_e32 v2, v1
	v_mov_b32_e32 v1, v0
	s_and_saveexec_b64 s[54:55], s[40:41]
; %bb.4589:                             ;   in Loop: Header=BB6_3885 Depth=4
	v_bfe_u32 v1, v0, 20, 1
	v_add_co_u32_e64 v1, s[40:41], v0, v1
	v_add_co_u32_e64 v1, s[40:41], -1, v1
; %bb.4590:                             ;   in Loop: Header=BB6_3885 Depth=4
	s_or_b64 exec, exec, s[54:55]
	v_add_u32_e32 v2, 0xffffff81, v5
	v_mov_b32_e32 v5, 0xffffff82
	v_cndmask_b32_e32 v2, v2, v5, vcc
	v_lshrrev_b32_e32 v5, 23, v0
	v_add3_u32 v16, v16, v2, v5
	v_add_u32_e32 v5, 6, v16
	v_and_b32_e32 v1, 0xfffff, v1
	v_add_u32_e32 v52, v1, v0
	v_cmp_ne_u32_e32 vcc, 0, v5
                                        ; implicit-def: $vgpr0_vgpr1
                                        ; implicit-def: $vgpr2
	s_and_saveexec_b64 s[40:41], vcc
	s_xor_b64 s[40:41], exec, s[40:41]
; %bb.4591:                             ;   in Loop: Header=BB6_3885 Depth=4
	v_cmp_lt_u64_e32 vcc, s[88:89], v[52:53]
	v_add_u32_e32 v0, 7, v16
	v_cndmask_b32_e32 v2, v5, v0, vcc
	v_cndmask_b32_e64 v0, 0, 1, vcc
	v_lshrrev_b64 v[0:1], v0, v[52:53]
; %bb.4592:                             ;   in Loop: Header=BB6_3885 Depth=4
	s_andn2_saveexec_b64 s[40:41], s[40:41]
; %bb.4593:                             ;   in Loop: Header=BB6_3885 Depth=4
	v_mov_b32_e32 v0, v52
	v_bfe_u32 v2, v52, 23, 1
	v_mov_b32_e32 v1, v53
; %bb.4594:                             ;   in Loop: Header=BB6_3885 Depth=4
	s_or_b64 exec, exec, s[40:41]
	v_lshrrev_b64 v[0:1], 20, v[0:1]
	v_cmp_gt_i32_e32 vcc, 16, v2
	v_cndmask_b32_e32 v1, 0, v1, vcc
	v_cndmask_b32_e32 v0, 7, v0, vcc
	v_cmp_ne_u64_e32 vcc, 0, v[0:1]
	v_cmp_ne_u32_e64 s[40:41], 0, v2
	s_or_b64 s[40:41], s[40:41], vcc
                                        ; implicit-def: $vgpr5
	s_and_saveexec_b64 vcc, s[40:41]
	s_xor_b64 s[40:41], exec, vcc
; %bb.4595:                             ;   in Loop: Header=BB6_3885 Depth=4
	v_min_i32_e32 v1, 15, v2
	v_lshl_or_b32 v1, v1, 3, v15
	v_and_or_b32 v5, v0, 7, v1
                                        ; implicit-def: $vgpr15
; %bb.4596:                             ;   in Loop: Header=BB6_3885 Depth=4
	s_andn2_saveexec_b64 s[40:41], s[40:41]
; %bb.4597:                             ;   in Loop: Header=BB6_3885 Depth=4
	v_mov_b32_e32 v5, v15
; %bb.4598:                             ;   in Loop: Header=BB6_3885 Depth=4
	s_or_b64 exec, exec, s[40:41]
.LBB6_4599:                             ;   in Loop: Header=BB6_3885 Depth=4
	s_or_b64 exec, exec, s[52:53]
                                        ; implicit-def: $vgpr15
.LBB6_4600:                             ;   in Loop: Header=BB6_3885 Depth=4
	s_andn2_saveexec_b64 s[40:41], s[50:51]
; %bb.4601:                             ;   in Loop: Header=BB6_3885 Depth=4
	v_or_b32_e32 v5, 0x7e, v15
; %bb.4602:                             ;   in Loop: Header=BB6_3885 Depth=4
	s_or_b64 exec, exec, s[40:41]
                                        ; implicit-def: $vgpr1
.LBB6_4603:                             ;   in Loop: Header=BB6_3885 Depth=4
	s_andn2_saveexec_b64 s[40:41], s[48:49]
; %bb.4604:                             ;   in Loop: Header=BB6_3885 Depth=4
	v_or_b32_sdwa v5, v1, s83 dst_sel:DWORD dst_unused:UNUSED_PAD src0_sel:BYTE_3 src1_sel:DWORD
; %bb.4605:                             ;   in Loop: Header=BB6_3885 Depth=4
	s_or_b64 exec, exec, s[40:41]
	v_and_b32_e32 v0, 0xff, v56
	v_cmp_ne_u16_e64 s[40:41], 0, v0
	s_and_b64 vcc, exec, s[28:29]
	s_mov_b64 s[48:49], -1
                                        ; implicit-def: $vgpr1
	s_cbranch_vccnz .LBB6_4619
; %bb.4606:                             ;   in Loop: Header=BB6_3885 Depth=4
	v_mov_b32_e32 v15, 0
	v_mov_b32_e32 v2, 0
	s_and_saveexec_b64 s[48:49], s[40:41]
	s_cbranch_execz .LBB6_4612
; %bb.4607:                             ;   in Loop: Header=BB6_3885 Depth=4
	v_cmp_ne_u16_e32 vcc, s82, v0
	v_bfrev_b32_e32 v2, 1
	s_and_saveexec_b64 s[50:51], vcc
	s_cbranch_execz .LBB6_4611
; %bb.4608:                             ;   in Loop: Header=BB6_3885 Depth=4
	v_and_b32_e32 v1, 0x7f, v56
	v_cmp_ne_u32_e32 vcc, s83, v1
	v_mov_b32_e32 v2, 0x7f800001
	s_and_saveexec_b64 s[52:53], vcc
	s_cbranch_execz .LBB6_4610
; %bb.4609:                             ;   in Loop: Header=BB6_3885 Depth=4
	v_and_b32_e32 v16, 7, v0
	v_lshrrev_b32_e32 v17, 3, v1
	v_cmp_gt_u32_e32 vcc, 8, v1
	v_ffbh_u32_e32 v1, v16
	v_min_u32_e32 v18, 32, v1
	v_subrev_u32_e32 v1, 28, v18
	v_lshlrev_b64 v[1:2], v1, v[0:1]
	v_sub_u32_e32 v2, 29, v18
	v_and_b32_e32 v1, 7, v1
	v_cndmask_b32_e32 v2, v17, v2, vcc
	v_cndmask_b32_e32 v1, v16, v1, vcc
	v_lshlrev_b32_e32 v16, 24, v56
	v_bfrev_b32_e32 v17, 60
	v_lshlrev_b32_e32 v1, 20, v1
	v_and_b32_e32 v16, 0x80000000, v16
	v_lshl_add_u32 v2, v2, 23, v17
	v_or3_b32 v2, v16, v2, v1
.LBB6_4610:                             ;   in Loop: Header=BB6_3885 Depth=4
	s_or_b64 exec, exec, s[52:53]
.LBB6_4611:                             ;   in Loop: Header=BB6_3885 Depth=4
	s_or_b64 exec, exec, s[50:51]
.LBB6_4612:                             ;   in Loop: Header=BB6_3885 Depth=4
	s_or_b64 exec, exec, s[48:49]
	v_and_b32_e32 v1, 0xff, v60
	v_cmp_ne_u16_e32 vcc, 0, v1
	s_and_saveexec_b64 s[48:49], vcc
	s_cbranch_execz .LBB6_4618
; %bb.4613:                             ;   in Loop: Header=BB6_3885 Depth=4
	v_cmp_ne_u16_e32 vcc, s82, v1
	v_bfrev_b32_e32 v15, 1
	s_and_saveexec_b64 s[50:51], vcc
	s_cbranch_execz .LBB6_4617
; %bb.4614:                             ;   in Loop: Header=BB6_3885 Depth=4
	v_and_b32_e32 v16, 0x7f, v60
	v_cmp_ne_u32_e32 vcc, s83, v16
	v_mov_b32_e32 v15, 0x7f800001
	s_and_saveexec_b64 s[52:53], vcc
	s_cbranch_execz .LBB6_4616
; %bb.4615:                             ;   in Loop: Header=BB6_3885 Depth=4
	v_and_b32_e32 v17, 7, v1
	v_ffbh_u32_e32 v15, v17
	v_min_u32_e32 v19, 32, v15
	v_subrev_u32_e32 v15, 28, v19
	v_lshrrev_b32_e32 v18, 3, v16
	v_cmp_gt_u32_e32 vcc, 8, v16
	v_lshlrev_b64 v[15:16], v15, v[1:2]
	v_sub_u32_e32 v1, 29, v19
	v_and_b32_e32 v15, 7, v15
	v_cndmask_b32_e32 v1, v18, v1, vcc
	v_cndmask_b32_e32 v15, v17, v15, vcc
	v_lshlrev_b32_e32 v16, 24, v60
	v_bfrev_b32_e32 v17, 60
	v_lshlrev_b32_e32 v15, 20, v15
	v_and_b32_e32 v16, 0x80000000, v16
	v_lshl_add_u32 v1, v1, 23, v17
	v_or3_b32 v15, v16, v1, v15
.LBB6_4616:                             ;   in Loop: Header=BB6_3885 Depth=4
	s_or_b64 exec, exec, s[52:53]
.LBB6_4617:                             ;   in Loop: Header=BB6_3885 Depth=4
	s_or_b64 exec, exec, s[50:51]
.LBB6_4618:                             ;   in Loop: Header=BB6_3885 Depth=4
	s_or_b64 exec, exec, s[48:49]
	v_max_f32_e32 v1, v15, v15
	v_max_f32_e32 v2, v2, v2
	;; [unrolled: 1-line block ×3, first 2 shown]
	s_mov_b64 s[48:49], 0
.LBB6_4619:                             ;   in Loop: Header=BB6_3885 Depth=4
	s_and_b64 vcc, exec, s[48:49]
	s_cbranch_vccz .LBB6_4633
; %bb.4620:                             ;   in Loop: Header=BB6_3885 Depth=4
	v_mov_b32_e32 v2, 0
	v_mov_b32_e32 v1, 0
	s_and_saveexec_b64 s[48:49], s[40:41]
	s_cbranch_execz .LBB6_4626
; %bb.4621:                             ;   in Loop: Header=BB6_3885 Depth=4
	v_cmp_ne_u16_e32 vcc, s82, v0
	v_bfrev_b32_e32 v1, 1
	s_and_saveexec_b64 s[40:41], vcc
	s_cbranch_execz .LBB6_4625
; %bb.4622:                             ;   in Loop: Header=BB6_3885 Depth=4
	v_and_b32_e32 v15, 0x7f, v56
	v_cmp_ne_u32_e32 vcc, s83, v15
	v_mov_b32_e32 v1, 0x7f800001
	s_and_saveexec_b64 s[50:51], vcc
	s_cbranch_execz .LBB6_4624
; %bb.4623:                             ;   in Loop: Header=BB6_3885 Depth=4
	v_and_b32_e32 v16, 7, v0
	v_ffbh_u32_e32 v1, v16
	v_lshrrev_b32_e32 v17, 3, v15
	v_cmp_gt_u32_e32 vcc, 8, v15
	v_min_u32_e32 v15, 32, v1
	v_subrev_u32_e32 v1, 28, v15
	v_lshlrev_b64 v[0:1], v1, v[0:1]
	v_sub_u32_e32 v1, 29, v15
	v_and_b32_e32 v0, 7, v0
	v_cndmask_b32_e32 v1, v17, v1, vcc
	v_cndmask_b32_e32 v0, v16, v0, vcc
	v_lshlrev_b32_e32 v15, 24, v56
	v_bfrev_b32_e32 v16, 60
	v_lshlrev_b32_e32 v0, 20, v0
	v_and_b32_e32 v15, 0x80000000, v15
	v_lshl_add_u32 v1, v1, 23, v16
	v_or3_b32 v1, v15, v1, v0
.LBB6_4624:                             ;   in Loop: Header=BB6_3885 Depth=4
	s_or_b64 exec, exec, s[50:51]
.LBB6_4625:                             ;   in Loop: Header=BB6_3885 Depth=4
	s_or_b64 exec, exec, s[40:41]
.LBB6_4626:                             ;   in Loop: Header=BB6_3885 Depth=4
	s_or_b64 exec, exec, s[48:49]
	v_and_b32_e32 v0, 0xff, v60
	v_cmp_ne_u16_e32 vcc, 0, v0
	s_and_saveexec_b64 s[40:41], vcc
	s_cbranch_execz .LBB6_4632
; %bb.4627:                             ;   in Loop: Header=BB6_3885 Depth=4
	v_cmp_ne_u16_e32 vcc, s82, v0
	v_bfrev_b32_e32 v2, 1
	s_and_saveexec_b64 s[48:49], vcc
	s_cbranch_execz .LBB6_4631
; %bb.4628:                             ;   in Loop: Header=BB6_3885 Depth=4
	v_and_b32_e32 v15, 0x7f, v60
	v_cmp_ne_u32_e32 vcc, s83, v15
	v_mov_b32_e32 v2, 0x7f800001
	s_and_saveexec_b64 s[50:51], vcc
	s_cbranch_execz .LBB6_4630
; %bb.4629:                             ;   in Loop: Header=BB6_3885 Depth=4
	v_and_b32_e32 v2, 7, v0
	v_lshrrev_b32_e32 v17, 3, v15
	v_cmp_gt_u32_e32 vcc, 8, v15
	v_ffbh_u32_e32 v15, v2
	v_min_u32_e32 v18, 32, v15
	v_subrev_u32_e32 v15, 28, v18
	v_lshlrev_b64 v[15:16], v15, v[0:1]
	v_sub_u32_e32 v0, 29, v18
	v_and_b32_e32 v15, 7, v15
	v_cndmask_b32_e32 v0, v17, v0, vcc
	v_cndmask_b32_e32 v2, v2, v15, vcc
	v_lshlrev_b32_e32 v15, 24, v60
	v_bfrev_b32_e32 v16, 60
	v_lshlrev_b32_e32 v2, 20, v2
	v_and_b32_e32 v15, 0x80000000, v15
	v_lshl_add_u32 v0, v0, 23, v16
	v_or3_b32 v2, v15, v0, v2
.LBB6_4630:                             ;   in Loop: Header=BB6_3885 Depth=4
	s_or_b64 exec, exec, s[50:51]
.LBB6_4631:                             ;   in Loop: Header=BB6_3885 Depth=4
	s_or_b64 exec, exec, s[48:49]
.LBB6_4632:                             ;   in Loop: Header=BB6_3885 Depth=4
	s_or_b64 exec, exec, s[40:41]
	v_max_f32_e32 v0, v2, v2
	v_max_f32_e32 v1, v1, v1
	v_min_f32_e32 v1, v1, v0
.LBB6_4633:                             ;   in Loop: Header=BB6_3885 Depth=4
	v_and_b32_e32 v52, 0x7f800000, v1
	v_cmp_ne_u64_e32 vcc, s[76:77], v[52:53]
                                        ; implicit-def: $vgpr60
	s_mov_b64 s[40:41], exec
	buffer_load_dword v56, off, s[0:3], s33 offset:148 ; 4-byte Folded Reload
	s_and_b64 vcc, s[40:41], vcc
	s_xor_b64 s[48:49], vcc, s[40:41]
	s_mov_b64 exec, vcc
	s_cbranch_execz .LBB6_4651
; %bb.4634:                             ;   in Loop: Header=BB6_3885 Depth=4
	v_and_b32_e32 v52, 0x7fffffff, v1
	v_cmp_gt_u64_e32 vcc, s[78:79], v[52:53]
	v_and_b32_sdwa v15, v1, s82 dst_sel:DWORD dst_unused:UNUSED_PAD src0_sel:BYTE_3 src1_sel:DWORD
                                        ; implicit-def: $vgpr60
	s_and_saveexec_b64 s[40:41], vcc
	s_xor_b64 s[50:51], exec, s[40:41]
	s_cbranch_execz .LBB6_4648
; %bb.4635:                             ;   in Loop: Header=BB6_3885 Depth=4
	v_cmp_ne_u32_e32 vcc, 0, v1
	v_mov_b32_e32 v60, 0
	s_and_saveexec_b64 s[52:53], vcc
	s_cbranch_execz .LBB6_4647
; %bb.4636:                             ;   in Loop: Header=BB6_3885 Depth=4
	v_bfe_u32 v16, v1, 23, 8
	v_and_b32_e32 v0, 0x7fffff, v1
	v_cmp_gt_u32_e64 s[40:41], s85, v16
	v_sub_u32_e32 v1, 0x79, v16
	v_cmp_eq_u32_e32 vcc, 0, v16
	v_cndmask_b32_e64 v1, 0, v1, s[40:41]
	v_mov_b32_e32 v17, 0x78
	v_or_b32_e32 v2, 0x800000, v0
	v_cndmask_b32_e32 v17, v1, v17, vcc
	v_cndmask_b32_e32 v52, v2, v0, vcc
	v_add_u32_e32 v0, 20, v17
	v_lshlrev_b64 v[0:1], v0, -1
	v_add_u32_e32 v2, 19, v17
	v_lshlrev_b64 v[18:19], v2, 1
	v_bfi_b32 v1, v1, 0, 0
	v_bfi_b32 v0, v0, 0, v52
	v_cmp_eq_u64_e64 s[40:41], v[0:1], v[18:19]
	v_lshrrev_b64 v[0:1], v17, v[52:53]
	v_mov_b32_e32 v2, v1
	v_mov_b32_e32 v1, v0
	s_and_saveexec_b64 s[54:55], s[40:41]
; %bb.4637:                             ;   in Loop: Header=BB6_3885 Depth=4
	v_bfe_u32 v1, v0, 20, 1
	v_add_co_u32_e64 v1, s[40:41], v0, v1
	v_add_co_u32_e64 v1, s[40:41], -1, v1
; %bb.4638:                             ;   in Loop: Header=BB6_3885 Depth=4
	s_or_b64 exec, exec, s[54:55]
	v_add_u32_e32 v2, 0xffffff81, v16
	v_mov_b32_e32 v16, 0xffffff82
	v_cndmask_b32_e32 v2, v2, v16, vcc
	v_lshrrev_b32_e32 v16, 23, v0
	v_add3_u32 v17, v17, v2, v16
	v_add_u32_e32 v16, 6, v17
	v_and_b32_e32 v1, 0xfffff, v1
	v_add_u32_e32 v52, v1, v0
	v_cmp_ne_u32_e32 vcc, 0, v16
                                        ; implicit-def: $vgpr0_vgpr1
                                        ; implicit-def: $vgpr2
	s_and_saveexec_b64 s[40:41], vcc
	s_xor_b64 s[40:41], exec, s[40:41]
; %bb.4639:                             ;   in Loop: Header=BB6_3885 Depth=4
	v_cmp_lt_u64_e32 vcc, s[88:89], v[52:53]
	v_add_u32_e32 v0, 7, v17
	v_cndmask_b32_e32 v2, v16, v0, vcc
	v_cndmask_b32_e64 v0, 0, 1, vcc
	v_lshrrev_b64 v[0:1], v0, v[52:53]
; %bb.4640:                             ;   in Loop: Header=BB6_3885 Depth=4
	s_andn2_saveexec_b64 s[40:41], s[40:41]
; %bb.4641:                             ;   in Loop: Header=BB6_3885 Depth=4
	v_mov_b32_e32 v0, v52
	v_bfe_u32 v2, v52, 23, 1
	v_mov_b32_e32 v1, v53
; %bb.4642:                             ;   in Loop: Header=BB6_3885 Depth=4
	s_or_b64 exec, exec, s[40:41]
	v_lshrrev_b64 v[0:1], 20, v[0:1]
	v_cmp_gt_i32_e32 vcc, 16, v2
	v_cndmask_b32_e32 v1, 0, v1, vcc
	v_cndmask_b32_e32 v0, 7, v0, vcc
	v_cmp_ne_u64_e32 vcc, 0, v[0:1]
	v_cmp_ne_u32_e64 s[40:41], 0, v2
	s_or_b64 s[40:41], s[40:41], vcc
                                        ; implicit-def: $vgpr60
	s_and_saveexec_b64 vcc, s[40:41]
	s_xor_b64 s[40:41], exec, vcc
; %bb.4643:                             ;   in Loop: Header=BB6_3885 Depth=4
	v_min_i32_e32 v1, 15, v2
	v_lshl_or_b32 v1, v1, 3, v15
	v_and_or_b32 v60, v0, 7, v1
                                        ; implicit-def: $vgpr15
; %bb.4644:                             ;   in Loop: Header=BB6_3885 Depth=4
	s_andn2_saveexec_b64 s[40:41], s[40:41]
; %bb.4645:                             ;   in Loop: Header=BB6_3885 Depth=4
	v_mov_b32_e32 v60, v15
; %bb.4646:                             ;   in Loop: Header=BB6_3885 Depth=4
	s_or_b64 exec, exec, s[40:41]
.LBB6_4647:                             ;   in Loop: Header=BB6_3885 Depth=4
	s_or_b64 exec, exec, s[52:53]
                                        ; implicit-def: $vgpr15
.LBB6_4648:                             ;   in Loop: Header=BB6_3885 Depth=4
	s_andn2_saveexec_b64 s[40:41], s[50:51]
; %bb.4649:                             ;   in Loop: Header=BB6_3885 Depth=4
	v_or_b32_e32 v60, 0x7e, v15
; %bb.4650:                             ;   in Loop: Header=BB6_3885 Depth=4
	s_or_b64 exec, exec, s[40:41]
                                        ; implicit-def: $vgpr1
.LBB6_4651:                             ;   in Loop: Header=BB6_3885 Depth=4
	s_andn2_saveexec_b64 s[40:41], s[48:49]
; %bb.4652:                             ;   in Loop: Header=BB6_3885 Depth=4
	v_or_b32_sdwa v60, v1, s83 dst_sel:DWORD dst_unused:UNUSED_PAD src0_sel:BYTE_3 src1_sel:DWORD
; %bb.4653:                             ;   in Loop: Header=BB6_3885 Depth=4
	s_or_b64 exec, exec, s[40:41]
	v_and_b32_e32 v0, 0xff, v58
	v_cmp_ne_u16_e64 s[40:41], 0, v0
	s_and_b64 vcc, exec, s[28:29]
	s_mov_b64 s[48:49], -1
                                        ; implicit-def: $vgpr1
	s_cbranch_vccnz .LBB6_4667
; %bb.4654:                             ;   in Loop: Header=BB6_3885 Depth=4
	v_mov_b32_e32 v15, 0
	v_mov_b32_e32 v2, 0
	s_and_saveexec_b64 s[48:49], s[40:41]
	s_cbranch_execz .LBB6_4660
; %bb.4655:                             ;   in Loop: Header=BB6_3885 Depth=4
	v_cmp_ne_u16_e32 vcc, s82, v0
	v_bfrev_b32_e32 v2, 1
	s_and_saveexec_b64 s[50:51], vcc
	s_cbranch_execz .LBB6_4659
; %bb.4656:                             ;   in Loop: Header=BB6_3885 Depth=4
	v_and_b32_e32 v1, 0x7f, v58
	v_cmp_ne_u32_e32 vcc, s83, v1
	v_mov_b32_e32 v2, 0x7f800001
	s_and_saveexec_b64 s[52:53], vcc
	s_cbranch_execz .LBB6_4658
; %bb.4657:                             ;   in Loop: Header=BB6_3885 Depth=4
	v_and_b32_e32 v16, 7, v0
	v_lshrrev_b32_e32 v17, 3, v1
	v_cmp_gt_u32_e32 vcc, 8, v1
	v_ffbh_u32_e32 v1, v16
	v_min_u32_e32 v18, 32, v1
	v_subrev_u32_e32 v1, 28, v18
	v_lshlrev_b64 v[1:2], v1, v[0:1]
	v_sub_u32_e32 v2, 29, v18
	v_and_b32_e32 v1, 7, v1
	v_cndmask_b32_e32 v2, v17, v2, vcc
	v_cndmask_b32_e32 v1, v16, v1, vcc
	v_lshlrev_b32_e32 v16, 24, v58
	v_bfrev_b32_e32 v17, 60
	v_lshlrev_b32_e32 v1, 20, v1
	v_and_b32_e32 v16, 0x80000000, v16
	v_lshl_add_u32 v2, v2, 23, v17
	v_or3_b32 v2, v16, v2, v1
.LBB6_4658:                             ;   in Loop: Header=BB6_3885 Depth=4
	s_or_b64 exec, exec, s[52:53]
.LBB6_4659:                             ;   in Loop: Header=BB6_3885 Depth=4
	s_or_b64 exec, exec, s[50:51]
.LBB6_4660:                             ;   in Loop: Header=BB6_3885 Depth=4
	s_or_b64 exec, exec, s[48:49]
	v_and_b32_e32 v1, 0xff, v4
	v_cmp_ne_u16_e32 vcc, 0, v1
	s_and_saveexec_b64 s[48:49], vcc
	s_cbranch_execz .LBB6_4666
; %bb.4661:                             ;   in Loop: Header=BB6_3885 Depth=4
	v_cmp_ne_u16_e32 vcc, s82, v1
	v_bfrev_b32_e32 v15, 1
	s_and_saveexec_b64 s[50:51], vcc
	s_cbranch_execz .LBB6_4665
; %bb.4662:                             ;   in Loop: Header=BB6_3885 Depth=4
	v_and_b32_e32 v16, 0x7f, v4
	v_cmp_ne_u32_e32 vcc, s83, v16
	v_mov_b32_e32 v15, 0x7f800001
	s_and_saveexec_b64 s[52:53], vcc
	s_cbranch_execz .LBB6_4664
; %bb.4663:                             ;   in Loop: Header=BB6_3885 Depth=4
	v_and_b32_e32 v17, 7, v1
	v_ffbh_u32_e32 v15, v17
	v_min_u32_e32 v19, 32, v15
	v_subrev_u32_e32 v15, 28, v19
	v_lshrrev_b32_e32 v18, 3, v16
	v_cmp_gt_u32_e32 vcc, 8, v16
	v_lshlrev_b64 v[15:16], v15, v[1:2]
	v_sub_u32_e32 v1, 29, v19
	v_and_b32_e32 v15, 7, v15
	v_cndmask_b32_e32 v1, v18, v1, vcc
	v_cndmask_b32_e32 v15, v17, v15, vcc
	v_lshlrev_b32_e32 v16, 24, v4
	v_bfrev_b32_e32 v17, 60
	v_lshlrev_b32_e32 v15, 20, v15
	v_and_b32_e32 v16, 0x80000000, v16
	v_lshl_add_u32 v1, v1, 23, v17
	v_or3_b32 v15, v16, v1, v15
.LBB6_4664:                             ;   in Loop: Header=BB6_3885 Depth=4
	s_or_b64 exec, exec, s[52:53]
.LBB6_4665:                             ;   in Loop: Header=BB6_3885 Depth=4
	s_or_b64 exec, exec, s[50:51]
.LBB6_4666:                             ;   in Loop: Header=BB6_3885 Depth=4
	s_or_b64 exec, exec, s[48:49]
	v_max_f32_e32 v1, v15, v15
	v_max_f32_e32 v2, v2, v2
	;; [unrolled: 1-line block ×3, first 2 shown]
	s_mov_b64 s[48:49], 0
.LBB6_4667:                             ;   in Loop: Header=BB6_3885 Depth=4
	s_and_b64 vcc, exec, s[48:49]
	s_cbranch_vccz .LBB6_4681
; %bb.4668:                             ;   in Loop: Header=BB6_3885 Depth=4
	v_mov_b32_e32 v2, 0
	v_mov_b32_e32 v1, 0
	s_and_saveexec_b64 s[48:49], s[40:41]
	s_cbranch_execz .LBB6_4674
; %bb.4669:                             ;   in Loop: Header=BB6_3885 Depth=4
	v_cmp_ne_u16_e32 vcc, s82, v0
	v_bfrev_b32_e32 v1, 1
	s_and_saveexec_b64 s[40:41], vcc
	s_cbranch_execz .LBB6_4673
; %bb.4670:                             ;   in Loop: Header=BB6_3885 Depth=4
	v_and_b32_e32 v15, 0x7f, v58
	v_cmp_ne_u32_e32 vcc, s83, v15
	v_mov_b32_e32 v1, 0x7f800001
	s_and_saveexec_b64 s[50:51], vcc
	s_cbranch_execz .LBB6_4672
; %bb.4671:                             ;   in Loop: Header=BB6_3885 Depth=4
	v_and_b32_e32 v16, 7, v0
	v_ffbh_u32_e32 v1, v16
	v_lshrrev_b32_e32 v17, 3, v15
	v_cmp_gt_u32_e32 vcc, 8, v15
	v_min_u32_e32 v15, 32, v1
	v_subrev_u32_e32 v1, 28, v15
	v_lshlrev_b64 v[0:1], v1, v[0:1]
	v_sub_u32_e32 v1, 29, v15
	v_and_b32_e32 v0, 7, v0
	v_cndmask_b32_e32 v1, v17, v1, vcc
	v_cndmask_b32_e32 v0, v16, v0, vcc
	v_lshlrev_b32_e32 v15, 24, v58
	v_bfrev_b32_e32 v16, 60
	v_lshlrev_b32_e32 v0, 20, v0
	v_and_b32_e32 v15, 0x80000000, v15
	v_lshl_add_u32 v1, v1, 23, v16
	v_or3_b32 v1, v15, v1, v0
.LBB6_4672:                             ;   in Loop: Header=BB6_3885 Depth=4
	s_or_b64 exec, exec, s[50:51]
.LBB6_4673:                             ;   in Loop: Header=BB6_3885 Depth=4
	s_or_b64 exec, exec, s[40:41]
.LBB6_4674:                             ;   in Loop: Header=BB6_3885 Depth=4
	s_or_b64 exec, exec, s[48:49]
	v_and_b32_e32 v0, 0xff, v4
	v_cmp_ne_u16_e32 vcc, 0, v0
	s_and_saveexec_b64 s[40:41], vcc
	s_cbranch_execz .LBB6_4680
; %bb.4675:                             ;   in Loop: Header=BB6_3885 Depth=4
	v_cmp_ne_u16_e32 vcc, s82, v0
	v_bfrev_b32_e32 v2, 1
	s_and_saveexec_b64 s[48:49], vcc
	s_cbranch_execz .LBB6_4679
; %bb.4676:                             ;   in Loop: Header=BB6_3885 Depth=4
	v_and_b32_e32 v15, 0x7f, v4
	v_cmp_ne_u32_e32 vcc, s83, v15
	v_mov_b32_e32 v2, 0x7f800001
	s_and_saveexec_b64 s[50:51], vcc
	s_cbranch_execz .LBB6_4678
; %bb.4677:                             ;   in Loop: Header=BB6_3885 Depth=4
	v_and_b32_e32 v2, 7, v0
	v_lshrrev_b32_e32 v17, 3, v15
	v_cmp_gt_u32_e32 vcc, 8, v15
	v_ffbh_u32_e32 v15, v2
	v_min_u32_e32 v18, 32, v15
	v_subrev_u32_e32 v15, 28, v18
	v_lshlrev_b64 v[15:16], v15, v[0:1]
	v_sub_u32_e32 v0, 29, v18
	v_and_b32_e32 v15, 7, v15
	v_cndmask_b32_e32 v0, v17, v0, vcc
	v_cndmask_b32_e32 v2, v2, v15, vcc
	v_lshlrev_b32_e32 v4, 24, v4
	v_bfrev_b32_e32 v15, 60
	v_lshlrev_b32_e32 v2, 20, v2
	v_and_b32_e32 v4, 0x80000000, v4
	v_lshl_add_u32 v0, v0, 23, v15
	v_or3_b32 v2, v4, v0, v2
.LBB6_4678:                             ;   in Loop: Header=BB6_3885 Depth=4
	s_or_b64 exec, exec, s[50:51]
.LBB6_4679:                             ;   in Loop: Header=BB6_3885 Depth=4
	s_or_b64 exec, exec, s[48:49]
.LBB6_4680:                             ;   in Loop: Header=BB6_3885 Depth=4
	s_or_b64 exec, exec, s[40:41]
	v_max_f32_e32 v0, v2, v2
	v_max_f32_e32 v1, v1, v1
	v_min_f32_e32 v1, v1, v0
.LBB6_4681:                             ;   in Loop: Header=BB6_3885 Depth=4
	v_and_b32_e32 v52, 0x7f800000, v1
	v_cmp_ne_u64_e32 vcc, s[76:77], v[52:53]
                                        ; implicit-def: $vgpr4
	s_mov_b64 s[40:41], exec
	buffer_load_dword v58, off, s[0:3], s33 offset:144 ; 4-byte Folded Reload
	s_and_b64 vcc, s[40:41], vcc
	s_xor_b64 s[48:49], vcc, s[40:41]
	s_mov_b64 exec, vcc
	s_cbranch_execz .LBB6_4699
; %bb.4682:                             ;   in Loop: Header=BB6_3885 Depth=4
	v_and_b32_e32 v52, 0x7fffffff, v1
	v_cmp_gt_u64_e32 vcc, s[78:79], v[52:53]
	v_and_b32_sdwa v15, v1, s82 dst_sel:DWORD dst_unused:UNUSED_PAD src0_sel:BYTE_3 src1_sel:DWORD
                                        ; implicit-def: $vgpr4
	s_and_saveexec_b64 s[40:41], vcc
	s_xor_b64 s[50:51], exec, s[40:41]
	s_cbranch_execz .LBB6_4696
; %bb.4683:                             ;   in Loop: Header=BB6_3885 Depth=4
	v_cmp_ne_u32_e32 vcc, 0, v1
	v_mov_b32_e32 v4, 0
	s_and_saveexec_b64 s[52:53], vcc
	s_cbranch_execz .LBB6_4695
; %bb.4684:                             ;   in Loop: Header=BB6_3885 Depth=4
	v_bfe_u32 v4, v1, 23, 8
	v_and_b32_e32 v0, 0x7fffff, v1
	v_cmp_gt_u32_e64 s[40:41], s85, v4
	v_sub_u32_e32 v1, 0x79, v4
	v_cmp_eq_u32_e32 vcc, 0, v4
	v_cndmask_b32_e64 v1, 0, v1, s[40:41]
	v_mov_b32_e32 v16, 0x78
	v_or_b32_e32 v2, 0x800000, v0
	v_cndmask_b32_e32 v16, v1, v16, vcc
	v_cndmask_b32_e32 v52, v2, v0, vcc
	v_add_u32_e32 v0, 20, v16
	v_lshlrev_b64 v[0:1], v0, -1
	v_add_u32_e32 v2, 19, v16
	v_lshlrev_b64 v[17:18], v2, 1
	v_bfi_b32 v1, v1, 0, 0
	v_bfi_b32 v0, v0, 0, v52
	v_cmp_eq_u64_e64 s[40:41], v[0:1], v[17:18]
	v_lshrrev_b64 v[0:1], v16, v[52:53]
	v_mov_b32_e32 v2, v1
	v_mov_b32_e32 v1, v0
	s_and_saveexec_b64 s[54:55], s[40:41]
; %bb.4685:                             ;   in Loop: Header=BB6_3885 Depth=4
	v_bfe_u32 v1, v0, 20, 1
	v_add_co_u32_e64 v1, s[40:41], v0, v1
	v_add_co_u32_e64 v1, s[40:41], -1, v1
; %bb.4686:                             ;   in Loop: Header=BB6_3885 Depth=4
	s_or_b64 exec, exec, s[54:55]
	v_add_u32_e32 v2, 0xffffff81, v4
	v_mov_b32_e32 v4, 0xffffff82
	v_cndmask_b32_e32 v2, v2, v4, vcc
	v_lshrrev_b32_e32 v4, 23, v0
	v_add3_u32 v16, v16, v2, v4
	v_add_u32_e32 v4, 6, v16
	v_and_b32_e32 v1, 0xfffff, v1
	v_add_u32_e32 v52, v1, v0
	v_cmp_ne_u32_e32 vcc, 0, v4
                                        ; implicit-def: $vgpr0_vgpr1
                                        ; implicit-def: $vgpr2
	s_and_saveexec_b64 s[40:41], vcc
	s_xor_b64 s[40:41], exec, s[40:41]
; %bb.4687:                             ;   in Loop: Header=BB6_3885 Depth=4
	v_cmp_lt_u64_e32 vcc, s[88:89], v[52:53]
	v_add_u32_e32 v0, 7, v16
	v_cndmask_b32_e32 v2, v4, v0, vcc
	v_cndmask_b32_e64 v0, 0, 1, vcc
	v_lshrrev_b64 v[0:1], v0, v[52:53]
; %bb.4688:                             ;   in Loop: Header=BB6_3885 Depth=4
	s_andn2_saveexec_b64 s[40:41], s[40:41]
; %bb.4689:                             ;   in Loop: Header=BB6_3885 Depth=4
	v_mov_b32_e32 v0, v52
	v_bfe_u32 v2, v52, 23, 1
	v_mov_b32_e32 v1, v53
; %bb.4690:                             ;   in Loop: Header=BB6_3885 Depth=4
	s_or_b64 exec, exec, s[40:41]
	v_lshrrev_b64 v[0:1], 20, v[0:1]
	v_cmp_gt_i32_e32 vcc, 16, v2
	v_cndmask_b32_e32 v1, 0, v1, vcc
	v_cndmask_b32_e32 v0, 7, v0, vcc
	v_cmp_ne_u64_e32 vcc, 0, v[0:1]
	v_cmp_ne_u32_e64 s[40:41], 0, v2
	s_or_b64 s[40:41], s[40:41], vcc
                                        ; implicit-def: $vgpr4
	s_and_saveexec_b64 vcc, s[40:41]
	s_xor_b64 s[40:41], exec, vcc
; %bb.4691:                             ;   in Loop: Header=BB6_3885 Depth=4
	v_min_i32_e32 v1, 15, v2
	v_lshl_or_b32 v1, v1, 3, v15
	v_and_or_b32 v4, v0, 7, v1
                                        ; implicit-def: $vgpr15
; %bb.4692:                             ;   in Loop: Header=BB6_3885 Depth=4
	s_andn2_saveexec_b64 s[40:41], s[40:41]
; %bb.4693:                             ;   in Loop: Header=BB6_3885 Depth=4
	v_mov_b32_e32 v4, v15
; %bb.4694:                             ;   in Loop: Header=BB6_3885 Depth=4
	s_or_b64 exec, exec, s[40:41]
.LBB6_4695:                             ;   in Loop: Header=BB6_3885 Depth=4
	s_or_b64 exec, exec, s[52:53]
                                        ; implicit-def: $vgpr15
.LBB6_4696:                             ;   in Loop: Header=BB6_3885 Depth=4
	s_andn2_saveexec_b64 s[40:41], s[50:51]
; %bb.4697:                             ;   in Loop: Header=BB6_3885 Depth=4
	v_or_b32_e32 v4, 0x7e, v15
; %bb.4698:                             ;   in Loop: Header=BB6_3885 Depth=4
	s_or_b64 exec, exec, s[40:41]
                                        ; implicit-def: $vgpr1
.LBB6_4699:                             ;   in Loop: Header=BB6_3885 Depth=4
	s_andn2_saveexec_b64 s[40:41], s[48:49]
; %bb.4700:                             ;   in Loop: Header=BB6_3885 Depth=4
	v_or_b32_sdwa v4, v1, s83 dst_sel:DWORD dst_unused:UNUSED_PAD src0_sel:BYTE_3 src1_sel:DWORD
; %bb.4701:                             ;   in Loop: Header=BB6_3885 Depth=4
	s_or_b64 exec, exec, s[40:41]
	s_waitcnt vmcnt(2)
	v_and_b32_e32 v0, 0xff, v3
	v_cmp_ne_u16_e64 s[40:41], 0, v0
	s_and_b64 vcc, exec, s[28:29]
	s_mov_b64 s[48:49], -1
                                        ; implicit-def: $vgpr1
	s_cbranch_vccnz .LBB6_4715
; %bb.4702:                             ;   in Loop: Header=BB6_3885 Depth=4
	v_mov_b32_e32 v15, 0
	v_mov_b32_e32 v2, 0
	s_and_saveexec_b64 s[48:49], s[40:41]
	s_cbranch_execz .LBB6_4708
; %bb.4703:                             ;   in Loop: Header=BB6_3885 Depth=4
	v_cmp_ne_u16_e32 vcc, s82, v0
	v_bfrev_b32_e32 v2, 1
	s_and_saveexec_b64 s[50:51], vcc
	s_cbranch_execz .LBB6_4707
; %bb.4704:                             ;   in Loop: Header=BB6_3885 Depth=4
	v_and_b32_e32 v1, 0x7f, v3
	v_cmp_ne_u32_e32 vcc, s83, v1
	v_mov_b32_e32 v2, 0x7f800001
	s_and_saveexec_b64 s[52:53], vcc
	s_cbranch_execz .LBB6_4706
; %bb.4705:                             ;   in Loop: Header=BB6_3885 Depth=4
	v_and_b32_e32 v16, 7, v0
	v_lshrrev_b32_e32 v17, 3, v1
	v_cmp_gt_u32_e32 vcc, 8, v1
	v_ffbh_u32_e32 v1, v16
	v_min_u32_e32 v18, 32, v1
	v_subrev_u32_e32 v1, 28, v18
	v_lshlrev_b64 v[1:2], v1, v[0:1]
	v_sub_u32_e32 v2, 29, v18
	v_and_b32_e32 v1, 7, v1
	v_cndmask_b32_e32 v2, v17, v2, vcc
	v_cndmask_b32_e32 v1, v16, v1, vcc
	v_lshlrev_b32_e32 v16, 24, v3
	v_bfrev_b32_e32 v17, 60
	v_lshlrev_b32_e32 v1, 20, v1
	v_and_b32_e32 v16, 0x80000000, v16
	v_lshl_add_u32 v2, v2, 23, v17
	v_or3_b32 v2, v16, v2, v1
.LBB6_4706:                             ;   in Loop: Header=BB6_3885 Depth=4
	s_or_b64 exec, exec, s[52:53]
.LBB6_4707:                             ;   in Loop: Header=BB6_3885 Depth=4
	s_or_b64 exec, exec, s[50:51]
.LBB6_4708:                             ;   in Loop: Header=BB6_3885 Depth=4
	s_or_b64 exec, exec, s[48:49]
	v_and_b32_e32 v1, 0xff, v45
	v_cmp_ne_u16_e32 vcc, 0, v1
	s_and_saveexec_b64 s[48:49], vcc
	s_cbranch_execz .LBB6_4714
; %bb.4709:                             ;   in Loop: Header=BB6_3885 Depth=4
	v_cmp_ne_u16_e32 vcc, s82, v1
	v_bfrev_b32_e32 v15, 1
	s_and_saveexec_b64 s[50:51], vcc
	s_cbranch_execz .LBB6_4713
; %bb.4710:                             ;   in Loop: Header=BB6_3885 Depth=4
	v_and_b32_e32 v16, 0x7f, v45
	v_cmp_ne_u32_e32 vcc, s83, v16
	v_mov_b32_e32 v15, 0x7f800001
	s_and_saveexec_b64 s[52:53], vcc
	s_cbranch_execz .LBB6_4712
; %bb.4711:                             ;   in Loop: Header=BB6_3885 Depth=4
	v_and_b32_e32 v17, 7, v1
	v_ffbh_u32_e32 v15, v17
	v_min_u32_e32 v19, 32, v15
	v_subrev_u32_e32 v15, 28, v19
	v_lshrrev_b32_e32 v18, 3, v16
	v_cmp_gt_u32_e32 vcc, 8, v16
	v_lshlrev_b64 v[15:16], v15, v[1:2]
	v_sub_u32_e32 v1, 29, v19
	v_and_b32_e32 v15, 7, v15
	v_cndmask_b32_e32 v1, v18, v1, vcc
	v_cndmask_b32_e32 v15, v17, v15, vcc
	v_lshlrev_b32_e32 v16, 24, v45
	v_bfrev_b32_e32 v17, 60
	v_lshlrev_b32_e32 v15, 20, v15
	v_and_b32_e32 v16, 0x80000000, v16
	v_lshl_add_u32 v1, v1, 23, v17
	v_or3_b32 v15, v16, v1, v15
.LBB6_4712:                             ;   in Loop: Header=BB6_3885 Depth=4
	s_or_b64 exec, exec, s[52:53]
.LBB6_4713:                             ;   in Loop: Header=BB6_3885 Depth=4
	s_or_b64 exec, exec, s[50:51]
.LBB6_4714:                             ;   in Loop: Header=BB6_3885 Depth=4
	s_or_b64 exec, exec, s[48:49]
	v_max_f32_e32 v1, v15, v15
	v_max_f32_e32 v2, v2, v2
	;; [unrolled: 1-line block ×3, first 2 shown]
	s_mov_b64 s[48:49], 0
.LBB6_4715:                             ;   in Loop: Header=BB6_3885 Depth=4
	s_and_b64 vcc, exec, s[48:49]
	s_cbranch_vccz .LBB6_4729
; %bb.4716:                             ;   in Loop: Header=BB6_3885 Depth=4
	v_mov_b32_e32 v2, 0
	v_mov_b32_e32 v1, 0
	s_and_saveexec_b64 s[48:49], s[40:41]
	s_cbranch_execz .LBB6_4722
; %bb.4717:                             ;   in Loop: Header=BB6_3885 Depth=4
	v_cmp_ne_u16_e32 vcc, s82, v0
	v_bfrev_b32_e32 v1, 1
	s_and_saveexec_b64 s[40:41], vcc
	s_cbranch_execz .LBB6_4721
; %bb.4718:                             ;   in Loop: Header=BB6_3885 Depth=4
	v_and_b32_e32 v15, 0x7f, v3
	v_cmp_ne_u32_e32 vcc, s83, v15
	v_mov_b32_e32 v1, 0x7f800001
	s_and_saveexec_b64 s[50:51], vcc
	s_cbranch_execz .LBB6_4720
; %bb.4719:                             ;   in Loop: Header=BB6_3885 Depth=4
	v_and_b32_e32 v16, 7, v0
	v_ffbh_u32_e32 v1, v16
	v_lshrrev_b32_e32 v17, 3, v15
	v_cmp_gt_u32_e32 vcc, 8, v15
	v_min_u32_e32 v15, 32, v1
	v_subrev_u32_e32 v1, 28, v15
	v_lshlrev_b64 v[0:1], v1, v[0:1]
	v_sub_u32_e32 v1, 29, v15
	v_and_b32_e32 v0, 7, v0
	v_cndmask_b32_e32 v1, v17, v1, vcc
	v_cndmask_b32_e32 v0, v16, v0, vcc
	v_lshlrev_b32_e32 v3, 24, v3
	v_bfrev_b32_e32 v15, 60
	v_lshlrev_b32_e32 v0, 20, v0
	v_and_b32_e32 v3, 0x80000000, v3
	v_lshl_add_u32 v1, v1, 23, v15
	v_or3_b32 v1, v3, v1, v0
.LBB6_4720:                             ;   in Loop: Header=BB6_3885 Depth=4
	s_or_b64 exec, exec, s[50:51]
.LBB6_4721:                             ;   in Loop: Header=BB6_3885 Depth=4
	s_or_b64 exec, exec, s[40:41]
.LBB6_4722:                             ;   in Loop: Header=BB6_3885 Depth=4
	s_or_b64 exec, exec, s[48:49]
	v_and_b32_e32 v0, 0xff, v45
	v_cmp_ne_u16_e32 vcc, 0, v0
	s_and_saveexec_b64 s[40:41], vcc
	s_cbranch_execz .LBB6_4728
; %bb.4723:                             ;   in Loop: Header=BB6_3885 Depth=4
	v_cmp_ne_u16_e32 vcc, s82, v0
	v_bfrev_b32_e32 v2, 1
	s_and_saveexec_b64 s[48:49], vcc
	s_cbranch_execz .LBB6_4727
; %bb.4724:                             ;   in Loop: Header=BB6_3885 Depth=4
	v_and_b32_e32 v3, 0x7f, v45
	v_cmp_ne_u32_e32 vcc, s83, v3
	v_mov_b32_e32 v2, 0x7f800001
	s_and_saveexec_b64 s[50:51], vcc
	s_cbranch_execz .LBB6_4726
; %bb.4725:                             ;   in Loop: Header=BB6_3885 Depth=4
	v_and_b32_e32 v15, 7, v0
	v_ffbh_u32_e32 v2, v15
	v_min_u32_e32 v17, 32, v2
	v_subrev_u32_e32 v2, 28, v17
	v_lshrrev_b32_e32 v16, 3, v3
	v_cmp_gt_u32_e32 vcc, 8, v3
	v_lshlrev_b64 v[2:3], v2, v[0:1]
	v_sub_u32_e32 v0, 29, v17
	v_and_b32_e32 v2, 7, v2
	v_cndmask_b32_e32 v0, v16, v0, vcc
	v_cndmask_b32_e32 v2, v15, v2, vcc
	v_lshlrev_b32_e32 v3, 24, v45
	v_bfrev_b32_e32 v14, 60
	v_lshlrev_b32_e32 v2, 20, v2
	v_and_b32_e32 v3, 0x80000000, v3
	v_lshl_add_u32 v0, v0, 23, v14
	v_or3_b32 v2, v3, v0, v2
.LBB6_4726:                             ;   in Loop: Header=BB6_3885 Depth=4
	s_or_b64 exec, exec, s[50:51]
.LBB6_4727:                             ;   in Loop: Header=BB6_3885 Depth=4
	s_or_b64 exec, exec, s[48:49]
.LBB6_4728:                             ;   in Loop: Header=BB6_3885 Depth=4
	s_or_b64 exec, exec, s[40:41]
	v_max_f32_e32 v0, v2, v2
	v_max_f32_e32 v1, v1, v1
	v_min_f32_e32 v1, v1, v0
.LBB6_4729:                             ;   in Loop: Header=BB6_3885 Depth=4
	v_and_b32_e32 v52, 0x7f800000, v1
	v_cmp_ne_u64_e32 vcc, s[76:77], v[52:53]
                                        ; implicit-def: $vgpr3
	s_and_saveexec_b64 s[40:41], vcc
	s_xor_b64 s[48:49], exec, s[40:41]
	s_cbranch_execz .LBB6_4747
; %bb.4730:                             ;   in Loop: Header=BB6_3885 Depth=4
	v_and_b32_e32 v52, 0x7fffffff, v1
	v_cmp_gt_u64_e32 vcc, s[78:79], v[52:53]
	v_and_b32_sdwa v14, v1, s82 dst_sel:DWORD dst_unused:UNUSED_PAD src0_sel:BYTE_3 src1_sel:DWORD
                                        ; implicit-def: $vgpr3
	s_and_saveexec_b64 s[40:41], vcc
	s_xor_b64 s[50:51], exec, s[40:41]
	s_cbranch_execz .LBB6_4744
; %bb.4731:                             ;   in Loop: Header=BB6_3885 Depth=4
	v_cmp_ne_u32_e32 vcc, 0, v1
	v_mov_b32_e32 v3, 0
	s_and_saveexec_b64 s[52:53], vcc
	s_cbranch_execz .LBB6_4743
; %bb.4732:                             ;   in Loop: Header=BB6_3885 Depth=4
	v_bfe_u32 v3, v1, 23, 8
	v_and_b32_e32 v0, 0x7fffff, v1
	v_cmp_gt_u32_e64 s[40:41], s85, v3
	v_sub_u32_e32 v1, 0x79, v3
	v_cmp_eq_u32_e32 vcc, 0, v3
	v_cndmask_b32_e64 v1, 0, v1, s[40:41]
	v_mov_b32_e32 v15, 0x78
	v_or_b32_e32 v2, 0x800000, v0
	v_cndmask_b32_e32 v15, v1, v15, vcc
	v_cndmask_b32_e32 v52, v2, v0, vcc
	v_add_u32_e32 v0, 20, v15
	v_lshlrev_b64 v[0:1], v0, -1
	v_add_u32_e32 v2, 19, v15
	v_lshlrev_b64 v[16:17], v2, 1
	v_bfi_b32 v1, v1, 0, 0
	v_bfi_b32 v0, v0, 0, v52
	v_cmp_eq_u64_e64 s[40:41], v[0:1], v[16:17]
	v_lshrrev_b64 v[0:1], v15, v[52:53]
	v_mov_b32_e32 v2, v1
	v_mov_b32_e32 v1, v0
	s_and_saveexec_b64 s[54:55], s[40:41]
; %bb.4733:                             ;   in Loop: Header=BB6_3885 Depth=4
	v_bfe_u32 v1, v0, 20, 1
	v_add_co_u32_e64 v1, s[40:41], v0, v1
	v_add_co_u32_e64 v1, s[40:41], -1, v1
; %bb.4734:                             ;   in Loop: Header=BB6_3885 Depth=4
	s_or_b64 exec, exec, s[54:55]
	v_add_u32_e32 v2, 0xffffff81, v3
	v_mov_b32_e32 v3, 0xffffff82
	v_cndmask_b32_e32 v2, v2, v3, vcc
	v_lshrrev_b32_e32 v3, 23, v0
	v_add3_u32 v15, v15, v2, v3
	v_add_u32_e32 v3, 6, v15
	v_and_b32_e32 v1, 0xfffff, v1
	v_add_u32_e32 v52, v1, v0
	v_cmp_ne_u32_e32 vcc, 0, v3
                                        ; implicit-def: $vgpr0_vgpr1
                                        ; implicit-def: $vgpr2
	s_and_saveexec_b64 s[40:41], vcc
	s_xor_b64 s[40:41], exec, s[40:41]
; %bb.4735:                             ;   in Loop: Header=BB6_3885 Depth=4
	v_cmp_lt_u64_e32 vcc, s[88:89], v[52:53]
	v_add_u32_e32 v0, 7, v15
	v_cndmask_b32_e32 v2, v3, v0, vcc
	v_cndmask_b32_e64 v0, 0, 1, vcc
	v_lshrrev_b64 v[0:1], v0, v[52:53]
; %bb.4736:                             ;   in Loop: Header=BB6_3885 Depth=4
	s_andn2_saveexec_b64 s[40:41], s[40:41]
; %bb.4737:                             ;   in Loop: Header=BB6_3885 Depth=4
	v_mov_b32_e32 v0, v52
	v_bfe_u32 v2, v52, 23, 1
	v_mov_b32_e32 v1, v53
; %bb.4738:                             ;   in Loop: Header=BB6_3885 Depth=4
	s_or_b64 exec, exec, s[40:41]
	v_lshrrev_b64 v[0:1], 20, v[0:1]
	v_cmp_gt_i32_e32 vcc, 16, v2
	v_cndmask_b32_e32 v1, 0, v1, vcc
	v_cndmask_b32_e32 v0, 7, v0, vcc
	v_cmp_ne_u64_e32 vcc, 0, v[0:1]
	v_cmp_ne_u32_e64 s[40:41], 0, v2
	s_or_b64 s[40:41], s[40:41], vcc
                                        ; implicit-def: $vgpr3
	s_and_saveexec_b64 vcc, s[40:41]
	s_xor_b64 s[40:41], exec, vcc
; %bb.4739:                             ;   in Loop: Header=BB6_3885 Depth=4
	v_min_i32_e32 v1, 15, v2
	v_lshl_or_b32 v1, v1, 3, v14
	v_and_or_b32 v3, v0, 7, v1
                                        ; implicit-def: $vgpr14
; %bb.4740:                             ;   in Loop: Header=BB6_3885 Depth=4
	s_andn2_saveexec_b64 s[40:41], s[40:41]
; %bb.4741:                             ;   in Loop: Header=BB6_3885 Depth=4
	v_mov_b32_e32 v3, v14
; %bb.4742:                             ;   in Loop: Header=BB6_3885 Depth=4
	s_or_b64 exec, exec, s[40:41]
.LBB6_4743:                             ;   in Loop: Header=BB6_3885 Depth=4
	s_or_b64 exec, exec, s[52:53]
                                        ; implicit-def: $vgpr14
.LBB6_4744:                             ;   in Loop: Header=BB6_3885 Depth=4
	s_andn2_saveexec_b64 s[40:41], s[50:51]
; %bb.4745:                             ;   in Loop: Header=BB6_3885 Depth=4
	v_or_b32_e32 v3, 0x7e, v14
; %bb.4746:                             ;   in Loop: Header=BB6_3885 Depth=4
	s_or_b64 exec, exec, s[40:41]
                                        ; implicit-def: $vgpr1
.LBB6_4747:                             ;   in Loop: Header=BB6_3885 Depth=4
	s_andn2_saveexec_b64 s[40:41], s[48:49]
; %bb.4748:                             ;   in Loop: Header=BB6_3885 Depth=4
	v_or_b32_sdwa v3, v1, s83 dst_sel:DWORD dst_unused:UNUSED_PAD src0_sel:BYTE_3 src1_sel:DWORD
; %bb.4749:                             ;   in Loop: Header=BB6_3885 Depth=4
	s_or_b64 exec, exec, s[40:41]
	v_and_b32_e32 v0, 0xff, v22
	v_cmp_ne_u16_e64 s[40:41], 0, v0
	s_and_b64 vcc, exec, s[28:29]
	s_mov_b64 s[48:49], -1
                                        ; implicit-def: $vgpr1
	s_cbranch_vccnz .LBB6_4763
; %bb.4750:                             ;   in Loop: Header=BB6_3885 Depth=4
	v_mov_b32_e32 v14, 0
	v_mov_b32_e32 v2, 0
	s_and_saveexec_b64 s[48:49], s[40:41]
	s_cbranch_execz .LBB6_4756
; %bb.4751:                             ;   in Loop: Header=BB6_3885 Depth=4
	v_cmp_ne_u16_e32 vcc, s82, v0
	v_bfrev_b32_e32 v2, 1
	s_and_saveexec_b64 s[50:51], vcc
	s_cbranch_execz .LBB6_4755
; %bb.4752:                             ;   in Loop: Header=BB6_3885 Depth=4
	v_and_b32_e32 v1, 0x7f, v22
	v_cmp_ne_u32_e32 vcc, s83, v1
	v_mov_b32_e32 v2, 0x7f800001
	s_and_saveexec_b64 s[52:53], vcc
	s_cbranch_execz .LBB6_4754
; %bb.4753:                             ;   in Loop: Header=BB6_3885 Depth=4
	v_and_b32_e32 v15, 7, v0
	v_lshrrev_b32_e32 v16, 3, v1
	v_cmp_gt_u32_e32 vcc, 8, v1
	v_ffbh_u32_e32 v1, v15
	v_min_u32_e32 v17, 32, v1
	v_subrev_u32_e32 v1, 28, v17
	v_lshlrev_b64 v[1:2], v1, v[0:1]
	v_sub_u32_e32 v2, 29, v17
	v_and_b32_e32 v1, 7, v1
	v_cndmask_b32_e32 v2, v16, v2, vcc
	v_cndmask_b32_e32 v1, v15, v1, vcc
	v_lshlrev_b32_e32 v15, 24, v22
	v_bfrev_b32_e32 v16, 60
	v_lshlrev_b32_e32 v1, 20, v1
	v_and_b32_e32 v15, 0x80000000, v15
	v_lshl_add_u32 v2, v2, 23, v16
	v_or3_b32 v2, v15, v2, v1
.LBB6_4754:                             ;   in Loop: Header=BB6_3885 Depth=4
	s_or_b64 exec, exec, s[52:53]
.LBB6_4755:                             ;   in Loop: Header=BB6_3885 Depth=4
	s_or_b64 exec, exec, s[50:51]
.LBB6_4756:                             ;   in Loop: Header=BB6_3885 Depth=4
	s_or_b64 exec, exec, s[48:49]
	v_and_b32_e32 v1, 0xff, v21
	v_cmp_ne_u16_e32 vcc, 0, v1
	s_and_saveexec_b64 s[48:49], vcc
	s_cbranch_execz .LBB6_4762
; %bb.4757:                             ;   in Loop: Header=BB6_3885 Depth=4
	v_cmp_ne_u16_e32 vcc, s82, v1
	v_bfrev_b32_e32 v14, 1
	s_and_saveexec_b64 s[50:51], vcc
	s_cbranch_execz .LBB6_4761
; %bb.4758:                             ;   in Loop: Header=BB6_3885 Depth=4
	v_and_b32_e32 v15, 0x7f, v21
	v_cmp_ne_u32_e32 vcc, s83, v15
	v_mov_b32_e32 v14, 0x7f800001
	s_and_saveexec_b64 s[52:53], vcc
	s_cbranch_execz .LBB6_4760
; %bb.4759:                             ;   in Loop: Header=BB6_3885 Depth=4
	v_and_b32_e32 v16, 7, v1
	v_ffbh_u32_e32 v14, v16
	v_min_u32_e32 v18, 32, v14
	v_subrev_u32_e32 v14, 28, v18
	v_lshrrev_b32_e32 v17, 3, v15
	v_cmp_gt_u32_e32 vcc, 8, v15
	v_lshlrev_b64 v[14:15], v14, v[1:2]
	v_sub_u32_e32 v1, 29, v18
	v_and_b32_e32 v14, 7, v14
	v_cndmask_b32_e32 v1, v17, v1, vcc
	v_cndmask_b32_e32 v14, v16, v14, vcc
	v_lshlrev_b32_e32 v15, 24, v21
	v_bfrev_b32_e32 v16, 60
	v_lshlrev_b32_e32 v14, 20, v14
	v_and_b32_e32 v15, 0x80000000, v15
	v_lshl_add_u32 v1, v1, 23, v16
	v_or3_b32 v14, v15, v1, v14
.LBB6_4760:                             ;   in Loop: Header=BB6_3885 Depth=4
	s_or_b64 exec, exec, s[52:53]
.LBB6_4761:                             ;   in Loop: Header=BB6_3885 Depth=4
	s_or_b64 exec, exec, s[50:51]
.LBB6_4762:                             ;   in Loop: Header=BB6_3885 Depth=4
	s_or_b64 exec, exec, s[48:49]
	v_max_f32_e32 v1, v14, v14
	v_max_f32_e32 v2, v2, v2
	;; [unrolled: 1-line block ×3, first 2 shown]
	s_mov_b64 s[48:49], 0
.LBB6_4763:                             ;   in Loop: Header=BB6_3885 Depth=4
	s_and_b64 vcc, exec, s[48:49]
	s_cbranch_vccz .LBB6_4777
; %bb.4764:                             ;   in Loop: Header=BB6_3885 Depth=4
	v_mov_b32_e32 v2, 0
	v_mov_b32_e32 v1, 0
	s_and_saveexec_b64 s[48:49], s[40:41]
	s_cbranch_execz .LBB6_4770
; %bb.4765:                             ;   in Loop: Header=BB6_3885 Depth=4
	v_cmp_ne_u16_e32 vcc, s82, v0
	v_bfrev_b32_e32 v1, 1
	s_and_saveexec_b64 s[40:41], vcc
	s_cbranch_execz .LBB6_4769
; %bb.4766:                             ;   in Loop: Header=BB6_3885 Depth=4
	v_and_b32_e32 v14, 0x7f, v22
	v_cmp_ne_u32_e32 vcc, s83, v14
	v_mov_b32_e32 v1, 0x7f800001
	s_and_saveexec_b64 s[50:51], vcc
	s_cbranch_execz .LBB6_4768
; %bb.4767:                             ;   in Loop: Header=BB6_3885 Depth=4
	v_and_b32_e32 v15, 7, v0
	v_ffbh_u32_e32 v1, v15
	v_lshrrev_b32_e32 v16, 3, v14
	v_cmp_gt_u32_e32 vcc, 8, v14
	v_min_u32_e32 v14, 32, v1
	v_subrev_u32_e32 v1, 28, v14
	v_lshlrev_b64 v[0:1], v1, v[0:1]
	v_sub_u32_e32 v1, 29, v14
	v_and_b32_e32 v0, 7, v0
	v_cndmask_b32_e32 v1, v16, v1, vcc
	v_cndmask_b32_e32 v0, v15, v0, vcc
	v_lshlrev_b32_e32 v14, 24, v22
	v_bfrev_b32_e32 v15, 60
	v_lshlrev_b32_e32 v0, 20, v0
	v_and_b32_e32 v14, 0x80000000, v14
	v_lshl_add_u32 v1, v1, 23, v15
	v_or3_b32 v1, v14, v1, v0
.LBB6_4768:                             ;   in Loop: Header=BB6_3885 Depth=4
	s_or_b64 exec, exec, s[50:51]
.LBB6_4769:                             ;   in Loop: Header=BB6_3885 Depth=4
	s_or_b64 exec, exec, s[40:41]
.LBB6_4770:                             ;   in Loop: Header=BB6_3885 Depth=4
	s_or_b64 exec, exec, s[48:49]
	v_and_b32_e32 v0, 0xff, v21
	v_cmp_ne_u16_e32 vcc, 0, v0
	s_and_saveexec_b64 s[40:41], vcc
	s_cbranch_execz .LBB6_4776
; %bb.4771:                             ;   in Loop: Header=BB6_3885 Depth=4
	v_cmp_ne_u16_e32 vcc, s82, v0
	v_bfrev_b32_e32 v2, 1
	s_and_saveexec_b64 s[48:49], vcc
	s_cbranch_execz .LBB6_4775
; %bb.4772:                             ;   in Loop: Header=BB6_3885 Depth=4
	v_and_b32_e32 v14, 0x7f, v21
	v_cmp_ne_u32_e32 vcc, s83, v14
	v_mov_b32_e32 v2, 0x7f800001
	s_and_saveexec_b64 s[50:51], vcc
	s_cbranch_execz .LBB6_4774
; %bb.4773:                             ;   in Loop: Header=BB6_3885 Depth=4
	v_and_b32_e32 v2, 7, v0
	v_lshrrev_b32_e32 v16, 3, v14
	v_cmp_gt_u32_e32 vcc, 8, v14
	v_ffbh_u32_e32 v14, v2
	v_min_u32_e32 v17, 32, v14
	v_subrev_u32_e32 v14, 28, v17
	v_lshlrev_b64 v[14:15], v14, v[0:1]
	v_sub_u32_e32 v0, 29, v17
	v_and_b32_e32 v14, 7, v14
	v_cndmask_b32_e32 v0, v16, v0, vcc
	v_cndmask_b32_e32 v2, v2, v14, vcc
	v_lshlrev_b32_e32 v14, 24, v21
	v_bfrev_b32_e32 v15, 60
	v_lshlrev_b32_e32 v2, 20, v2
	v_and_b32_e32 v14, 0x80000000, v14
	v_lshl_add_u32 v0, v0, 23, v15
	v_or3_b32 v2, v14, v0, v2
.LBB6_4774:                             ;   in Loop: Header=BB6_3885 Depth=4
	s_or_b64 exec, exec, s[50:51]
.LBB6_4775:                             ;   in Loop: Header=BB6_3885 Depth=4
	s_or_b64 exec, exec, s[48:49]
.LBB6_4776:                             ;   in Loop: Header=BB6_3885 Depth=4
	s_or_b64 exec, exec, s[40:41]
	v_max_f32_e32 v0, v2, v2
	v_max_f32_e32 v1, v1, v1
	v_min_f32_e32 v1, v1, v0
.LBB6_4777:                             ;   in Loop: Header=BB6_3885 Depth=4
	v_and_b32_e32 v52, 0x7f800000, v1
	v_cmp_ne_u64_e32 vcc, s[76:77], v[52:53]
                                        ; implicit-def: $vgpr14
	s_and_saveexec_b64 s[40:41], vcc
	s_xor_b64 s[48:49], exec, s[40:41]
	s_cbranch_execz .LBB6_4795
; %bb.4778:                             ;   in Loop: Header=BB6_3885 Depth=4
	v_and_b32_e32 v52, 0x7fffffff, v1
	v_cmp_gt_u64_e32 vcc, s[78:79], v[52:53]
	v_and_b32_sdwa v15, v1, s82 dst_sel:DWORD dst_unused:UNUSED_PAD src0_sel:BYTE_3 src1_sel:DWORD
                                        ; implicit-def: $vgpr14
	s_and_saveexec_b64 s[40:41], vcc
	s_xor_b64 s[50:51], exec, s[40:41]
	s_cbranch_execz .LBB6_4792
; %bb.4779:                             ;   in Loop: Header=BB6_3885 Depth=4
	v_cmp_ne_u32_e32 vcc, 0, v1
	v_mov_b32_e32 v14, 0
	s_and_saveexec_b64 s[52:53], vcc
	s_cbranch_execz .LBB6_4791
; %bb.4780:                             ;   in Loop: Header=BB6_3885 Depth=4
	v_bfe_u32 v14, v1, 23, 8
	v_and_b32_e32 v0, 0x7fffff, v1
	v_cmp_gt_u32_e64 s[40:41], s85, v14
	v_sub_u32_e32 v1, 0x79, v14
	v_cmp_eq_u32_e32 vcc, 0, v14
	v_cndmask_b32_e64 v1, 0, v1, s[40:41]
	v_mov_b32_e32 v16, 0x78
	v_or_b32_e32 v2, 0x800000, v0
	v_cndmask_b32_e32 v16, v1, v16, vcc
	v_cndmask_b32_e32 v52, v2, v0, vcc
	v_add_u32_e32 v0, 20, v16
	v_lshlrev_b64 v[0:1], v0, -1
	v_add_u32_e32 v2, 19, v16
	v_lshlrev_b64 v[17:18], v2, 1
	v_bfi_b32 v1, v1, 0, 0
	v_bfi_b32 v0, v0, 0, v52
	v_cmp_eq_u64_e64 s[40:41], v[0:1], v[17:18]
	v_lshrrev_b64 v[0:1], v16, v[52:53]
	v_mov_b32_e32 v2, v1
	v_mov_b32_e32 v1, v0
	s_and_saveexec_b64 s[54:55], s[40:41]
; %bb.4781:                             ;   in Loop: Header=BB6_3885 Depth=4
	v_bfe_u32 v1, v0, 20, 1
	v_add_co_u32_e64 v1, s[40:41], v0, v1
	v_add_co_u32_e64 v1, s[40:41], -1, v1
; %bb.4782:                             ;   in Loop: Header=BB6_3885 Depth=4
	s_or_b64 exec, exec, s[54:55]
	v_add_u32_e32 v2, 0xffffff81, v14
	v_mov_b32_e32 v14, 0xffffff82
	v_cndmask_b32_e32 v2, v2, v14, vcc
	v_lshrrev_b32_e32 v14, 23, v0
	v_add3_u32 v16, v16, v2, v14
	v_add_u32_e32 v14, 6, v16
	v_and_b32_e32 v1, 0xfffff, v1
	v_add_u32_e32 v52, v1, v0
	v_cmp_ne_u32_e32 vcc, 0, v14
                                        ; implicit-def: $vgpr0_vgpr1
                                        ; implicit-def: $vgpr2
	s_and_saveexec_b64 s[40:41], vcc
	s_xor_b64 s[40:41], exec, s[40:41]
; %bb.4783:                             ;   in Loop: Header=BB6_3885 Depth=4
	v_cmp_lt_u64_e32 vcc, s[88:89], v[52:53]
	v_add_u32_e32 v0, 7, v16
	v_cndmask_b32_e32 v2, v14, v0, vcc
	v_cndmask_b32_e64 v0, 0, 1, vcc
	v_lshrrev_b64 v[0:1], v0, v[52:53]
; %bb.4784:                             ;   in Loop: Header=BB6_3885 Depth=4
	s_andn2_saveexec_b64 s[40:41], s[40:41]
; %bb.4785:                             ;   in Loop: Header=BB6_3885 Depth=4
	v_mov_b32_e32 v0, v52
	v_bfe_u32 v2, v52, 23, 1
	v_mov_b32_e32 v1, v53
; %bb.4786:                             ;   in Loop: Header=BB6_3885 Depth=4
	s_or_b64 exec, exec, s[40:41]
	v_lshrrev_b64 v[0:1], 20, v[0:1]
	v_cmp_gt_i32_e32 vcc, 16, v2
	v_cndmask_b32_e32 v1, 0, v1, vcc
	v_cndmask_b32_e32 v0, 7, v0, vcc
	v_cmp_ne_u64_e32 vcc, 0, v[0:1]
	v_cmp_ne_u32_e64 s[40:41], 0, v2
	s_or_b64 s[40:41], s[40:41], vcc
                                        ; implicit-def: $vgpr14
	s_and_saveexec_b64 vcc, s[40:41]
	s_xor_b64 s[40:41], exec, vcc
; %bb.4787:                             ;   in Loop: Header=BB6_3885 Depth=4
	v_min_i32_e32 v1, 15, v2
	v_lshl_or_b32 v1, v1, 3, v15
	v_and_or_b32 v14, v0, 7, v1
                                        ; implicit-def: $vgpr15
; %bb.4788:                             ;   in Loop: Header=BB6_3885 Depth=4
	s_andn2_saveexec_b64 s[40:41], s[40:41]
; %bb.4789:                             ;   in Loop: Header=BB6_3885 Depth=4
	v_mov_b32_e32 v14, v15
; %bb.4790:                             ;   in Loop: Header=BB6_3885 Depth=4
	s_or_b64 exec, exec, s[40:41]
.LBB6_4791:                             ;   in Loop: Header=BB6_3885 Depth=4
	s_or_b64 exec, exec, s[52:53]
                                        ; implicit-def: $vgpr15
.LBB6_4792:                             ;   in Loop: Header=BB6_3885 Depth=4
	s_andn2_saveexec_b64 s[40:41], s[50:51]
; %bb.4793:                             ;   in Loop: Header=BB6_3885 Depth=4
	v_or_b32_e32 v14, 0x7e, v15
; %bb.4794:                             ;   in Loop: Header=BB6_3885 Depth=4
	s_or_b64 exec, exec, s[40:41]
                                        ; implicit-def: $vgpr1
.LBB6_4795:                             ;   in Loop: Header=BB6_3885 Depth=4
	s_andn2_saveexec_b64 s[40:41], s[48:49]
; %bb.4796:                             ;   in Loop: Header=BB6_3885 Depth=4
	v_or_b32_sdwa v14, v1, s83 dst_sel:DWORD dst_unused:UNUSED_PAD src0_sel:BYTE_3 src1_sel:DWORD
; %bb.4797:                             ;   in Loop: Header=BB6_3885 Depth=4
	s_or_b64 exec, exec, s[40:41]
	v_and_b32_e32 v0, 0xff, v20
	v_cmp_ne_u16_e64 s[40:41], 0, v0
	s_and_b64 vcc, exec, s[28:29]
	s_mov_b64 s[48:49], -1
                                        ; implicit-def: $vgpr1
	s_cbranch_vccnz .LBB6_4811
; %bb.4798:                             ;   in Loop: Header=BB6_3885 Depth=4
	v_mov_b32_e32 v15, 0
	v_mov_b32_e32 v2, 0
	s_and_saveexec_b64 s[48:49], s[40:41]
	s_cbranch_execz .LBB6_4804
; %bb.4799:                             ;   in Loop: Header=BB6_3885 Depth=4
	v_cmp_ne_u16_e32 vcc, s82, v0
	v_bfrev_b32_e32 v2, 1
	s_and_saveexec_b64 s[50:51], vcc
	s_cbranch_execz .LBB6_4803
; %bb.4800:                             ;   in Loop: Header=BB6_3885 Depth=4
	v_and_b32_e32 v1, 0x7f, v20
	v_cmp_ne_u32_e32 vcc, s83, v1
	v_mov_b32_e32 v2, 0x7f800001
	s_and_saveexec_b64 s[52:53], vcc
	s_cbranch_execz .LBB6_4802
; %bb.4801:                             ;   in Loop: Header=BB6_3885 Depth=4
	v_and_b32_e32 v16, 7, v0
	v_lshrrev_b32_e32 v17, 3, v1
	v_cmp_gt_u32_e32 vcc, 8, v1
	v_ffbh_u32_e32 v1, v16
	v_min_u32_e32 v18, 32, v1
	v_subrev_u32_e32 v1, 28, v18
	v_lshlrev_b64 v[1:2], v1, v[0:1]
	v_sub_u32_e32 v2, 29, v18
	v_and_b32_e32 v1, 7, v1
	v_cndmask_b32_e32 v2, v17, v2, vcc
	v_cndmask_b32_e32 v1, v16, v1, vcc
	v_lshlrev_b32_e32 v16, 24, v20
	v_bfrev_b32_e32 v17, 60
	v_lshlrev_b32_e32 v1, 20, v1
	v_and_b32_e32 v16, 0x80000000, v16
	v_lshl_add_u32 v2, v2, 23, v17
	v_or3_b32 v2, v16, v2, v1
.LBB6_4802:                             ;   in Loop: Header=BB6_3885 Depth=4
	s_or_b64 exec, exec, s[52:53]
.LBB6_4803:                             ;   in Loop: Header=BB6_3885 Depth=4
	s_or_b64 exec, exec, s[50:51]
.LBB6_4804:                             ;   in Loop: Header=BB6_3885 Depth=4
	s_or_b64 exec, exec, s[48:49]
	v_and_b32_e32 v1, 0xff, v23
	v_cmp_ne_u16_e32 vcc, 0, v1
	s_and_saveexec_b64 s[48:49], vcc
	s_cbranch_execz .LBB6_4810
; %bb.4805:                             ;   in Loop: Header=BB6_3885 Depth=4
	v_cmp_ne_u16_e32 vcc, s82, v1
	v_bfrev_b32_e32 v15, 1
	s_and_saveexec_b64 s[50:51], vcc
	s_cbranch_execz .LBB6_4809
; %bb.4806:                             ;   in Loop: Header=BB6_3885 Depth=4
	v_and_b32_e32 v16, 0x7f, v23
	v_cmp_ne_u32_e32 vcc, s83, v16
	v_mov_b32_e32 v15, 0x7f800001
	s_and_saveexec_b64 s[52:53], vcc
	s_cbranch_execz .LBB6_4808
; %bb.4807:                             ;   in Loop: Header=BB6_3885 Depth=4
	v_and_b32_e32 v17, 7, v1
	v_ffbh_u32_e32 v15, v17
	v_min_u32_e32 v19, 32, v15
	v_subrev_u32_e32 v15, 28, v19
	v_lshrrev_b32_e32 v18, 3, v16
	v_cmp_gt_u32_e32 vcc, 8, v16
	v_lshlrev_b64 v[15:16], v15, v[1:2]
	v_sub_u32_e32 v1, 29, v19
	v_and_b32_e32 v15, 7, v15
	v_cndmask_b32_e32 v1, v18, v1, vcc
	v_cndmask_b32_e32 v15, v17, v15, vcc
	v_lshlrev_b32_e32 v16, 24, v23
	v_bfrev_b32_e32 v17, 60
	v_lshlrev_b32_e32 v15, 20, v15
	v_and_b32_e32 v16, 0x80000000, v16
	v_lshl_add_u32 v1, v1, 23, v17
	v_or3_b32 v15, v16, v1, v15
.LBB6_4808:                             ;   in Loop: Header=BB6_3885 Depth=4
	s_or_b64 exec, exec, s[52:53]
.LBB6_4809:                             ;   in Loop: Header=BB6_3885 Depth=4
	s_or_b64 exec, exec, s[50:51]
.LBB6_4810:                             ;   in Loop: Header=BB6_3885 Depth=4
	s_or_b64 exec, exec, s[48:49]
	v_max_f32_e32 v1, v15, v15
	v_max_f32_e32 v2, v2, v2
	;; [unrolled: 1-line block ×3, first 2 shown]
	s_mov_b64 s[48:49], 0
.LBB6_4811:                             ;   in Loop: Header=BB6_3885 Depth=4
	s_and_b64 vcc, exec, s[48:49]
	s_cbranch_vccz .LBB6_4825
; %bb.4812:                             ;   in Loop: Header=BB6_3885 Depth=4
	v_mov_b32_e32 v2, 0
	v_mov_b32_e32 v1, 0
	s_and_saveexec_b64 s[48:49], s[40:41]
	s_cbranch_execz .LBB6_4818
; %bb.4813:                             ;   in Loop: Header=BB6_3885 Depth=4
	v_cmp_ne_u16_e32 vcc, s82, v0
	v_bfrev_b32_e32 v1, 1
	s_and_saveexec_b64 s[40:41], vcc
	s_cbranch_execz .LBB6_4817
; %bb.4814:                             ;   in Loop: Header=BB6_3885 Depth=4
	v_and_b32_e32 v15, 0x7f, v20
	v_cmp_ne_u32_e32 vcc, s83, v15
	v_mov_b32_e32 v1, 0x7f800001
	s_and_saveexec_b64 s[50:51], vcc
	s_cbranch_execz .LBB6_4816
; %bb.4815:                             ;   in Loop: Header=BB6_3885 Depth=4
	v_and_b32_e32 v16, 7, v0
	v_ffbh_u32_e32 v1, v16
	v_lshrrev_b32_e32 v17, 3, v15
	v_cmp_gt_u32_e32 vcc, 8, v15
	v_min_u32_e32 v15, 32, v1
	v_subrev_u32_e32 v1, 28, v15
	v_lshlrev_b64 v[0:1], v1, v[0:1]
	v_sub_u32_e32 v1, 29, v15
	v_and_b32_e32 v0, 7, v0
	v_cndmask_b32_e32 v1, v17, v1, vcc
	v_cndmask_b32_e32 v0, v16, v0, vcc
	v_lshlrev_b32_e32 v15, 24, v20
	v_bfrev_b32_e32 v16, 60
	v_lshlrev_b32_e32 v0, 20, v0
	v_and_b32_e32 v15, 0x80000000, v15
	v_lshl_add_u32 v1, v1, 23, v16
	v_or3_b32 v1, v15, v1, v0
.LBB6_4816:                             ;   in Loop: Header=BB6_3885 Depth=4
	s_or_b64 exec, exec, s[50:51]
.LBB6_4817:                             ;   in Loop: Header=BB6_3885 Depth=4
	s_or_b64 exec, exec, s[40:41]
.LBB6_4818:                             ;   in Loop: Header=BB6_3885 Depth=4
	s_or_b64 exec, exec, s[48:49]
	v_and_b32_e32 v0, 0xff, v23
	v_cmp_ne_u16_e32 vcc, 0, v0
	s_and_saveexec_b64 s[40:41], vcc
	s_cbranch_execz .LBB6_4824
; %bb.4819:                             ;   in Loop: Header=BB6_3885 Depth=4
	v_cmp_ne_u16_e32 vcc, s82, v0
	v_bfrev_b32_e32 v2, 1
	s_and_saveexec_b64 s[48:49], vcc
	s_cbranch_execz .LBB6_4823
; %bb.4820:                             ;   in Loop: Header=BB6_3885 Depth=4
	v_and_b32_e32 v15, 0x7f, v23
	v_cmp_ne_u32_e32 vcc, s83, v15
	v_mov_b32_e32 v2, 0x7f800001
	s_and_saveexec_b64 s[50:51], vcc
	s_cbranch_execz .LBB6_4822
; %bb.4821:                             ;   in Loop: Header=BB6_3885 Depth=4
	v_and_b32_e32 v2, 7, v0
	v_lshrrev_b32_e32 v17, 3, v15
	v_cmp_gt_u32_e32 vcc, 8, v15
	v_ffbh_u32_e32 v15, v2
	v_min_u32_e32 v18, 32, v15
	v_subrev_u32_e32 v15, 28, v18
	v_lshlrev_b64 v[15:16], v15, v[0:1]
	v_sub_u32_e32 v0, 29, v18
	v_and_b32_e32 v15, 7, v15
	v_cndmask_b32_e32 v0, v17, v0, vcc
	v_cndmask_b32_e32 v2, v2, v15, vcc
	v_lshlrev_b32_e32 v15, 24, v23
	v_bfrev_b32_e32 v16, 60
	v_lshlrev_b32_e32 v2, 20, v2
	v_and_b32_e32 v15, 0x80000000, v15
	v_lshl_add_u32 v0, v0, 23, v16
	v_or3_b32 v2, v15, v0, v2
.LBB6_4822:                             ;   in Loop: Header=BB6_3885 Depth=4
	s_or_b64 exec, exec, s[50:51]
.LBB6_4823:                             ;   in Loop: Header=BB6_3885 Depth=4
	s_or_b64 exec, exec, s[48:49]
.LBB6_4824:                             ;   in Loop: Header=BB6_3885 Depth=4
	s_or_b64 exec, exec, s[40:41]
	v_max_f32_e32 v0, v2, v2
	v_max_f32_e32 v1, v1, v1
	v_min_f32_e32 v1, v1, v0
.LBB6_4825:                             ;   in Loop: Header=BB6_3885 Depth=4
	v_and_b32_e32 v52, 0x7f800000, v1
	v_cmp_ne_u64_e32 vcc, s[76:77], v[52:53]
                                        ; implicit-def: $vgpr17
	s_mov_b64 s[40:41], exec
	buffer_load_dword v46, off, s[0:3], s33 offset:140 ; 4-byte Folded Reload
	s_and_b64 vcc, s[40:41], vcc
	s_xor_b64 s[48:49], vcc, s[40:41]
	s_mov_b64 exec, vcc
	s_cbranch_execz .LBB6_4843
; %bb.4826:                             ;   in Loop: Header=BB6_3885 Depth=4
	v_and_b32_e32 v52, 0x7fffffff, v1
	v_cmp_gt_u64_e32 vcc, s[78:79], v[52:53]
	v_and_b32_sdwa v15, v1, s82 dst_sel:DWORD dst_unused:UNUSED_PAD src0_sel:BYTE_3 src1_sel:DWORD
                                        ; implicit-def: $vgpr17
	s_and_saveexec_b64 s[40:41], vcc
	s_xor_b64 s[50:51], exec, s[40:41]
	s_cbranch_execz .LBB6_4840
; %bb.4827:                             ;   in Loop: Header=BB6_3885 Depth=4
	v_cmp_ne_u32_e32 vcc, 0, v1
	v_mov_b32_e32 v17, 0
	s_and_saveexec_b64 s[52:53], vcc
	s_cbranch_execz .LBB6_4839
; %bb.4828:                             ;   in Loop: Header=BB6_3885 Depth=4
	v_bfe_u32 v16, v1, 23, 8
	v_and_b32_e32 v0, 0x7fffff, v1
	v_cmp_gt_u32_e64 s[40:41], s85, v16
	v_sub_u32_e32 v1, 0x79, v16
	v_cmp_eq_u32_e32 vcc, 0, v16
	v_cndmask_b32_e64 v1, 0, v1, s[40:41]
	v_mov_b32_e32 v17, 0x78
	v_or_b32_e32 v2, 0x800000, v0
	v_cndmask_b32_e32 v17, v1, v17, vcc
	v_cndmask_b32_e32 v52, v2, v0, vcc
	v_add_u32_e32 v0, 20, v17
	v_lshlrev_b64 v[0:1], v0, -1
	v_add_u32_e32 v2, 19, v17
	v_lshlrev_b64 v[18:19], v2, 1
	v_bfi_b32 v1, v1, 0, 0
	v_bfi_b32 v0, v0, 0, v52
	v_cmp_eq_u64_e64 s[40:41], v[0:1], v[18:19]
	v_lshrrev_b64 v[0:1], v17, v[52:53]
	v_mov_b32_e32 v2, v1
	v_mov_b32_e32 v1, v0
	s_and_saveexec_b64 s[54:55], s[40:41]
; %bb.4829:                             ;   in Loop: Header=BB6_3885 Depth=4
	v_bfe_u32 v1, v0, 20, 1
	v_add_co_u32_e64 v1, s[40:41], v0, v1
	v_add_co_u32_e64 v1, s[40:41], -1, v1
; %bb.4830:                             ;   in Loop: Header=BB6_3885 Depth=4
	s_or_b64 exec, exec, s[54:55]
	v_add_u32_e32 v2, 0xffffff81, v16
	v_mov_b32_e32 v16, 0xffffff82
	v_cndmask_b32_e32 v2, v2, v16, vcc
	v_lshrrev_b32_e32 v16, 23, v0
	v_add3_u32 v17, v17, v2, v16
	v_add_u32_e32 v16, 6, v17
	v_and_b32_e32 v1, 0xfffff, v1
	v_add_u32_e32 v52, v1, v0
	v_cmp_ne_u32_e32 vcc, 0, v16
                                        ; implicit-def: $vgpr0_vgpr1
                                        ; implicit-def: $vgpr2
	s_and_saveexec_b64 s[40:41], vcc
	s_xor_b64 s[40:41], exec, s[40:41]
; %bb.4831:                             ;   in Loop: Header=BB6_3885 Depth=4
	v_cmp_lt_u64_e32 vcc, s[88:89], v[52:53]
	v_add_u32_e32 v0, 7, v17
	v_cndmask_b32_e32 v2, v16, v0, vcc
	v_cndmask_b32_e64 v0, 0, 1, vcc
	v_lshrrev_b64 v[0:1], v0, v[52:53]
; %bb.4832:                             ;   in Loop: Header=BB6_3885 Depth=4
	s_andn2_saveexec_b64 s[40:41], s[40:41]
; %bb.4833:                             ;   in Loop: Header=BB6_3885 Depth=4
	v_mov_b32_e32 v0, v52
	v_bfe_u32 v2, v52, 23, 1
	v_mov_b32_e32 v1, v53
; %bb.4834:                             ;   in Loop: Header=BB6_3885 Depth=4
	s_or_b64 exec, exec, s[40:41]
	v_lshrrev_b64 v[0:1], 20, v[0:1]
	v_cmp_gt_i32_e32 vcc, 16, v2
	v_cndmask_b32_e32 v1, 0, v1, vcc
	v_cndmask_b32_e32 v0, 7, v0, vcc
	v_cmp_ne_u64_e32 vcc, 0, v[0:1]
	v_cmp_ne_u32_e64 s[40:41], 0, v2
	s_or_b64 s[40:41], s[40:41], vcc
                                        ; implicit-def: $vgpr17
	s_and_saveexec_b64 vcc, s[40:41]
	s_xor_b64 s[40:41], exec, vcc
; %bb.4835:                             ;   in Loop: Header=BB6_3885 Depth=4
	v_min_i32_e32 v1, 15, v2
	v_lshl_or_b32 v1, v1, 3, v15
	v_and_or_b32 v17, v0, 7, v1
                                        ; implicit-def: $vgpr15
; %bb.4836:                             ;   in Loop: Header=BB6_3885 Depth=4
	s_andn2_saveexec_b64 s[40:41], s[40:41]
; %bb.4837:                             ;   in Loop: Header=BB6_3885 Depth=4
	v_mov_b32_e32 v17, v15
; %bb.4838:                             ;   in Loop: Header=BB6_3885 Depth=4
	s_or_b64 exec, exec, s[40:41]
.LBB6_4839:                             ;   in Loop: Header=BB6_3885 Depth=4
	s_or_b64 exec, exec, s[52:53]
                                        ; implicit-def: $vgpr15
.LBB6_4840:                             ;   in Loop: Header=BB6_3885 Depth=4
	s_andn2_saveexec_b64 s[40:41], s[50:51]
; %bb.4841:                             ;   in Loop: Header=BB6_3885 Depth=4
	v_or_b32_e32 v17, 0x7e, v15
; %bb.4842:                             ;   in Loop: Header=BB6_3885 Depth=4
	s_or_b64 exec, exec, s[40:41]
                                        ; implicit-def: $vgpr1
.LBB6_4843:                             ;   in Loop: Header=BB6_3885 Depth=4
	s_andn2_saveexec_b64 s[40:41], s[48:49]
; %bb.4844:                             ;   in Loop: Header=BB6_3885 Depth=4
	v_or_b32_sdwa v17, v1, s83 dst_sel:DWORD dst_unused:UNUSED_PAD src0_sel:BYTE_3 src1_sel:DWORD
; %bb.4845:                             ;   in Loop: Header=BB6_3885 Depth=4
	s_or_b64 exec, exec, s[40:41]
	buffer_load_dword v0, off, s[0:3], s33 offset:96 ; 4-byte Folded Reload
	s_and_b64 vcc, exec, s[28:29]
	s_mov_b64 s[48:49], -1
                                        ; implicit-def: $vgpr1
	s_waitcnt vmcnt(0)
	v_and_b32_e32 v0, 0xff, v0
	v_cmp_ne_u16_e64 s[40:41], 0, v0
	s_cbranch_vccnz .LBB6_4859
; %bb.4846:                             ;   in Loop: Header=BB6_3885 Depth=4
	v_mov_b32_e32 v15, 0
	v_mov_b32_e32 v2, 0
	s_and_saveexec_b64 s[48:49], s[40:41]
	s_cbranch_execz .LBB6_4852
; %bb.4847:                             ;   in Loop: Header=BB6_3885 Depth=4
	v_cmp_ne_u16_e32 vcc, s82, v0
	v_bfrev_b32_e32 v2, 1
	s_and_saveexec_b64 s[50:51], vcc
	s_cbranch_execz .LBB6_4851
; %bb.4848:                             ;   in Loop: Header=BB6_3885 Depth=4
	buffer_load_dword v1, off, s[0:3], s33 offset:96 ; 4-byte Folded Reload
	v_mov_b32_e32 v2, 0x7f800001
	s_waitcnt vmcnt(0)
	v_and_b32_e32 v1, 0x7f, v1
	v_cmp_ne_u32_e32 vcc, s83, v1
	s_and_saveexec_b64 s[52:53], vcc
	s_cbranch_execz .LBB6_4850
; %bb.4849:                             ;   in Loop: Header=BB6_3885 Depth=4
	v_and_b32_e32 v16, 7, v0
	v_lshrrev_b32_e32 v18, 3, v1
	v_cmp_gt_u32_e32 vcc, 8, v1
	v_ffbh_u32_e32 v1, v16
	v_min_u32_e32 v19, 32, v1
	v_subrev_u32_e32 v1, 28, v19
	v_lshlrev_b64 v[1:2], v1, v[0:1]
	v_sub_u32_e32 v2, 29, v19
	v_and_b32_e32 v1, 7, v1
	v_cndmask_b32_e32 v1, v16, v1, vcc
	buffer_load_dword v16, off, s[0:3], s33 offset:96 ; 4-byte Folded Reload
	v_cndmask_b32_e32 v2, v18, v2, vcc
	v_bfrev_b32_e32 v18, 60
	v_lshlrev_b32_e32 v1, 20, v1
	v_lshl_add_u32 v2, v2, 23, v18
	s_waitcnt vmcnt(0)
	v_lshlrev_b32_e32 v16, 24, v16
	v_and_b32_e32 v16, 0x80000000, v16
	v_or3_b32 v2, v16, v2, v1
.LBB6_4850:                             ;   in Loop: Header=BB6_3885 Depth=4
	s_or_b64 exec, exec, s[52:53]
.LBB6_4851:                             ;   in Loop: Header=BB6_3885 Depth=4
	s_or_b64 exec, exec, s[50:51]
.LBB6_4852:                             ;   in Loop: Header=BB6_3885 Depth=4
	s_or_b64 exec, exec, s[48:49]
	v_and_b32_e32 v1, 0xff, v55
	v_cmp_ne_u16_e32 vcc, 0, v1
	s_and_saveexec_b64 s[48:49], vcc
	s_cbranch_execz .LBB6_4858
; %bb.4853:                             ;   in Loop: Header=BB6_3885 Depth=4
	v_cmp_ne_u16_e32 vcc, s82, v1
	v_bfrev_b32_e32 v15, 1
	s_and_saveexec_b64 s[50:51], vcc
	s_cbranch_execz .LBB6_4857
; %bb.4854:                             ;   in Loop: Header=BB6_3885 Depth=4
	v_and_b32_e32 v16, 0x7f, v55
	v_cmp_ne_u32_e32 vcc, s83, v16
	v_mov_b32_e32 v15, 0x7f800001
	s_and_saveexec_b64 s[52:53], vcc
	s_cbranch_execz .LBB6_4856
; %bb.4855:                             ;   in Loop: Header=BB6_3885 Depth=4
	v_and_b32_e32 v18, 7, v1
	v_ffbh_u32_e32 v15, v18
	v_min_u32_e32 v20, 32, v15
	v_subrev_u32_e32 v15, 28, v20
	v_lshrrev_b32_e32 v19, 3, v16
	v_cmp_gt_u32_e32 vcc, 8, v16
	v_lshlrev_b64 v[15:16], v15, v[1:2]
	v_sub_u32_e32 v1, 29, v20
	v_and_b32_e32 v15, 7, v15
	v_cndmask_b32_e32 v1, v19, v1, vcc
	v_cndmask_b32_e32 v15, v18, v15, vcc
	v_lshlrev_b32_e32 v16, 24, v55
	v_bfrev_b32_e32 v18, 60
	v_lshlrev_b32_e32 v15, 20, v15
	v_and_b32_e32 v16, 0x80000000, v16
	v_lshl_add_u32 v1, v1, 23, v18
	v_or3_b32 v15, v16, v1, v15
.LBB6_4856:                             ;   in Loop: Header=BB6_3885 Depth=4
	s_or_b64 exec, exec, s[52:53]
.LBB6_4857:                             ;   in Loop: Header=BB6_3885 Depth=4
	s_or_b64 exec, exec, s[50:51]
.LBB6_4858:                             ;   in Loop: Header=BB6_3885 Depth=4
	s_or_b64 exec, exec, s[48:49]
	v_max_f32_e32 v1, v15, v15
	v_max_f32_e32 v2, v2, v2
	;; [unrolled: 1-line block ×3, first 2 shown]
	s_mov_b64 s[48:49], 0
.LBB6_4859:                             ;   in Loop: Header=BB6_3885 Depth=4
	s_and_b64 vcc, exec, s[48:49]
	s_cbranch_vccz .LBB6_4873
; %bb.4860:                             ;   in Loop: Header=BB6_3885 Depth=4
	v_mov_b32_e32 v2, 0
	v_mov_b32_e32 v1, 0
	s_and_saveexec_b64 s[48:49], s[40:41]
	s_cbranch_execz .LBB6_4866
; %bb.4861:                             ;   in Loop: Header=BB6_3885 Depth=4
	v_cmp_ne_u16_e32 vcc, s82, v0
	v_bfrev_b32_e32 v1, 1
	s_and_saveexec_b64 s[40:41], vcc
	s_cbranch_execz .LBB6_4865
; %bb.4862:                             ;   in Loop: Header=BB6_3885 Depth=4
	buffer_load_dword v1, off, s[0:3], s33 offset:96 ; 4-byte Folded Reload
	s_waitcnt vmcnt(0)
	v_and_b32_e32 v15, 0x7f, v1
	v_cmp_ne_u32_e32 vcc, s83, v15
	v_mov_b32_e32 v1, 0x7f800001
	s_and_saveexec_b64 s[50:51], vcc
	s_cbranch_execz .LBB6_4864
; %bb.4863:                             ;   in Loop: Header=BB6_3885 Depth=4
	v_and_b32_e32 v16, 7, v0
	v_ffbh_u32_e32 v1, v16
	v_lshrrev_b32_e32 v18, 3, v15
	v_cmp_gt_u32_e32 vcc, 8, v15
	v_min_u32_e32 v15, 32, v1
	v_subrev_u32_e32 v1, 28, v15
	v_lshlrev_b64 v[0:1], v1, v[0:1]
	v_sub_u32_e32 v1, 29, v15
	buffer_load_dword v15, off, s[0:3], s33 offset:96 ; 4-byte Folded Reload
	v_and_b32_e32 v0, 7, v0
	v_cndmask_b32_e32 v1, v18, v1, vcc
	v_cndmask_b32_e32 v0, v16, v0, vcc
	v_bfrev_b32_e32 v16, 60
	v_lshlrev_b32_e32 v0, 20, v0
	v_lshl_add_u32 v1, v1, 23, v16
	s_waitcnt vmcnt(0)
	v_lshlrev_b32_e32 v15, 24, v15
	v_and_b32_e32 v15, 0x80000000, v15
	v_or3_b32 v1, v15, v1, v0
.LBB6_4864:                             ;   in Loop: Header=BB6_3885 Depth=4
	s_or_b64 exec, exec, s[50:51]
.LBB6_4865:                             ;   in Loop: Header=BB6_3885 Depth=4
	s_or_b64 exec, exec, s[40:41]
.LBB6_4866:                             ;   in Loop: Header=BB6_3885 Depth=4
	s_or_b64 exec, exec, s[48:49]
	v_and_b32_e32 v0, 0xff, v55
	v_cmp_ne_u16_e32 vcc, 0, v0
	s_and_saveexec_b64 s[40:41], vcc
	s_cbranch_execz .LBB6_4872
; %bb.4867:                             ;   in Loop: Header=BB6_3885 Depth=4
	v_cmp_ne_u16_e32 vcc, s82, v0
	v_bfrev_b32_e32 v2, 1
	s_and_saveexec_b64 s[48:49], vcc
	s_cbranch_execz .LBB6_4871
; %bb.4868:                             ;   in Loop: Header=BB6_3885 Depth=4
	v_and_b32_e32 v15, 0x7f, v55
	v_cmp_ne_u32_e32 vcc, s83, v15
	v_mov_b32_e32 v2, 0x7f800001
	s_and_saveexec_b64 s[50:51], vcc
	s_cbranch_execz .LBB6_4870
; %bb.4869:                             ;   in Loop: Header=BB6_3885 Depth=4
	v_and_b32_e32 v2, 7, v0
	v_lshrrev_b32_e32 v18, 3, v15
	v_cmp_gt_u32_e32 vcc, 8, v15
	v_ffbh_u32_e32 v15, v2
	v_min_u32_e32 v19, 32, v15
	v_subrev_u32_e32 v15, 28, v19
	v_lshlrev_b64 v[15:16], v15, v[0:1]
	v_sub_u32_e32 v0, 29, v19
	v_and_b32_e32 v15, 7, v15
	v_cndmask_b32_e32 v0, v18, v0, vcc
	v_cndmask_b32_e32 v2, v2, v15, vcc
	v_lshlrev_b32_e32 v15, 24, v55
	v_bfrev_b32_e32 v16, 60
	v_lshlrev_b32_e32 v2, 20, v2
	v_and_b32_e32 v15, 0x80000000, v15
	v_lshl_add_u32 v0, v0, 23, v16
	v_or3_b32 v2, v15, v0, v2
.LBB6_4870:                             ;   in Loop: Header=BB6_3885 Depth=4
	s_or_b64 exec, exec, s[50:51]
.LBB6_4871:                             ;   in Loop: Header=BB6_3885 Depth=4
	s_or_b64 exec, exec, s[48:49]
.LBB6_4872:                             ;   in Loop: Header=BB6_3885 Depth=4
	s_or_b64 exec, exec, s[40:41]
	v_max_f32_e32 v0, v2, v2
	v_max_f32_e32 v1, v1, v1
	v_min_f32_e32 v1, v1, v0
.LBB6_4873:                             ;   in Loop: Header=BB6_3885 Depth=4
	v_mov_b32_e32 v45, v30
	v_mov_b32_e32 v41, v31
	v_and_b32_e32 v52, 0x7f800000, v1
	v_cmp_ne_u64_e32 vcc, s[76:77], v[52:53]
                                        ; implicit-def: $vgpr20
	s_mov_b64 s[40:41], exec
	buffer_load_dword v31, off, s[0:3], s33 offset:104 ; 4-byte Folded Reload
	buffer_load_dword v33, off, s[0:3], s33 offset:108 ; 4-byte Folded Reload
	;; [unrolled: 1-line block ×5, first 2 shown]
	s_and_b64 vcc, s[40:41], vcc
	s_xor_b64 s[48:49], vcc, s[40:41]
	s_mov_b64 exec, vcc
	s_cbranch_execz .LBB6_4891
; %bb.4874:                             ;   in Loop: Header=BB6_3885 Depth=4
	v_and_b32_e32 v52, 0x7fffffff, v1
	v_cmp_gt_u64_e32 vcc, s[78:79], v[52:53]
	v_and_b32_sdwa v15, v1, s82 dst_sel:DWORD dst_unused:UNUSED_PAD src0_sel:BYTE_3 src1_sel:DWORD
                                        ; implicit-def: $vgpr20
	s_and_saveexec_b64 s[40:41], vcc
	s_xor_b64 s[50:51], exec, s[40:41]
	s_cbranch_execz .LBB6_4888
; %bb.4875:                             ;   in Loop: Header=BB6_3885 Depth=4
	v_cmp_ne_u32_e32 vcc, 0, v1
	v_mov_b32_e32 v20, 0
	s_and_saveexec_b64 s[52:53], vcc
	s_cbranch_execz .LBB6_4887
; %bb.4876:                             ;   in Loop: Header=BB6_3885 Depth=4
	v_bfe_u32 v16, v1, 23, 8
	v_and_b32_e32 v0, 0x7fffff, v1
	v_cmp_gt_u32_e64 s[40:41], s85, v16
	v_sub_u32_e32 v1, 0x79, v16
	v_cmp_eq_u32_e32 vcc, 0, v16
	v_cndmask_b32_e64 v1, 0, v1, s[40:41]
	v_mov_b32_e32 v18, 0x78
	v_or_b32_e32 v2, 0x800000, v0
	v_cndmask_b32_e32 v18, v1, v18, vcc
	v_cndmask_b32_e32 v52, v2, v0, vcc
	v_add_u32_e32 v0, 20, v18
	v_lshlrev_b64 v[0:1], v0, -1
	v_add_u32_e32 v2, 19, v18
	v_lshlrev_b64 v[19:20], v2, 1
	v_bfi_b32 v1, v1, 0, 0
	v_bfi_b32 v0, v0, 0, v52
	v_cmp_eq_u64_e64 s[40:41], v[0:1], v[19:20]
	v_lshrrev_b64 v[0:1], v18, v[52:53]
	v_mov_b32_e32 v2, v1
	v_mov_b32_e32 v1, v0
	s_and_saveexec_b64 s[54:55], s[40:41]
; %bb.4877:                             ;   in Loop: Header=BB6_3885 Depth=4
	v_bfe_u32 v1, v0, 20, 1
	v_add_co_u32_e64 v1, s[40:41], v0, v1
	v_add_co_u32_e64 v1, s[40:41], -1, v1
; %bb.4878:                             ;   in Loop: Header=BB6_3885 Depth=4
	s_or_b64 exec, exec, s[54:55]
	v_add_u32_e32 v2, 0xffffff81, v16
	v_mov_b32_e32 v16, 0xffffff82
	v_cndmask_b32_e32 v2, v2, v16, vcc
	v_lshrrev_b32_e32 v16, 23, v0
	v_add3_u32 v18, v18, v2, v16
	v_add_u32_e32 v16, 6, v18
	v_and_b32_e32 v1, 0xfffff, v1
	v_add_u32_e32 v52, v1, v0
	v_cmp_ne_u32_e32 vcc, 0, v16
                                        ; implicit-def: $vgpr0_vgpr1
                                        ; implicit-def: $vgpr2
	s_and_saveexec_b64 s[40:41], vcc
	s_xor_b64 s[40:41], exec, s[40:41]
; %bb.4879:                             ;   in Loop: Header=BB6_3885 Depth=4
	v_cmp_lt_u64_e32 vcc, s[88:89], v[52:53]
	v_add_u32_e32 v0, 7, v18
	v_cndmask_b32_e32 v2, v16, v0, vcc
	v_cndmask_b32_e64 v0, 0, 1, vcc
	v_lshrrev_b64 v[0:1], v0, v[52:53]
; %bb.4880:                             ;   in Loop: Header=BB6_3885 Depth=4
	s_andn2_saveexec_b64 s[40:41], s[40:41]
; %bb.4881:                             ;   in Loop: Header=BB6_3885 Depth=4
	v_mov_b32_e32 v0, v52
	v_bfe_u32 v2, v52, 23, 1
	v_mov_b32_e32 v1, v53
; %bb.4882:                             ;   in Loop: Header=BB6_3885 Depth=4
	s_or_b64 exec, exec, s[40:41]
	v_lshrrev_b64 v[0:1], 20, v[0:1]
	v_cmp_gt_i32_e32 vcc, 16, v2
	v_cndmask_b32_e32 v1, 0, v1, vcc
	v_cndmask_b32_e32 v0, 7, v0, vcc
	v_cmp_ne_u64_e32 vcc, 0, v[0:1]
	v_cmp_ne_u32_e64 s[40:41], 0, v2
	s_or_b64 s[40:41], s[40:41], vcc
                                        ; implicit-def: $vgpr20
	s_and_saveexec_b64 vcc, s[40:41]
	s_xor_b64 s[40:41], exec, vcc
; %bb.4883:                             ;   in Loop: Header=BB6_3885 Depth=4
	v_min_i32_e32 v1, 15, v2
	v_lshl_or_b32 v1, v1, 3, v15
	v_and_or_b32 v20, v0, 7, v1
                                        ; implicit-def: $vgpr15
; %bb.4884:                             ;   in Loop: Header=BB6_3885 Depth=4
	s_andn2_saveexec_b64 s[40:41], s[40:41]
; %bb.4885:                             ;   in Loop: Header=BB6_3885 Depth=4
	v_mov_b32_e32 v20, v15
; %bb.4886:                             ;   in Loop: Header=BB6_3885 Depth=4
	s_or_b64 exec, exec, s[40:41]
.LBB6_4887:                             ;   in Loop: Header=BB6_3885 Depth=4
	s_or_b64 exec, exec, s[52:53]
                                        ; implicit-def: $vgpr15
.LBB6_4888:                             ;   in Loop: Header=BB6_3885 Depth=4
	s_andn2_saveexec_b64 s[40:41], s[50:51]
; %bb.4889:                             ;   in Loop: Header=BB6_3885 Depth=4
	v_or_b32_e32 v20, 0x7e, v15
; %bb.4890:                             ;   in Loop: Header=BB6_3885 Depth=4
	s_or_b64 exec, exec, s[40:41]
                                        ; implicit-def: $vgpr1
.LBB6_4891:                             ;   in Loop: Header=BB6_3885 Depth=4
	s_andn2_saveexec_b64 s[40:41], s[48:49]
; %bb.4892:                             ;   in Loop: Header=BB6_3885 Depth=4
	v_or_b32_sdwa v20, v1, s83 dst_sel:DWORD dst_unused:UNUSED_PAD src0_sel:BYTE_3 src1_sel:DWORD
; %bb.4893:                             ;   in Loop: Header=BB6_3885 Depth=4
	s_or_b64 exec, exec, s[40:41]
	v_and_b32_e32 v0, 0xff, v61
	v_cmp_ne_u16_e64 s[40:41], 0, v0
	s_and_b64 vcc, exec, s[28:29]
	s_mov_b64 s[48:49], -1
                                        ; implicit-def: $vgpr1
	s_cbranch_vccnz .LBB6_4907
; %bb.4894:                             ;   in Loop: Header=BB6_3885 Depth=4
	v_mov_b32_e32 v15, 0
	v_mov_b32_e32 v2, 0
	s_and_saveexec_b64 s[48:49], s[40:41]
	s_cbranch_execz .LBB6_4900
; %bb.4895:                             ;   in Loop: Header=BB6_3885 Depth=4
	v_cmp_ne_u16_e32 vcc, s82, v0
	v_bfrev_b32_e32 v2, 1
	s_and_saveexec_b64 s[50:51], vcc
	s_cbranch_execz .LBB6_4899
; %bb.4896:                             ;   in Loop: Header=BB6_3885 Depth=4
	v_and_b32_e32 v1, 0x7f, v61
	v_cmp_ne_u32_e32 vcc, s83, v1
	v_mov_b32_e32 v2, 0x7f800001
	s_and_saveexec_b64 s[52:53], vcc
	s_cbranch_execz .LBB6_4898
; %bb.4897:                             ;   in Loop: Header=BB6_3885 Depth=4
	v_and_b32_e32 v16, 7, v0
	v_lshrrev_b32_e32 v18, 3, v1
	v_cmp_gt_u32_e32 vcc, 8, v1
	v_ffbh_u32_e32 v1, v16
	v_min_u32_e32 v19, 32, v1
	v_subrev_u32_e32 v1, 28, v19
	v_lshlrev_b64 v[1:2], v1, v[0:1]
	v_sub_u32_e32 v2, 29, v19
	v_and_b32_e32 v1, 7, v1
	v_cndmask_b32_e32 v2, v18, v2, vcc
	v_cndmask_b32_e32 v1, v16, v1, vcc
	v_lshlrev_b32_e32 v16, 24, v61
	v_bfrev_b32_e32 v18, 60
	v_lshlrev_b32_e32 v1, 20, v1
	v_and_b32_e32 v16, 0x80000000, v16
	v_lshl_add_u32 v2, v2, 23, v18
	v_or3_b32 v2, v16, v2, v1
.LBB6_4898:                             ;   in Loop: Header=BB6_3885 Depth=4
	s_or_b64 exec, exec, s[52:53]
.LBB6_4899:                             ;   in Loop: Header=BB6_3885 Depth=4
	s_or_b64 exec, exec, s[50:51]
.LBB6_4900:                             ;   in Loop: Header=BB6_3885 Depth=4
	s_or_b64 exec, exec, s[48:49]
	v_and_b32_e32 v1, 0xff, v59
	v_cmp_ne_u16_e32 vcc, 0, v1
	s_and_saveexec_b64 s[48:49], vcc
	s_cbranch_execz .LBB6_4906
; %bb.4901:                             ;   in Loop: Header=BB6_3885 Depth=4
	v_cmp_ne_u16_e32 vcc, s82, v1
	v_bfrev_b32_e32 v15, 1
	s_and_saveexec_b64 s[50:51], vcc
	s_cbranch_execz .LBB6_4905
; %bb.4902:                             ;   in Loop: Header=BB6_3885 Depth=4
	v_and_b32_e32 v16, 0x7f, v59
	v_cmp_ne_u32_e32 vcc, s83, v16
	v_mov_b32_e32 v15, 0x7f800001
	s_and_saveexec_b64 s[52:53], vcc
	s_cbranch_execz .LBB6_4904
; %bb.4903:                             ;   in Loop: Header=BB6_3885 Depth=4
	v_and_b32_e32 v18, 7, v1
	v_ffbh_u32_e32 v15, v18
	v_min_u32_e32 v21, 32, v15
	v_subrev_u32_e32 v15, 28, v21
	v_lshrrev_b32_e32 v19, 3, v16
	v_cmp_gt_u32_e32 vcc, 8, v16
	v_lshlrev_b64 v[15:16], v15, v[1:2]
	v_sub_u32_e32 v1, 29, v21
	v_and_b32_e32 v15, 7, v15
	v_cndmask_b32_e32 v1, v19, v1, vcc
	v_cndmask_b32_e32 v15, v18, v15, vcc
	v_lshlrev_b32_e32 v16, 24, v59
	v_bfrev_b32_e32 v18, 60
	v_lshlrev_b32_e32 v15, 20, v15
	v_and_b32_e32 v16, 0x80000000, v16
	v_lshl_add_u32 v1, v1, 23, v18
	v_or3_b32 v15, v16, v1, v15
.LBB6_4904:                             ;   in Loop: Header=BB6_3885 Depth=4
	s_or_b64 exec, exec, s[52:53]
.LBB6_4905:                             ;   in Loop: Header=BB6_3885 Depth=4
	s_or_b64 exec, exec, s[50:51]
.LBB6_4906:                             ;   in Loop: Header=BB6_3885 Depth=4
	s_or_b64 exec, exec, s[48:49]
	v_max_f32_e32 v1, v15, v15
	v_max_f32_e32 v2, v2, v2
	;; [unrolled: 1-line block ×3, first 2 shown]
	s_mov_b64 s[48:49], 0
.LBB6_4907:                             ;   in Loop: Header=BB6_3885 Depth=4
	s_and_b64 vcc, exec, s[48:49]
	s_cbranch_vccz .LBB6_4921
; %bb.4908:                             ;   in Loop: Header=BB6_3885 Depth=4
	v_mov_b32_e32 v2, 0
	v_mov_b32_e32 v1, 0
	s_and_saveexec_b64 s[48:49], s[40:41]
	s_cbranch_execz .LBB6_4914
; %bb.4909:                             ;   in Loop: Header=BB6_3885 Depth=4
	v_cmp_ne_u16_e32 vcc, s82, v0
	v_bfrev_b32_e32 v1, 1
	s_and_saveexec_b64 s[40:41], vcc
	s_cbranch_execz .LBB6_4913
; %bb.4910:                             ;   in Loop: Header=BB6_3885 Depth=4
	v_and_b32_e32 v15, 0x7f, v61
	v_cmp_ne_u32_e32 vcc, s83, v15
	v_mov_b32_e32 v1, 0x7f800001
	s_and_saveexec_b64 s[50:51], vcc
	s_cbranch_execz .LBB6_4912
; %bb.4911:                             ;   in Loop: Header=BB6_3885 Depth=4
	v_and_b32_e32 v16, 7, v0
	v_ffbh_u32_e32 v1, v16
	v_lshrrev_b32_e32 v18, 3, v15
	v_cmp_gt_u32_e32 vcc, 8, v15
	v_min_u32_e32 v15, 32, v1
	v_subrev_u32_e32 v1, 28, v15
	v_lshlrev_b64 v[0:1], v1, v[0:1]
	v_sub_u32_e32 v1, 29, v15
	v_and_b32_e32 v0, 7, v0
	v_cndmask_b32_e32 v1, v18, v1, vcc
	v_cndmask_b32_e32 v0, v16, v0, vcc
	v_lshlrev_b32_e32 v15, 24, v61
	v_bfrev_b32_e32 v16, 60
	v_lshlrev_b32_e32 v0, 20, v0
	v_and_b32_e32 v15, 0x80000000, v15
	v_lshl_add_u32 v1, v1, 23, v16
	v_or3_b32 v1, v15, v1, v0
.LBB6_4912:                             ;   in Loop: Header=BB6_3885 Depth=4
	s_or_b64 exec, exec, s[50:51]
.LBB6_4913:                             ;   in Loop: Header=BB6_3885 Depth=4
	s_or_b64 exec, exec, s[40:41]
.LBB6_4914:                             ;   in Loop: Header=BB6_3885 Depth=4
	s_or_b64 exec, exec, s[48:49]
	v_and_b32_e32 v0, 0xff, v59
	v_cmp_ne_u16_e32 vcc, 0, v0
	s_and_saveexec_b64 s[40:41], vcc
	s_cbranch_execz .LBB6_4920
; %bb.4915:                             ;   in Loop: Header=BB6_3885 Depth=4
	v_cmp_ne_u16_e32 vcc, s82, v0
	v_bfrev_b32_e32 v2, 1
	s_and_saveexec_b64 s[48:49], vcc
	s_cbranch_execz .LBB6_4919
; %bb.4916:                             ;   in Loop: Header=BB6_3885 Depth=4
	v_and_b32_e32 v15, 0x7f, v59
	v_cmp_ne_u32_e32 vcc, s83, v15
	v_mov_b32_e32 v2, 0x7f800001
	s_and_saveexec_b64 s[50:51], vcc
	s_cbranch_execz .LBB6_4918
; %bb.4917:                             ;   in Loop: Header=BB6_3885 Depth=4
	v_and_b32_e32 v2, 7, v0
	v_lshrrev_b32_e32 v18, 3, v15
	v_cmp_gt_u32_e32 vcc, 8, v15
	v_ffbh_u32_e32 v15, v2
	v_min_u32_e32 v19, 32, v15
	v_subrev_u32_e32 v15, 28, v19
	v_lshlrev_b64 v[15:16], v15, v[0:1]
	v_sub_u32_e32 v0, 29, v19
	v_and_b32_e32 v15, 7, v15
	v_cndmask_b32_e32 v0, v18, v0, vcc
	v_cndmask_b32_e32 v2, v2, v15, vcc
	v_lshlrev_b32_e32 v15, 24, v59
	v_bfrev_b32_e32 v16, 60
	v_lshlrev_b32_e32 v2, 20, v2
	v_and_b32_e32 v15, 0x80000000, v15
	v_lshl_add_u32 v0, v0, 23, v16
	v_or3_b32 v2, v15, v0, v2
.LBB6_4918:                             ;   in Loop: Header=BB6_3885 Depth=4
	s_or_b64 exec, exec, s[50:51]
.LBB6_4919:                             ;   in Loop: Header=BB6_3885 Depth=4
	s_or_b64 exec, exec, s[48:49]
.LBB6_4920:                             ;   in Loop: Header=BB6_3885 Depth=4
	s_or_b64 exec, exec, s[40:41]
	v_max_f32_e32 v0, v2, v2
	v_max_f32_e32 v1, v1, v1
	v_min_f32_e32 v1, v1, v0
.LBB6_4921:                             ;   in Loop: Header=BB6_3885 Depth=4
	v_and_b32_e32 v52, 0x7f800000, v1
	v_cmp_ne_u64_e32 vcc, s[76:77], v[52:53]
                                        ; implicit-def: $vgpr23
	s_mov_b64 s[40:41], exec
	buffer_load_dword v28, off, s[0:3], s33 offset:124 ; 4-byte Folded Reload
	buffer_load_dword v55, off, s[0:3], s33 offset:128 ; 4-byte Folded Reload
	buffer_load_dword v27, off, s[0:3], s33 offset:132 ; 4-byte Folded Reload
	buffer_load_dword v42, off, s[0:3], s33 offset:136 ; 4-byte Folded Reload
	s_and_b64 vcc, s[40:41], vcc
	s_xor_b64 s[48:49], vcc, s[40:41]
	s_mov_b64 exec, vcc
	s_cbranch_execz .LBB6_4939
; %bb.4922:                             ;   in Loop: Header=BB6_3885 Depth=4
	v_and_b32_e32 v52, 0x7fffffff, v1
	v_cmp_gt_u64_e32 vcc, s[78:79], v[52:53]
	v_and_b32_sdwa v15, v1, s82 dst_sel:DWORD dst_unused:UNUSED_PAD src0_sel:BYTE_3 src1_sel:DWORD
                                        ; implicit-def: $vgpr23
	s_and_saveexec_b64 s[40:41], vcc
	s_xor_b64 s[50:51], exec, s[40:41]
	s_cbranch_execz .LBB6_4936
; %bb.4923:                             ;   in Loop: Header=BB6_3885 Depth=4
	v_cmp_ne_u32_e32 vcc, 0, v1
	v_mov_b32_e32 v23, 0
	s_and_saveexec_b64 s[52:53], vcc
	s_cbranch_execz .LBB6_4935
; %bb.4924:                             ;   in Loop: Header=BB6_3885 Depth=4
	v_bfe_u32 v16, v1, 23, 8
	v_and_b32_e32 v0, 0x7fffff, v1
	v_cmp_gt_u32_e64 s[40:41], s85, v16
	v_sub_u32_e32 v1, 0x79, v16
	v_cmp_eq_u32_e32 vcc, 0, v16
	v_cndmask_b32_e64 v1, 0, v1, s[40:41]
	v_mov_b32_e32 v18, 0x78
	v_or_b32_e32 v2, 0x800000, v0
	v_cndmask_b32_e32 v18, v1, v18, vcc
	v_cndmask_b32_e32 v52, v2, v0, vcc
	v_add_u32_e32 v0, 20, v18
	v_lshlrev_b64 v[0:1], v0, -1
	v_add_u32_e32 v2, 19, v18
	v_lshlrev_b64 v[21:22], v2, 1
	v_bfi_b32 v1, v1, 0, 0
	v_bfi_b32 v0, v0, 0, v52
	v_cmp_eq_u64_e64 s[40:41], v[0:1], v[21:22]
	v_lshrrev_b64 v[0:1], v18, v[52:53]
	v_mov_b32_e32 v2, v1
	v_mov_b32_e32 v1, v0
	s_and_saveexec_b64 s[54:55], s[40:41]
; %bb.4925:                             ;   in Loop: Header=BB6_3885 Depth=4
	v_bfe_u32 v1, v0, 20, 1
	v_add_co_u32_e64 v1, s[40:41], v0, v1
	v_add_co_u32_e64 v1, s[40:41], -1, v1
; %bb.4926:                             ;   in Loop: Header=BB6_3885 Depth=4
	s_or_b64 exec, exec, s[54:55]
	v_add_u32_e32 v2, 0xffffff81, v16
	v_mov_b32_e32 v16, 0xffffff82
	v_cndmask_b32_e32 v2, v2, v16, vcc
	v_lshrrev_b32_e32 v16, 23, v0
	v_add3_u32 v18, v18, v2, v16
	v_add_u32_e32 v16, 6, v18
	v_and_b32_e32 v1, 0xfffff, v1
	v_add_u32_e32 v52, v1, v0
	v_cmp_ne_u32_e32 vcc, 0, v16
                                        ; implicit-def: $vgpr0_vgpr1
                                        ; implicit-def: $vgpr2
	s_and_saveexec_b64 s[40:41], vcc
	s_xor_b64 s[40:41], exec, s[40:41]
; %bb.4927:                             ;   in Loop: Header=BB6_3885 Depth=4
	v_cmp_lt_u64_e32 vcc, s[88:89], v[52:53]
	v_add_u32_e32 v0, 7, v18
	v_cndmask_b32_e32 v2, v16, v0, vcc
	v_cndmask_b32_e64 v0, 0, 1, vcc
	v_lshrrev_b64 v[0:1], v0, v[52:53]
; %bb.4928:                             ;   in Loop: Header=BB6_3885 Depth=4
	s_andn2_saveexec_b64 s[40:41], s[40:41]
; %bb.4929:                             ;   in Loop: Header=BB6_3885 Depth=4
	v_mov_b32_e32 v0, v52
	v_bfe_u32 v2, v52, 23, 1
	v_mov_b32_e32 v1, v53
; %bb.4930:                             ;   in Loop: Header=BB6_3885 Depth=4
	s_or_b64 exec, exec, s[40:41]
	v_lshrrev_b64 v[0:1], 20, v[0:1]
	v_cmp_gt_i32_e32 vcc, 16, v2
	v_cndmask_b32_e32 v1, 0, v1, vcc
	v_cndmask_b32_e32 v0, 7, v0, vcc
	v_cmp_ne_u64_e32 vcc, 0, v[0:1]
	v_cmp_ne_u32_e64 s[40:41], 0, v2
	s_or_b64 s[40:41], s[40:41], vcc
                                        ; implicit-def: $vgpr23
	s_and_saveexec_b64 vcc, s[40:41]
	s_xor_b64 s[40:41], exec, vcc
; %bb.4931:                             ;   in Loop: Header=BB6_3885 Depth=4
	v_min_i32_e32 v1, 15, v2
	v_lshl_or_b32 v1, v1, 3, v15
	v_and_or_b32 v23, v0, 7, v1
                                        ; implicit-def: $vgpr15
; %bb.4932:                             ;   in Loop: Header=BB6_3885 Depth=4
	s_andn2_saveexec_b64 s[40:41], s[40:41]
; %bb.4933:                             ;   in Loop: Header=BB6_3885 Depth=4
	v_mov_b32_e32 v23, v15
; %bb.4934:                             ;   in Loop: Header=BB6_3885 Depth=4
	s_or_b64 exec, exec, s[40:41]
.LBB6_4935:                             ;   in Loop: Header=BB6_3885 Depth=4
	s_or_b64 exec, exec, s[52:53]
                                        ; implicit-def: $vgpr15
.LBB6_4936:                             ;   in Loop: Header=BB6_3885 Depth=4
	s_andn2_saveexec_b64 s[40:41], s[50:51]
; %bb.4937:                             ;   in Loop: Header=BB6_3885 Depth=4
	v_or_b32_e32 v23, 0x7e, v15
; %bb.4938:                             ;   in Loop: Header=BB6_3885 Depth=4
	s_or_b64 exec, exec, s[40:41]
                                        ; implicit-def: $vgpr1
.LBB6_4939:                             ;   in Loop: Header=BB6_3885 Depth=4
	s_andn2_saveexec_b64 s[40:41], s[48:49]
; %bb.4940:                             ;   in Loop: Header=BB6_3885 Depth=4
	v_or_b32_sdwa v23, v1, s83 dst_sel:DWORD dst_unused:UNUSED_PAD src0_sel:BYTE_3 src1_sel:DWORD
; %bb.4941:                             ;   in Loop: Header=BB6_3885 Depth=4
	s_or_b64 exec, exec, s[40:41]
	v_and_b32_e32 v0, 0xff, v58
	v_cmp_ne_u16_e64 s[40:41], 0, v0
	s_and_b64 vcc, exec, s[28:29]
	s_mov_b64 s[48:49], -1
                                        ; implicit-def: $vgpr1
	s_cbranch_vccnz .LBB6_4955
; %bb.4942:                             ;   in Loop: Header=BB6_3885 Depth=4
	v_mov_b32_e32 v15, 0
	v_mov_b32_e32 v2, 0
	s_and_saveexec_b64 s[48:49], s[40:41]
	s_cbranch_execz .LBB6_4948
; %bb.4943:                             ;   in Loop: Header=BB6_3885 Depth=4
	v_cmp_ne_u16_e32 vcc, s82, v0
	v_bfrev_b32_e32 v2, 1
	s_and_saveexec_b64 s[50:51], vcc
	s_cbranch_execz .LBB6_4947
; %bb.4944:                             ;   in Loop: Header=BB6_3885 Depth=4
	v_and_b32_e32 v1, 0x7f, v58
	v_cmp_ne_u32_e32 vcc, s83, v1
	v_mov_b32_e32 v2, 0x7f800001
	s_and_saveexec_b64 s[52:53], vcc
	s_cbranch_execz .LBB6_4946
; %bb.4945:                             ;   in Loop: Header=BB6_3885 Depth=4
	v_and_b32_e32 v16, 7, v0
	v_lshrrev_b32_e32 v18, 3, v1
	v_cmp_gt_u32_e32 vcc, 8, v1
	v_ffbh_u32_e32 v1, v16
	v_min_u32_e32 v19, 32, v1
	v_subrev_u32_e32 v1, 28, v19
	v_lshlrev_b64 v[1:2], v1, v[0:1]
	v_sub_u32_e32 v2, 29, v19
	v_and_b32_e32 v1, 7, v1
	v_cndmask_b32_e32 v2, v18, v2, vcc
	v_cndmask_b32_e32 v1, v16, v1, vcc
	v_lshlrev_b32_e32 v16, 24, v58
	v_bfrev_b32_e32 v18, 60
	v_lshlrev_b32_e32 v1, 20, v1
	v_and_b32_e32 v16, 0x80000000, v16
	v_lshl_add_u32 v2, v2, 23, v18
	v_or3_b32 v2, v16, v2, v1
.LBB6_4946:                             ;   in Loop: Header=BB6_3885 Depth=4
	s_or_b64 exec, exec, s[52:53]
.LBB6_4947:                             ;   in Loop: Header=BB6_3885 Depth=4
	s_or_b64 exec, exec, s[50:51]
.LBB6_4948:                             ;   in Loop: Header=BB6_3885 Depth=4
	s_or_b64 exec, exec, s[48:49]
	v_and_b32_e32 v1, 0xff, v48
	v_cmp_ne_u16_e32 vcc, 0, v1
	s_and_saveexec_b64 s[48:49], vcc
	s_cbranch_execz .LBB6_4954
; %bb.4949:                             ;   in Loop: Header=BB6_3885 Depth=4
	v_cmp_ne_u16_e32 vcc, s82, v1
	v_bfrev_b32_e32 v15, 1
	s_and_saveexec_b64 s[50:51], vcc
	s_cbranch_execz .LBB6_4953
; %bb.4950:                             ;   in Loop: Header=BB6_3885 Depth=4
	v_and_b32_e32 v16, 0x7f, v48
	v_cmp_ne_u32_e32 vcc, s83, v16
	v_mov_b32_e32 v15, 0x7f800001
	s_and_saveexec_b64 s[52:53], vcc
	s_cbranch_execz .LBB6_4952
; %bb.4951:                             ;   in Loop: Header=BB6_3885 Depth=4
	v_and_b32_e32 v18, 7, v1
	v_ffbh_u32_e32 v15, v18
	v_min_u32_e32 v21, 32, v15
	v_subrev_u32_e32 v15, 28, v21
	v_lshrrev_b32_e32 v19, 3, v16
	v_cmp_gt_u32_e32 vcc, 8, v16
	v_lshlrev_b64 v[15:16], v15, v[1:2]
	v_sub_u32_e32 v1, 29, v21
	v_and_b32_e32 v15, 7, v15
	v_cndmask_b32_e32 v1, v19, v1, vcc
	v_cndmask_b32_e32 v15, v18, v15, vcc
	v_lshlrev_b32_e32 v16, 24, v48
	v_bfrev_b32_e32 v18, 60
	v_lshlrev_b32_e32 v15, 20, v15
	v_and_b32_e32 v16, 0x80000000, v16
	v_lshl_add_u32 v1, v1, 23, v18
	v_or3_b32 v15, v16, v1, v15
.LBB6_4952:                             ;   in Loop: Header=BB6_3885 Depth=4
	s_or_b64 exec, exec, s[52:53]
.LBB6_4953:                             ;   in Loop: Header=BB6_3885 Depth=4
	s_or_b64 exec, exec, s[50:51]
.LBB6_4954:                             ;   in Loop: Header=BB6_3885 Depth=4
	s_or_b64 exec, exec, s[48:49]
	v_max_f32_e32 v1, v15, v15
	v_max_f32_e32 v2, v2, v2
	v_max_f32_e32 v1, v2, v1
	s_mov_b64 s[48:49], 0
.LBB6_4955:                             ;   in Loop: Header=BB6_3885 Depth=4
	s_and_b64 vcc, exec, s[48:49]
	s_cbranch_vccz .LBB6_4969
; %bb.4956:                             ;   in Loop: Header=BB6_3885 Depth=4
	v_mov_b32_e32 v2, 0
	v_mov_b32_e32 v1, 0
	s_and_saveexec_b64 s[48:49], s[40:41]
	s_cbranch_execz .LBB6_4962
; %bb.4957:                             ;   in Loop: Header=BB6_3885 Depth=4
	v_cmp_ne_u16_e32 vcc, s82, v0
	v_bfrev_b32_e32 v1, 1
	s_and_saveexec_b64 s[40:41], vcc
	s_cbranch_execz .LBB6_4961
; %bb.4958:                             ;   in Loop: Header=BB6_3885 Depth=4
	v_and_b32_e32 v15, 0x7f, v58
	v_cmp_ne_u32_e32 vcc, s83, v15
	v_mov_b32_e32 v1, 0x7f800001
	s_and_saveexec_b64 s[50:51], vcc
	s_cbranch_execz .LBB6_4960
; %bb.4959:                             ;   in Loop: Header=BB6_3885 Depth=4
	v_and_b32_e32 v16, 7, v0
	v_ffbh_u32_e32 v1, v16
	v_lshrrev_b32_e32 v18, 3, v15
	v_cmp_gt_u32_e32 vcc, 8, v15
	v_min_u32_e32 v15, 32, v1
	v_subrev_u32_e32 v1, 28, v15
	v_lshlrev_b64 v[0:1], v1, v[0:1]
	v_sub_u32_e32 v1, 29, v15
	v_and_b32_e32 v0, 7, v0
	v_cndmask_b32_e32 v1, v18, v1, vcc
	v_cndmask_b32_e32 v0, v16, v0, vcc
	v_lshlrev_b32_e32 v15, 24, v58
	v_bfrev_b32_e32 v16, 60
	v_lshlrev_b32_e32 v0, 20, v0
	v_and_b32_e32 v15, 0x80000000, v15
	v_lshl_add_u32 v1, v1, 23, v16
	v_or3_b32 v1, v15, v1, v0
.LBB6_4960:                             ;   in Loop: Header=BB6_3885 Depth=4
	s_or_b64 exec, exec, s[50:51]
.LBB6_4961:                             ;   in Loop: Header=BB6_3885 Depth=4
	s_or_b64 exec, exec, s[40:41]
.LBB6_4962:                             ;   in Loop: Header=BB6_3885 Depth=4
	s_or_b64 exec, exec, s[48:49]
	v_and_b32_e32 v0, 0xff, v48
	v_cmp_ne_u16_e32 vcc, 0, v0
	s_and_saveexec_b64 s[40:41], vcc
	s_cbranch_execz .LBB6_4968
; %bb.4963:                             ;   in Loop: Header=BB6_3885 Depth=4
	v_cmp_ne_u16_e32 vcc, s82, v0
	v_bfrev_b32_e32 v2, 1
	s_and_saveexec_b64 s[48:49], vcc
	s_cbranch_execz .LBB6_4967
; %bb.4964:                             ;   in Loop: Header=BB6_3885 Depth=4
	v_and_b32_e32 v15, 0x7f, v48
	v_cmp_ne_u32_e32 vcc, s83, v15
	v_mov_b32_e32 v2, 0x7f800001
	s_and_saveexec_b64 s[50:51], vcc
	s_cbranch_execz .LBB6_4966
; %bb.4965:                             ;   in Loop: Header=BB6_3885 Depth=4
	v_and_b32_e32 v2, 7, v0
	v_lshrrev_b32_e32 v18, 3, v15
	v_cmp_gt_u32_e32 vcc, 8, v15
	v_ffbh_u32_e32 v15, v2
	v_min_u32_e32 v19, 32, v15
	v_subrev_u32_e32 v15, 28, v19
	v_lshlrev_b64 v[15:16], v15, v[0:1]
	v_sub_u32_e32 v0, 29, v19
	v_and_b32_e32 v15, 7, v15
	v_cndmask_b32_e32 v0, v18, v0, vcc
	v_cndmask_b32_e32 v2, v2, v15, vcc
	v_lshlrev_b32_e32 v15, 24, v48
	v_bfrev_b32_e32 v16, 60
	v_lshlrev_b32_e32 v2, 20, v2
	v_and_b32_e32 v15, 0x80000000, v15
	v_lshl_add_u32 v0, v0, 23, v16
	v_or3_b32 v2, v15, v0, v2
.LBB6_4966:                             ;   in Loop: Header=BB6_3885 Depth=4
	s_or_b64 exec, exec, s[50:51]
.LBB6_4967:                             ;   in Loop: Header=BB6_3885 Depth=4
	s_or_b64 exec, exec, s[48:49]
.LBB6_4968:                             ;   in Loop: Header=BB6_3885 Depth=4
	s_or_b64 exec, exec, s[40:41]
	v_max_f32_e32 v0, v2, v2
	v_max_f32_e32 v1, v1, v1
	v_min_f32_e32 v1, v1, v0
.LBB6_4969:                             ;   in Loop: Header=BB6_3885 Depth=4
	v_and_b32_e32 v52, 0x7f800000, v1
	v_cmp_ne_u64_e32 vcc, s[76:77], v[52:53]
                                        ; implicit-def: $vgpr15
	s_mov_b64 s[40:41], exec
	buffer_load_dword v48, off, s[0:3], s33 offset:92 ; 4-byte Folded Reload
	s_and_b64 vcc, s[40:41], vcc
	s_xor_b64 s[48:49], vcc, s[40:41]
	s_mov_b64 exec, vcc
	s_cbranch_execz .LBB6_4987
; %bb.4970:                             ;   in Loop: Header=BB6_3885 Depth=4
	v_and_b32_e32 v52, 0x7fffffff, v1
	v_cmp_gt_u64_e32 vcc, s[78:79], v[52:53]
	v_and_b32_sdwa v16, v1, s82 dst_sel:DWORD dst_unused:UNUSED_PAD src0_sel:BYTE_3 src1_sel:DWORD
                                        ; implicit-def: $vgpr15
	s_and_saveexec_b64 s[40:41], vcc
	s_xor_b64 s[50:51], exec, s[40:41]
	s_cbranch_execz .LBB6_4984
; %bb.4971:                             ;   in Loop: Header=BB6_3885 Depth=4
	v_cmp_ne_u32_e32 vcc, 0, v1
	v_mov_b32_e32 v15, 0
	s_and_saveexec_b64 s[52:53], vcc
	s_cbranch_execz .LBB6_4983
; %bb.4972:                             ;   in Loop: Header=BB6_3885 Depth=4
	v_bfe_u32 v15, v1, 23, 8
	v_and_b32_e32 v0, 0x7fffff, v1
	v_cmp_gt_u32_e64 s[40:41], s85, v15
	v_sub_u32_e32 v1, 0x79, v15
	v_cmp_eq_u32_e32 vcc, 0, v15
	v_cndmask_b32_e64 v1, 0, v1, s[40:41]
	v_mov_b32_e32 v18, 0x78
	v_or_b32_e32 v2, 0x800000, v0
	v_cndmask_b32_e32 v18, v1, v18, vcc
	v_cndmask_b32_e32 v52, v2, v0, vcc
	v_add_u32_e32 v0, 20, v18
	v_lshlrev_b64 v[0:1], v0, -1
	v_add_u32_e32 v2, 19, v18
	v_lshlrev_b64 v[21:22], v2, 1
	v_bfi_b32 v1, v1, 0, 0
	v_bfi_b32 v0, v0, 0, v52
	v_cmp_eq_u64_e64 s[40:41], v[0:1], v[21:22]
	v_lshrrev_b64 v[0:1], v18, v[52:53]
	v_mov_b32_e32 v2, v1
	v_mov_b32_e32 v1, v0
	s_and_saveexec_b64 s[54:55], s[40:41]
; %bb.4973:                             ;   in Loop: Header=BB6_3885 Depth=4
	v_bfe_u32 v1, v0, 20, 1
	v_add_co_u32_e64 v1, s[40:41], v0, v1
	v_add_co_u32_e64 v1, s[40:41], -1, v1
; %bb.4974:                             ;   in Loop: Header=BB6_3885 Depth=4
	s_or_b64 exec, exec, s[54:55]
	v_add_u32_e32 v2, 0xffffff81, v15
	v_mov_b32_e32 v15, 0xffffff82
	v_cndmask_b32_e32 v2, v2, v15, vcc
	v_lshrrev_b32_e32 v15, 23, v0
	v_add3_u32 v18, v18, v2, v15
	v_add_u32_e32 v15, 6, v18
	v_and_b32_e32 v1, 0xfffff, v1
	v_add_u32_e32 v52, v1, v0
	v_cmp_ne_u32_e32 vcc, 0, v15
                                        ; implicit-def: $vgpr0_vgpr1
                                        ; implicit-def: $vgpr2
	s_and_saveexec_b64 s[40:41], vcc
	s_xor_b64 s[40:41], exec, s[40:41]
; %bb.4975:                             ;   in Loop: Header=BB6_3885 Depth=4
	v_cmp_lt_u64_e32 vcc, s[88:89], v[52:53]
	v_add_u32_e32 v0, 7, v18
	v_cndmask_b32_e32 v2, v15, v0, vcc
	v_cndmask_b32_e64 v0, 0, 1, vcc
	v_lshrrev_b64 v[0:1], v0, v[52:53]
; %bb.4976:                             ;   in Loop: Header=BB6_3885 Depth=4
	s_andn2_saveexec_b64 s[40:41], s[40:41]
; %bb.4977:                             ;   in Loop: Header=BB6_3885 Depth=4
	v_mov_b32_e32 v0, v52
	v_bfe_u32 v2, v52, 23, 1
	v_mov_b32_e32 v1, v53
; %bb.4978:                             ;   in Loop: Header=BB6_3885 Depth=4
	s_or_b64 exec, exec, s[40:41]
	v_lshrrev_b64 v[0:1], 20, v[0:1]
	v_cmp_gt_i32_e32 vcc, 16, v2
	v_cndmask_b32_e32 v1, 0, v1, vcc
	v_cndmask_b32_e32 v0, 7, v0, vcc
	v_cmp_ne_u64_e32 vcc, 0, v[0:1]
	v_cmp_ne_u32_e64 s[40:41], 0, v2
	s_or_b64 s[40:41], s[40:41], vcc
                                        ; implicit-def: $vgpr15
	s_and_saveexec_b64 vcc, s[40:41]
	s_xor_b64 s[40:41], exec, vcc
; %bb.4979:                             ;   in Loop: Header=BB6_3885 Depth=4
	v_min_i32_e32 v1, 15, v2
	v_lshl_or_b32 v1, v1, 3, v16
	v_and_or_b32 v15, v0, 7, v1
                                        ; implicit-def: $vgpr16
; %bb.4980:                             ;   in Loop: Header=BB6_3885 Depth=4
	s_andn2_saveexec_b64 s[40:41], s[40:41]
; %bb.4981:                             ;   in Loop: Header=BB6_3885 Depth=4
	v_mov_b32_e32 v15, v16
; %bb.4982:                             ;   in Loop: Header=BB6_3885 Depth=4
	s_or_b64 exec, exec, s[40:41]
.LBB6_4983:                             ;   in Loop: Header=BB6_3885 Depth=4
	s_or_b64 exec, exec, s[52:53]
                                        ; implicit-def: $vgpr16
.LBB6_4984:                             ;   in Loop: Header=BB6_3885 Depth=4
	s_andn2_saveexec_b64 s[40:41], s[50:51]
; %bb.4985:                             ;   in Loop: Header=BB6_3885 Depth=4
	v_or_b32_e32 v15, 0x7e, v16
; %bb.4986:                             ;   in Loop: Header=BB6_3885 Depth=4
	s_or_b64 exec, exec, s[40:41]
                                        ; implicit-def: $vgpr1
.LBB6_4987:                             ;   in Loop: Header=BB6_3885 Depth=4
	s_andn2_saveexec_b64 s[40:41], s[48:49]
; %bb.4988:                             ;   in Loop: Header=BB6_3885 Depth=4
	v_or_b32_sdwa v15, v1, s83 dst_sel:DWORD dst_unused:UNUSED_PAD src0_sel:BYTE_3 src1_sel:DWORD
; %bb.4989:                             ;   in Loop: Header=BB6_3885 Depth=4
	s_or_b64 exec, exec, s[40:41]
	v_and_b32_e32 v0, 0xff, v57
	v_cmp_ne_u16_e64 s[40:41], 0, v0
	s_and_b64 vcc, exec, s[28:29]
	s_mov_b64 s[48:49], -1
                                        ; implicit-def: $vgpr1
	s_cbranch_vccnz .LBB6_5003
; %bb.4990:                             ;   in Loop: Header=BB6_3885 Depth=4
	v_mov_b32_e32 v16, 0
	v_mov_b32_e32 v2, 0
	s_and_saveexec_b64 s[48:49], s[40:41]
	s_cbranch_execz .LBB6_4996
; %bb.4991:                             ;   in Loop: Header=BB6_3885 Depth=4
	v_cmp_ne_u16_e32 vcc, s82, v0
	v_bfrev_b32_e32 v2, 1
	s_and_saveexec_b64 s[50:51], vcc
	s_cbranch_execz .LBB6_4995
; %bb.4992:                             ;   in Loop: Header=BB6_3885 Depth=4
	v_and_b32_e32 v1, 0x7f, v57
	v_cmp_ne_u32_e32 vcc, s83, v1
	v_mov_b32_e32 v2, 0x7f800001
	s_and_saveexec_b64 s[52:53], vcc
	s_cbranch_execz .LBB6_4994
; %bb.4993:                             ;   in Loop: Header=BB6_3885 Depth=4
	v_and_b32_e32 v18, 7, v0
	v_lshrrev_b32_e32 v19, 3, v1
	v_cmp_gt_u32_e32 vcc, 8, v1
	v_ffbh_u32_e32 v1, v18
	v_min_u32_e32 v21, 32, v1
	v_subrev_u32_e32 v1, 28, v21
	v_lshlrev_b64 v[1:2], v1, v[0:1]
	v_sub_u32_e32 v2, 29, v21
	v_and_b32_e32 v1, 7, v1
	v_cndmask_b32_e32 v2, v19, v2, vcc
	v_cndmask_b32_e32 v1, v18, v1, vcc
	v_lshlrev_b32_e32 v18, 24, v57
	v_bfrev_b32_e32 v19, 60
	v_lshlrev_b32_e32 v1, 20, v1
	v_and_b32_e32 v18, 0x80000000, v18
	v_lshl_add_u32 v2, v2, 23, v19
	v_or3_b32 v2, v18, v2, v1
.LBB6_4994:                             ;   in Loop: Header=BB6_3885 Depth=4
	s_or_b64 exec, exec, s[52:53]
.LBB6_4995:                             ;   in Loop: Header=BB6_3885 Depth=4
	s_or_b64 exec, exec, s[50:51]
.LBB6_4996:                             ;   in Loop: Header=BB6_3885 Depth=4
	s_or_b64 exec, exec, s[48:49]
	v_and_b32_e32 v1, 0xff, v24
	v_cmp_ne_u16_e32 vcc, 0, v1
	s_and_saveexec_b64 s[48:49], vcc
	s_cbranch_execz .LBB6_5002
; %bb.4997:                             ;   in Loop: Header=BB6_3885 Depth=4
	v_cmp_ne_u16_e32 vcc, s82, v1
	v_bfrev_b32_e32 v16, 1
	s_and_saveexec_b64 s[50:51], vcc
	s_cbranch_execz .LBB6_5001
; %bb.4998:                             ;   in Loop: Header=BB6_3885 Depth=4
	v_and_b32_e32 v18, 0x7f, v24
	v_cmp_ne_u32_e32 vcc, s83, v18
	v_mov_b32_e32 v16, 0x7f800001
	s_and_saveexec_b64 s[52:53], vcc
	s_cbranch_execz .LBB6_5000
; %bb.4999:                             ;   in Loop: Header=BB6_3885 Depth=4
	v_and_b32_e32 v16, 7, v1
	v_lshrrev_b32_e32 v21, 3, v18
	v_cmp_gt_u32_e32 vcc, 8, v18
	v_ffbh_u32_e32 v18, v16
	v_min_u32_e32 v22, 32, v18
	v_subrev_u32_e32 v18, 28, v22
	v_lshlrev_b64 v[18:19], v18, v[1:2]
	v_sub_u32_e32 v1, 29, v22
	v_and_b32_e32 v18, 7, v18
	v_cndmask_b32_e32 v1, v21, v1, vcc
	v_cndmask_b32_e32 v16, v16, v18, vcc
	v_lshlrev_b32_e32 v18, 24, v24
	v_bfrev_b32_e32 v19, 60
	v_lshlrev_b32_e32 v16, 20, v16
	v_and_b32_e32 v18, 0x80000000, v18
	v_lshl_add_u32 v1, v1, 23, v19
	v_or3_b32 v16, v18, v1, v16
.LBB6_5000:                             ;   in Loop: Header=BB6_3885 Depth=4
	s_or_b64 exec, exec, s[52:53]
.LBB6_5001:                             ;   in Loop: Header=BB6_3885 Depth=4
	s_or_b64 exec, exec, s[50:51]
.LBB6_5002:                             ;   in Loop: Header=BB6_3885 Depth=4
	s_or_b64 exec, exec, s[48:49]
	v_max_f32_e32 v1, v16, v16
	v_max_f32_e32 v2, v2, v2
	v_max_f32_e32 v1, v2, v1
	s_mov_b64 s[48:49], 0
.LBB6_5003:                             ;   in Loop: Header=BB6_3885 Depth=4
	s_and_b64 vcc, exec, s[48:49]
	s_cbranch_vccz .LBB6_5017
; %bb.5004:                             ;   in Loop: Header=BB6_3885 Depth=4
	v_mov_b32_e32 v2, 0
	v_mov_b32_e32 v1, 0
	s_and_saveexec_b64 s[48:49], s[40:41]
	s_cbranch_execz .LBB6_5010
; %bb.5005:                             ;   in Loop: Header=BB6_3885 Depth=4
	v_cmp_ne_u16_e32 vcc, s82, v0
	v_bfrev_b32_e32 v1, 1
	s_and_saveexec_b64 s[40:41], vcc
	s_cbranch_execz .LBB6_5009
; %bb.5006:                             ;   in Loop: Header=BB6_3885 Depth=4
	v_and_b32_e32 v16, 0x7f, v57
	v_cmp_ne_u32_e32 vcc, s83, v16
	v_mov_b32_e32 v1, 0x7f800001
	s_and_saveexec_b64 s[50:51], vcc
	s_cbranch_execz .LBB6_5008
; %bb.5007:                             ;   in Loop: Header=BB6_3885 Depth=4
	v_and_b32_e32 v18, 7, v0
	v_ffbh_u32_e32 v1, v18
	v_lshrrev_b32_e32 v19, 3, v16
	v_cmp_gt_u32_e32 vcc, 8, v16
	v_min_u32_e32 v16, 32, v1
	v_subrev_u32_e32 v1, 28, v16
	v_lshlrev_b64 v[0:1], v1, v[0:1]
	v_sub_u32_e32 v1, 29, v16
	v_and_b32_e32 v0, 7, v0
	v_cndmask_b32_e32 v1, v19, v1, vcc
	v_cndmask_b32_e32 v0, v18, v0, vcc
	v_lshlrev_b32_e32 v16, 24, v57
	v_bfrev_b32_e32 v18, 60
	v_lshlrev_b32_e32 v0, 20, v0
	v_and_b32_e32 v16, 0x80000000, v16
	v_lshl_add_u32 v1, v1, 23, v18
	v_or3_b32 v1, v16, v1, v0
.LBB6_5008:                             ;   in Loop: Header=BB6_3885 Depth=4
	s_or_b64 exec, exec, s[50:51]
.LBB6_5009:                             ;   in Loop: Header=BB6_3885 Depth=4
	s_or_b64 exec, exec, s[40:41]
.LBB6_5010:                             ;   in Loop: Header=BB6_3885 Depth=4
	s_or_b64 exec, exec, s[48:49]
	v_and_b32_e32 v0, 0xff, v24
	v_cmp_ne_u16_e32 vcc, 0, v0
	s_and_saveexec_b64 s[40:41], vcc
	s_cbranch_execz .LBB6_5016
; %bb.5011:                             ;   in Loop: Header=BB6_3885 Depth=4
	v_cmp_ne_u16_e32 vcc, s82, v0
	v_bfrev_b32_e32 v2, 1
	s_and_saveexec_b64 s[48:49], vcc
	s_cbranch_execz .LBB6_5015
; %bb.5012:                             ;   in Loop: Header=BB6_3885 Depth=4
	v_and_b32_e32 v16, 0x7f, v24
	v_cmp_ne_u32_e32 vcc, s83, v16
	v_mov_b32_e32 v2, 0x7f800001
	s_and_saveexec_b64 s[50:51], vcc
	s_cbranch_execz .LBB6_5014
; %bb.5013:                             ;   in Loop: Header=BB6_3885 Depth=4
	v_and_b32_e32 v2, 7, v0
	v_lshrrev_b32_e32 v21, 3, v16
	v_cmp_gt_u32_e32 vcc, 8, v16
	v_ffbh_u32_e32 v16, v2
	v_min_u32_e32 v16, 32, v16
	v_subrev_u32_e32 v18, 28, v16
	v_lshlrev_b64 v[18:19], v18, v[0:1]
	v_sub_u32_e32 v0, 29, v16
	v_and_b32_e32 v16, 7, v18
	v_cndmask_b32_e32 v0, v21, v0, vcc
	v_cndmask_b32_e32 v2, v2, v16, vcc
	v_lshlrev_b32_e32 v16, 24, v24
	v_bfrev_b32_e32 v18, 60
	v_lshlrev_b32_e32 v2, 20, v2
	v_and_b32_e32 v16, 0x80000000, v16
	v_lshl_add_u32 v0, v0, 23, v18
	v_or3_b32 v2, v16, v0, v2
.LBB6_5014:                             ;   in Loop: Header=BB6_3885 Depth=4
	s_or_b64 exec, exec, s[50:51]
.LBB6_5015:                             ;   in Loop: Header=BB6_3885 Depth=4
	s_or_b64 exec, exec, s[48:49]
.LBB6_5016:                             ;   in Loop: Header=BB6_3885 Depth=4
	s_or_b64 exec, exec, s[40:41]
	v_max_f32_e32 v0, v2, v2
	v_max_f32_e32 v1, v1, v1
	v_min_f32_e32 v1, v1, v0
.LBB6_5017:                             ;   in Loop: Header=BB6_3885 Depth=4
	v_and_b32_e32 v52, 0x7f800000, v1
	v_cmp_ne_u64_e32 vcc, s[76:77], v[52:53]
                                        ; implicit-def: $vgpr16
	s_and_saveexec_b64 s[40:41], vcc
	s_xor_b64 s[48:49], exec, s[40:41]
	s_cbranch_execz .LBB6_5035
; %bb.5018:                             ;   in Loop: Header=BB6_3885 Depth=4
	v_and_b32_e32 v52, 0x7fffffff, v1
	v_cmp_gt_u64_e32 vcc, s[78:79], v[52:53]
	v_and_b32_sdwa v18, v1, s82 dst_sel:DWORD dst_unused:UNUSED_PAD src0_sel:BYTE_3 src1_sel:DWORD
                                        ; implicit-def: $vgpr16
	s_and_saveexec_b64 s[40:41], vcc
	s_xor_b64 s[50:51], exec, s[40:41]
	s_cbranch_execz .LBB6_5032
; %bb.5019:                             ;   in Loop: Header=BB6_3885 Depth=4
	v_cmp_ne_u32_e32 vcc, 0, v1
	v_mov_b32_e32 v16, 0
	s_and_saveexec_b64 s[52:53], vcc
	s_cbranch_execz .LBB6_5031
; %bb.5020:                             ;   in Loop: Header=BB6_3885 Depth=4
	v_bfe_u32 v16, v1, 23, 8
	v_and_b32_e32 v0, 0x7fffff, v1
	v_cmp_gt_u32_e64 s[40:41], s85, v16
	v_sub_u32_e32 v1, 0x79, v16
	v_cmp_eq_u32_e32 vcc, 0, v16
	v_cndmask_b32_e64 v1, 0, v1, s[40:41]
	v_mov_b32_e32 v19, 0x78
	v_or_b32_e32 v2, 0x800000, v0
	v_cndmask_b32_e32 v19, v1, v19, vcc
	v_cndmask_b32_e32 v52, v2, v0, vcc
	v_add_u32_e32 v0, 20, v19
	v_lshlrev_b64 v[0:1], v0, -1
	v_add_u32_e32 v2, 19, v19
	v_lshlrev_b64 v[21:22], v2, 1
	v_bfi_b32 v1, v1, 0, 0
	v_bfi_b32 v0, v0, 0, v52
	v_cmp_eq_u64_e64 s[40:41], v[0:1], v[21:22]
	v_lshrrev_b64 v[0:1], v19, v[52:53]
	v_mov_b32_e32 v2, v1
	v_mov_b32_e32 v1, v0
	s_and_saveexec_b64 s[54:55], s[40:41]
; %bb.5021:                             ;   in Loop: Header=BB6_3885 Depth=4
	v_bfe_u32 v1, v0, 20, 1
	v_add_co_u32_e64 v1, s[40:41], v0, v1
	v_add_co_u32_e64 v1, s[40:41], -1, v1
; %bb.5022:                             ;   in Loop: Header=BB6_3885 Depth=4
	s_or_b64 exec, exec, s[54:55]
	v_add_u32_e32 v2, 0xffffff81, v16
	v_mov_b32_e32 v16, 0xffffff82
	v_cndmask_b32_e32 v2, v2, v16, vcc
	v_lshrrev_b32_e32 v16, 23, v0
	v_add3_u32 v19, v19, v2, v16
	v_add_u32_e32 v16, 6, v19
	v_and_b32_e32 v1, 0xfffff, v1
	v_add_u32_e32 v52, v1, v0
	v_cmp_ne_u32_e32 vcc, 0, v16
                                        ; implicit-def: $vgpr0_vgpr1
                                        ; implicit-def: $vgpr2
	s_and_saveexec_b64 s[40:41], vcc
	s_xor_b64 s[40:41], exec, s[40:41]
; %bb.5023:                             ;   in Loop: Header=BB6_3885 Depth=4
	v_cmp_lt_u64_e32 vcc, s[88:89], v[52:53]
	v_add_u32_e32 v0, 7, v19
	v_cndmask_b32_e32 v2, v16, v0, vcc
	v_cndmask_b32_e64 v0, 0, 1, vcc
	v_lshrrev_b64 v[0:1], v0, v[52:53]
; %bb.5024:                             ;   in Loop: Header=BB6_3885 Depth=4
	s_andn2_saveexec_b64 s[40:41], s[40:41]
; %bb.5025:                             ;   in Loop: Header=BB6_3885 Depth=4
	v_mov_b32_e32 v0, v52
	v_bfe_u32 v2, v52, 23, 1
	v_mov_b32_e32 v1, v53
; %bb.5026:                             ;   in Loop: Header=BB6_3885 Depth=4
	s_or_b64 exec, exec, s[40:41]
	v_lshrrev_b64 v[0:1], 20, v[0:1]
	v_cmp_gt_i32_e32 vcc, 16, v2
	v_cndmask_b32_e32 v1, 0, v1, vcc
	v_cndmask_b32_e32 v0, 7, v0, vcc
	v_cmp_ne_u64_e32 vcc, 0, v[0:1]
	v_cmp_ne_u32_e64 s[40:41], 0, v2
	s_or_b64 s[40:41], s[40:41], vcc
                                        ; implicit-def: $vgpr16
	s_and_saveexec_b64 vcc, s[40:41]
	s_xor_b64 s[40:41], exec, vcc
; %bb.5027:                             ;   in Loop: Header=BB6_3885 Depth=4
	v_min_i32_e32 v1, 15, v2
	v_lshl_or_b32 v1, v1, 3, v18
	v_and_or_b32 v16, v0, 7, v1
                                        ; implicit-def: $vgpr18
; %bb.5028:                             ;   in Loop: Header=BB6_3885 Depth=4
	s_andn2_saveexec_b64 s[40:41], s[40:41]
; %bb.5029:                             ;   in Loop: Header=BB6_3885 Depth=4
	v_mov_b32_e32 v16, v18
; %bb.5030:                             ;   in Loop: Header=BB6_3885 Depth=4
	s_or_b64 exec, exec, s[40:41]
.LBB6_5031:                             ;   in Loop: Header=BB6_3885 Depth=4
	s_or_b64 exec, exec, s[52:53]
                                        ; implicit-def: $vgpr18
.LBB6_5032:                             ;   in Loop: Header=BB6_3885 Depth=4
	s_andn2_saveexec_b64 s[40:41], s[50:51]
; %bb.5033:                             ;   in Loop: Header=BB6_3885 Depth=4
	v_or_b32_e32 v16, 0x7e, v18
; %bb.5034:                             ;   in Loop: Header=BB6_3885 Depth=4
	s_or_b64 exec, exec, s[40:41]
                                        ; implicit-def: $vgpr1
.LBB6_5035:                             ;   in Loop: Header=BB6_3885 Depth=4
	s_andn2_saveexec_b64 s[40:41], s[48:49]
; %bb.5036:                             ;   in Loop: Header=BB6_3885 Depth=4
	v_or_b32_sdwa v16, v1, s83 dst_sel:DWORD dst_unused:UNUSED_PAD src0_sel:BYTE_3 src1_sel:DWORD
; %bb.5037:                             ;   in Loop: Header=BB6_3885 Depth=4
	s_or_b64 exec, exec, s[40:41]
	v_and_b32_e32 v0, 0xff, v25
	v_cmp_ne_u16_e64 s[40:41], 0, v0
	s_and_b64 vcc, exec, s[28:29]
	s_mov_b64 s[48:49], -1
                                        ; implicit-def: $vgpr1
	s_cbranch_vccnz .LBB6_5051
; %bb.5038:                             ;   in Loop: Header=BB6_3885 Depth=4
	v_mov_b32_e32 v18, 0
	v_mov_b32_e32 v2, 0
	s_and_saveexec_b64 s[48:49], s[40:41]
	s_cbranch_execz .LBB6_5044
; %bb.5039:                             ;   in Loop: Header=BB6_3885 Depth=4
	v_cmp_ne_u16_e32 vcc, s82, v0
	v_bfrev_b32_e32 v2, 1
	s_and_saveexec_b64 s[50:51], vcc
	s_cbranch_execz .LBB6_5043
; %bb.5040:                             ;   in Loop: Header=BB6_3885 Depth=4
	v_and_b32_e32 v1, 0x7f, v25
	v_cmp_ne_u32_e32 vcc, s83, v1
	v_mov_b32_e32 v2, 0x7f800001
	s_and_saveexec_b64 s[52:53], vcc
	s_cbranch_execz .LBB6_5042
; %bb.5041:                             ;   in Loop: Header=BB6_3885 Depth=4
	v_and_b32_e32 v19, 7, v0
	v_lshrrev_b32_e32 v21, 3, v1
	v_cmp_gt_u32_e32 vcc, 8, v1
	v_ffbh_u32_e32 v1, v19
	v_min_u32_e32 v22, 32, v1
	v_subrev_u32_e32 v1, 28, v22
	v_lshlrev_b64 v[1:2], v1, v[0:1]
	v_sub_u32_e32 v2, 29, v22
	v_and_b32_e32 v1, 7, v1
	v_cndmask_b32_e32 v2, v21, v2, vcc
	v_cndmask_b32_e32 v1, v19, v1, vcc
	v_lshlrev_b32_e32 v19, 24, v25
	v_bfrev_b32_e32 v21, 60
	v_lshlrev_b32_e32 v1, 20, v1
	v_and_b32_e32 v19, 0x80000000, v19
	v_lshl_add_u32 v2, v2, 23, v21
	v_or3_b32 v2, v19, v2, v1
.LBB6_5042:                             ;   in Loop: Header=BB6_3885 Depth=4
	s_or_b64 exec, exec, s[52:53]
.LBB6_5043:                             ;   in Loop: Header=BB6_3885 Depth=4
	s_or_b64 exec, exec, s[50:51]
.LBB6_5044:                             ;   in Loop: Header=BB6_3885 Depth=4
	s_or_b64 exec, exec, s[48:49]
	v_and_b32_e32 v1, 0xff, v26
	v_cmp_ne_u16_e32 vcc, 0, v1
	s_and_saveexec_b64 s[48:49], vcc
	s_cbranch_execz .LBB6_5050
; %bb.5045:                             ;   in Loop: Header=BB6_3885 Depth=4
	v_cmp_ne_u16_e32 vcc, s82, v1
	v_bfrev_b32_e32 v18, 1
	s_and_saveexec_b64 s[50:51], vcc
	s_cbranch_execz .LBB6_5049
; %bb.5046:                             ;   in Loop: Header=BB6_3885 Depth=4
	v_and_b32_e32 v19, 0x7f, v26
	v_cmp_ne_u32_e32 vcc, s83, v19
	v_mov_b32_e32 v18, 0x7f800001
	s_and_saveexec_b64 s[52:53], vcc
	s_cbranch_execz .LBB6_5048
; %bb.5047:                             ;   in Loop: Header=BB6_3885 Depth=4
	v_and_b32_e32 v21, 7, v1
	v_ffbh_u32_e32 v18, v21
	v_min_u32_e32 v24, 32, v18
	v_subrev_u32_e32 v18, 28, v24
	v_lshrrev_b32_e32 v22, 3, v19
	v_cmp_gt_u32_e32 vcc, 8, v19
	v_lshlrev_b64 v[18:19], v18, v[1:2]
	v_sub_u32_e32 v1, 29, v24
	v_and_b32_e32 v18, 7, v18
	v_cndmask_b32_e32 v1, v22, v1, vcc
	v_cndmask_b32_e32 v18, v21, v18, vcc
	v_lshlrev_b32_e32 v19, 24, v26
	v_bfrev_b32_e32 v21, 60
	v_lshlrev_b32_e32 v18, 20, v18
	v_and_b32_e32 v19, 0x80000000, v19
	v_lshl_add_u32 v1, v1, 23, v21
	v_or3_b32 v18, v19, v1, v18
.LBB6_5048:                             ;   in Loop: Header=BB6_3885 Depth=4
	s_or_b64 exec, exec, s[52:53]
.LBB6_5049:                             ;   in Loop: Header=BB6_3885 Depth=4
	s_or_b64 exec, exec, s[50:51]
.LBB6_5050:                             ;   in Loop: Header=BB6_3885 Depth=4
	s_or_b64 exec, exec, s[48:49]
	v_max_f32_e32 v1, v18, v18
	v_max_f32_e32 v2, v2, v2
	;; [unrolled: 1-line block ×3, first 2 shown]
	s_mov_b64 s[48:49], 0
.LBB6_5051:                             ;   in Loop: Header=BB6_3885 Depth=4
	s_and_b64 vcc, exec, s[48:49]
	s_cbranch_vccz .LBB6_5065
; %bb.5052:                             ;   in Loop: Header=BB6_3885 Depth=4
	v_mov_b32_e32 v2, 0
	v_mov_b32_e32 v1, 0
	s_and_saveexec_b64 s[48:49], s[40:41]
	s_cbranch_execz .LBB6_5058
; %bb.5053:                             ;   in Loop: Header=BB6_3885 Depth=4
	v_cmp_ne_u16_e32 vcc, s82, v0
	v_bfrev_b32_e32 v1, 1
	s_and_saveexec_b64 s[40:41], vcc
	s_cbranch_execz .LBB6_5057
; %bb.5054:                             ;   in Loop: Header=BB6_3885 Depth=4
	v_and_b32_e32 v18, 0x7f, v25
	v_cmp_ne_u32_e32 vcc, s83, v18
	v_mov_b32_e32 v1, 0x7f800001
	s_and_saveexec_b64 s[50:51], vcc
	s_cbranch_execz .LBB6_5056
; %bb.5055:                             ;   in Loop: Header=BB6_3885 Depth=4
	v_and_b32_e32 v19, 7, v0
	v_ffbh_u32_e32 v1, v19
	v_lshrrev_b32_e32 v21, 3, v18
	v_cmp_gt_u32_e32 vcc, 8, v18
	v_min_u32_e32 v18, 32, v1
	v_subrev_u32_e32 v1, 28, v18
	v_lshlrev_b64 v[0:1], v1, v[0:1]
	v_sub_u32_e32 v1, 29, v18
	v_and_b32_e32 v0, 7, v0
	v_cndmask_b32_e32 v1, v21, v1, vcc
	v_cndmask_b32_e32 v0, v19, v0, vcc
	v_lshlrev_b32_e32 v18, 24, v25
	v_bfrev_b32_e32 v19, 60
	v_lshlrev_b32_e32 v0, 20, v0
	v_and_b32_e32 v18, 0x80000000, v18
	v_lshl_add_u32 v1, v1, 23, v19
	v_or3_b32 v1, v18, v1, v0
.LBB6_5056:                             ;   in Loop: Header=BB6_3885 Depth=4
	s_or_b64 exec, exec, s[50:51]
.LBB6_5057:                             ;   in Loop: Header=BB6_3885 Depth=4
	s_or_b64 exec, exec, s[40:41]
.LBB6_5058:                             ;   in Loop: Header=BB6_3885 Depth=4
	s_or_b64 exec, exec, s[48:49]
	v_and_b32_e32 v0, 0xff, v26
	v_cmp_ne_u16_e32 vcc, 0, v0
	s_and_saveexec_b64 s[40:41], vcc
	s_cbranch_execz .LBB6_5064
; %bb.5059:                             ;   in Loop: Header=BB6_3885 Depth=4
	v_cmp_ne_u16_e32 vcc, s82, v0
	v_bfrev_b32_e32 v2, 1
	s_and_saveexec_b64 s[48:49], vcc
	s_cbranch_execz .LBB6_5063
; %bb.5060:                             ;   in Loop: Header=BB6_3885 Depth=4
	v_and_b32_e32 v18, 0x7f, v26
	v_cmp_ne_u32_e32 vcc, s83, v18
	v_mov_b32_e32 v2, 0x7f800001
	s_and_saveexec_b64 s[50:51], vcc
	s_cbranch_execz .LBB6_5062
; %bb.5061:                             ;   in Loop: Header=BB6_3885 Depth=4
	v_and_b32_e32 v2, 7, v0
	v_lshrrev_b32_e32 v21, 3, v18
	v_cmp_gt_u32_e32 vcc, 8, v18
	v_ffbh_u32_e32 v18, v2
	v_min_u32_e32 v22, 32, v18
	v_subrev_u32_e32 v18, 28, v22
	v_lshlrev_b64 v[18:19], v18, v[0:1]
	v_sub_u32_e32 v0, 29, v22
	v_and_b32_e32 v18, 7, v18
	v_cndmask_b32_e32 v0, v21, v0, vcc
	v_cndmask_b32_e32 v2, v2, v18, vcc
	v_lshlrev_b32_e32 v18, 24, v26
	v_bfrev_b32_e32 v19, 60
	v_lshlrev_b32_e32 v2, 20, v2
	v_and_b32_e32 v18, 0x80000000, v18
	v_lshl_add_u32 v0, v0, 23, v19
	v_or3_b32 v2, v18, v0, v2
.LBB6_5062:                             ;   in Loop: Header=BB6_3885 Depth=4
	s_or_b64 exec, exec, s[50:51]
.LBB6_5063:                             ;   in Loop: Header=BB6_3885 Depth=4
	s_or_b64 exec, exec, s[48:49]
.LBB6_5064:                             ;   in Loop: Header=BB6_3885 Depth=4
	s_or_b64 exec, exec, s[40:41]
	v_max_f32_e32 v0, v2, v2
	v_max_f32_e32 v1, v1, v1
	v_min_f32_e32 v1, v1, v0
.LBB6_5065:                             ;   in Loop: Header=BB6_3885 Depth=4
	v_and_b32_e32 v52, 0x7f800000, v1
	v_cmp_ne_u64_e32 vcc, s[76:77], v[52:53]
                                        ; implicit-def: $vgpr26
	s_and_saveexec_b64 s[40:41], vcc
	s_xor_b64 s[48:49], exec, s[40:41]
	s_cbranch_execz .LBB6_5083
; %bb.5066:                             ;   in Loop: Header=BB6_3885 Depth=4
	v_and_b32_e32 v52, 0x7fffffff, v1
	v_cmp_gt_u64_e32 vcc, s[78:79], v[52:53]
	v_and_b32_sdwa v18, v1, s82 dst_sel:DWORD dst_unused:UNUSED_PAD src0_sel:BYTE_3 src1_sel:DWORD
                                        ; implicit-def: $vgpr26
	s_and_saveexec_b64 s[40:41], vcc
	s_xor_b64 s[50:51], exec, s[40:41]
	s_cbranch_execz .LBB6_5080
; %bb.5067:                             ;   in Loop: Header=BB6_3885 Depth=4
	v_cmp_ne_u32_e32 vcc, 0, v1
	v_mov_b32_e32 v26, 0
	s_and_saveexec_b64 s[52:53], vcc
	s_cbranch_execz .LBB6_5079
; %bb.5068:                             ;   in Loop: Header=BB6_3885 Depth=4
	v_bfe_u32 v19, v1, 23, 8
	v_and_b32_e32 v0, 0x7fffff, v1
	v_cmp_gt_u32_e64 s[40:41], s85, v19
	v_sub_u32_e32 v1, 0x79, v19
	v_cmp_eq_u32_e32 vcc, 0, v19
	v_cndmask_b32_e64 v1, 0, v1, s[40:41]
	v_mov_b32_e32 v21, 0x78
	v_or_b32_e32 v2, 0x800000, v0
	v_cndmask_b32_e32 v21, v1, v21, vcc
	v_cndmask_b32_e32 v52, v2, v0, vcc
	v_add_u32_e32 v0, 20, v21
	v_lshlrev_b64 v[0:1], v0, -1
	v_add_u32_e32 v2, 19, v21
	v_lshlrev_b64 v[24:25], v2, 1
	v_bfi_b32 v1, v1, 0, 0
	v_bfi_b32 v0, v0, 0, v52
	v_cmp_eq_u64_e64 s[40:41], v[0:1], v[24:25]
	v_lshrrev_b64 v[0:1], v21, v[52:53]
	v_mov_b32_e32 v2, v1
	v_mov_b32_e32 v1, v0
	s_and_saveexec_b64 s[54:55], s[40:41]
; %bb.5069:                             ;   in Loop: Header=BB6_3885 Depth=4
	v_bfe_u32 v1, v0, 20, 1
	v_add_co_u32_e64 v1, s[40:41], v0, v1
	v_add_co_u32_e64 v1, s[40:41], -1, v1
; %bb.5070:                             ;   in Loop: Header=BB6_3885 Depth=4
	s_or_b64 exec, exec, s[54:55]
	v_add_u32_e32 v2, 0xffffff81, v19
	v_mov_b32_e32 v19, 0xffffff82
	v_cndmask_b32_e32 v2, v2, v19, vcc
	v_lshrrev_b32_e32 v19, 23, v0
	v_add3_u32 v21, v21, v2, v19
	v_add_u32_e32 v19, 6, v21
	v_and_b32_e32 v1, 0xfffff, v1
	v_add_u32_e32 v52, v1, v0
	v_cmp_ne_u32_e32 vcc, 0, v19
                                        ; implicit-def: $vgpr0_vgpr1
                                        ; implicit-def: $vgpr2
	s_and_saveexec_b64 s[40:41], vcc
	s_xor_b64 s[40:41], exec, s[40:41]
; %bb.5071:                             ;   in Loop: Header=BB6_3885 Depth=4
	v_cmp_lt_u64_e32 vcc, s[88:89], v[52:53]
	v_add_u32_e32 v0, 7, v21
	v_cndmask_b32_e32 v2, v19, v0, vcc
	v_cndmask_b32_e64 v0, 0, 1, vcc
	v_lshrrev_b64 v[0:1], v0, v[52:53]
; %bb.5072:                             ;   in Loop: Header=BB6_3885 Depth=4
	s_andn2_saveexec_b64 s[40:41], s[40:41]
; %bb.5073:                             ;   in Loop: Header=BB6_3885 Depth=4
	v_mov_b32_e32 v0, v52
	v_bfe_u32 v2, v52, 23, 1
	v_mov_b32_e32 v1, v53
; %bb.5074:                             ;   in Loop: Header=BB6_3885 Depth=4
	s_or_b64 exec, exec, s[40:41]
	v_lshrrev_b64 v[0:1], 20, v[0:1]
	v_cmp_gt_i32_e32 vcc, 16, v2
	v_cndmask_b32_e32 v1, 0, v1, vcc
	v_cndmask_b32_e32 v0, 7, v0, vcc
	v_cmp_ne_u64_e32 vcc, 0, v[0:1]
	v_cmp_ne_u32_e64 s[40:41], 0, v2
	s_or_b64 s[40:41], s[40:41], vcc
                                        ; implicit-def: $vgpr26
	s_and_saveexec_b64 vcc, s[40:41]
	s_xor_b64 s[40:41], exec, vcc
; %bb.5075:                             ;   in Loop: Header=BB6_3885 Depth=4
	v_min_i32_e32 v1, 15, v2
	v_lshl_or_b32 v1, v1, 3, v18
	v_and_or_b32 v26, v0, 7, v1
                                        ; implicit-def: $vgpr18
; %bb.5076:                             ;   in Loop: Header=BB6_3885 Depth=4
	s_andn2_saveexec_b64 s[40:41], s[40:41]
; %bb.5077:                             ;   in Loop: Header=BB6_3885 Depth=4
	v_mov_b32_e32 v26, v18
; %bb.5078:                             ;   in Loop: Header=BB6_3885 Depth=4
	s_or_b64 exec, exec, s[40:41]
.LBB6_5079:                             ;   in Loop: Header=BB6_3885 Depth=4
	s_or_b64 exec, exec, s[52:53]
                                        ; implicit-def: $vgpr18
.LBB6_5080:                             ;   in Loop: Header=BB6_3885 Depth=4
	s_andn2_saveexec_b64 s[40:41], s[50:51]
; %bb.5081:                             ;   in Loop: Header=BB6_3885 Depth=4
	v_or_b32_e32 v26, 0x7e, v18
; %bb.5082:                             ;   in Loop: Header=BB6_3885 Depth=4
	s_or_b64 exec, exec, s[40:41]
                                        ; implicit-def: $vgpr1
.LBB6_5083:                             ;   in Loop: Header=BB6_3885 Depth=4
	s_andn2_saveexec_b64 s[40:41], s[48:49]
; %bb.5084:                             ;   in Loop: Header=BB6_3885 Depth=4
	v_or_b32_sdwa v26, v1, s83 dst_sel:DWORD dst_unused:UNUSED_PAD src0_sel:BYTE_3 src1_sel:DWORD
; %bb.5085:                             ;   in Loop: Header=BB6_3885 Depth=4
	s_or_b64 exec, exec, s[40:41]
	v_and_b32_e32 v0, 0xff, v56
	v_cmp_ne_u16_e64 s[40:41], 0, v0
	s_and_b64 vcc, exec, s[28:29]
	s_mov_b64 s[48:49], -1
                                        ; implicit-def: $vgpr1
	s_cbranch_vccnz .LBB6_5099
; %bb.5086:                             ;   in Loop: Header=BB6_3885 Depth=4
	v_mov_b32_e32 v18, 0
	v_mov_b32_e32 v2, 0
	s_and_saveexec_b64 s[48:49], s[40:41]
	s_cbranch_execz .LBB6_5092
; %bb.5087:                             ;   in Loop: Header=BB6_3885 Depth=4
	v_cmp_ne_u16_e32 vcc, s82, v0
	v_bfrev_b32_e32 v2, 1
	s_and_saveexec_b64 s[50:51], vcc
	s_cbranch_execz .LBB6_5091
; %bb.5088:                             ;   in Loop: Header=BB6_3885 Depth=4
	v_and_b32_e32 v1, 0x7f, v56
	v_cmp_ne_u32_e32 vcc, s83, v1
	v_mov_b32_e32 v2, 0x7f800001
	s_and_saveexec_b64 s[52:53], vcc
	s_cbranch_execz .LBB6_5090
; %bb.5089:                             ;   in Loop: Header=BB6_3885 Depth=4
	v_and_b32_e32 v19, 7, v0
	v_lshrrev_b32_e32 v21, 3, v1
	v_cmp_gt_u32_e32 vcc, 8, v1
	v_ffbh_u32_e32 v1, v19
	v_min_u32_e32 v22, 32, v1
	v_subrev_u32_e32 v1, 28, v22
	v_lshlrev_b64 v[1:2], v1, v[0:1]
	v_sub_u32_e32 v2, 29, v22
	v_and_b32_e32 v1, 7, v1
	v_cndmask_b32_e32 v2, v21, v2, vcc
	v_cndmask_b32_e32 v1, v19, v1, vcc
	v_lshlrev_b32_e32 v19, 24, v56
	v_bfrev_b32_e32 v21, 60
	v_lshlrev_b32_e32 v1, 20, v1
	v_and_b32_e32 v19, 0x80000000, v19
	v_lshl_add_u32 v2, v2, 23, v21
	v_or3_b32 v2, v19, v2, v1
.LBB6_5090:                             ;   in Loop: Header=BB6_3885 Depth=4
	s_or_b64 exec, exec, s[52:53]
.LBB6_5091:                             ;   in Loop: Header=BB6_3885 Depth=4
	s_or_b64 exec, exec, s[50:51]
.LBB6_5092:                             ;   in Loop: Header=BB6_3885 Depth=4
	s_or_b64 exec, exec, s[48:49]
	v_and_b32_e32 v1, 0xff, v46
	v_cmp_ne_u16_e32 vcc, 0, v1
	s_and_saveexec_b64 s[48:49], vcc
	s_cbranch_execz .LBB6_5098
; %bb.5093:                             ;   in Loop: Header=BB6_3885 Depth=4
	v_cmp_ne_u16_e32 vcc, s82, v1
	v_bfrev_b32_e32 v18, 1
	s_and_saveexec_b64 s[50:51], vcc
	s_cbranch_execz .LBB6_5097
; %bb.5094:                             ;   in Loop: Header=BB6_3885 Depth=4
	v_and_b32_e32 v19, 0x7f, v46
	v_cmp_ne_u32_e32 vcc, s83, v19
	v_mov_b32_e32 v18, 0x7f800001
	s_and_saveexec_b64 s[52:53], vcc
	s_cbranch_execz .LBB6_5096
; %bb.5095:                             ;   in Loop: Header=BB6_3885 Depth=4
	v_and_b32_e32 v21, 7, v1
	v_ffbh_u32_e32 v18, v21
	v_min_u32_e32 v24, 32, v18
	v_subrev_u32_e32 v18, 28, v24
	v_lshrrev_b32_e32 v22, 3, v19
	v_cmp_gt_u32_e32 vcc, 8, v19
	v_lshlrev_b64 v[18:19], v18, v[1:2]
	v_sub_u32_e32 v1, 29, v24
	v_and_b32_e32 v18, 7, v18
	v_cndmask_b32_e32 v1, v22, v1, vcc
	v_cndmask_b32_e32 v18, v21, v18, vcc
	v_lshlrev_b32_e32 v19, 24, v46
	v_bfrev_b32_e32 v21, 60
	v_lshlrev_b32_e32 v18, 20, v18
	v_and_b32_e32 v19, 0x80000000, v19
	v_lshl_add_u32 v1, v1, 23, v21
	v_or3_b32 v18, v19, v1, v18
.LBB6_5096:                             ;   in Loop: Header=BB6_3885 Depth=4
	s_or_b64 exec, exec, s[52:53]
.LBB6_5097:                             ;   in Loop: Header=BB6_3885 Depth=4
	s_or_b64 exec, exec, s[50:51]
.LBB6_5098:                             ;   in Loop: Header=BB6_3885 Depth=4
	s_or_b64 exec, exec, s[48:49]
	v_max_f32_e32 v1, v18, v18
	v_max_f32_e32 v2, v2, v2
	;; [unrolled: 1-line block ×3, first 2 shown]
	s_mov_b64 s[48:49], 0
.LBB6_5099:                             ;   in Loop: Header=BB6_3885 Depth=4
	s_and_b64 vcc, exec, s[48:49]
	s_cbranch_vccz .LBB6_5113
; %bb.5100:                             ;   in Loop: Header=BB6_3885 Depth=4
	v_mov_b32_e32 v2, 0
	v_mov_b32_e32 v1, 0
	s_and_saveexec_b64 s[48:49], s[40:41]
	s_cbranch_execz .LBB6_5106
; %bb.5101:                             ;   in Loop: Header=BB6_3885 Depth=4
	v_cmp_ne_u16_e32 vcc, s82, v0
	v_bfrev_b32_e32 v1, 1
	s_and_saveexec_b64 s[40:41], vcc
	s_cbranch_execz .LBB6_5105
; %bb.5102:                             ;   in Loop: Header=BB6_3885 Depth=4
	v_and_b32_e32 v18, 0x7f, v56
	v_cmp_ne_u32_e32 vcc, s83, v18
	v_mov_b32_e32 v1, 0x7f800001
	s_and_saveexec_b64 s[50:51], vcc
	s_cbranch_execz .LBB6_5104
; %bb.5103:                             ;   in Loop: Header=BB6_3885 Depth=4
	v_and_b32_e32 v19, 7, v0
	v_ffbh_u32_e32 v1, v19
	v_lshrrev_b32_e32 v21, 3, v18
	v_cmp_gt_u32_e32 vcc, 8, v18
	v_min_u32_e32 v18, 32, v1
	v_subrev_u32_e32 v1, 28, v18
	v_lshlrev_b64 v[0:1], v1, v[0:1]
	v_sub_u32_e32 v1, 29, v18
	v_and_b32_e32 v0, 7, v0
	v_cndmask_b32_e32 v1, v21, v1, vcc
	v_cndmask_b32_e32 v0, v19, v0, vcc
	v_lshlrev_b32_e32 v18, 24, v56
	v_bfrev_b32_e32 v19, 60
	v_lshlrev_b32_e32 v0, 20, v0
	v_and_b32_e32 v18, 0x80000000, v18
	v_lshl_add_u32 v1, v1, 23, v19
	v_or3_b32 v1, v18, v1, v0
.LBB6_5104:                             ;   in Loop: Header=BB6_3885 Depth=4
	s_or_b64 exec, exec, s[50:51]
.LBB6_5105:                             ;   in Loop: Header=BB6_3885 Depth=4
	s_or_b64 exec, exec, s[40:41]
.LBB6_5106:                             ;   in Loop: Header=BB6_3885 Depth=4
	s_or_b64 exec, exec, s[48:49]
	v_and_b32_e32 v0, 0xff, v46
	v_cmp_ne_u16_e32 vcc, 0, v0
	s_and_saveexec_b64 s[40:41], vcc
	s_cbranch_execz .LBB6_5112
; %bb.5107:                             ;   in Loop: Header=BB6_3885 Depth=4
	v_cmp_ne_u16_e32 vcc, s82, v0
	v_bfrev_b32_e32 v2, 1
	s_and_saveexec_b64 s[48:49], vcc
	s_cbranch_execz .LBB6_5111
; %bb.5108:                             ;   in Loop: Header=BB6_3885 Depth=4
	v_and_b32_e32 v18, 0x7f, v46
	v_cmp_ne_u32_e32 vcc, s83, v18
	v_mov_b32_e32 v2, 0x7f800001
	s_and_saveexec_b64 s[50:51], vcc
	s_cbranch_execz .LBB6_5110
; %bb.5109:                             ;   in Loop: Header=BB6_3885 Depth=4
	v_and_b32_e32 v2, 7, v0
	v_lshrrev_b32_e32 v21, 3, v18
	v_cmp_gt_u32_e32 vcc, 8, v18
	v_ffbh_u32_e32 v18, v2
	v_min_u32_e32 v22, 32, v18
	v_subrev_u32_e32 v18, 28, v22
	v_lshlrev_b64 v[18:19], v18, v[0:1]
	v_sub_u32_e32 v0, 29, v22
	v_and_b32_e32 v18, 7, v18
	v_cndmask_b32_e32 v0, v21, v0, vcc
	v_cndmask_b32_e32 v2, v2, v18, vcc
	v_lshlrev_b32_e32 v18, 24, v46
	v_bfrev_b32_e32 v19, 60
	v_lshlrev_b32_e32 v2, 20, v2
	v_and_b32_e32 v18, 0x80000000, v18
	v_lshl_add_u32 v0, v0, 23, v19
	v_or3_b32 v2, v18, v0, v2
.LBB6_5110:                             ;   in Loop: Header=BB6_3885 Depth=4
	s_or_b64 exec, exec, s[50:51]
.LBB6_5111:                             ;   in Loop: Header=BB6_3885 Depth=4
	s_or_b64 exec, exec, s[48:49]
.LBB6_5112:                             ;   in Loop: Header=BB6_3885 Depth=4
	s_or_b64 exec, exec, s[40:41]
	v_max_f32_e32 v0, v2, v2
	v_max_f32_e32 v1, v1, v1
	v_min_f32_e32 v1, v1, v0
.LBB6_5113:                             ;   in Loop: Header=BB6_3885 Depth=4
	v_and_b32_e32 v52, 0x7f800000, v1
	v_cmp_ne_u64_e32 vcc, s[76:77], v[52:53]
                                        ; implicit-def: $vgpr18
	s_and_saveexec_b64 s[40:41], vcc
	s_xor_b64 s[48:49], exec, s[40:41]
	s_cbranch_execz .LBB6_5131
; %bb.5114:                             ;   in Loop: Header=BB6_3885 Depth=4
	v_and_b32_e32 v52, 0x7fffffff, v1
	v_cmp_gt_u64_e32 vcc, s[78:79], v[52:53]
	v_and_b32_sdwa v19, v1, s82 dst_sel:DWORD dst_unused:UNUSED_PAD src0_sel:BYTE_3 src1_sel:DWORD
                                        ; implicit-def: $vgpr18
	s_and_saveexec_b64 s[40:41], vcc
	s_xor_b64 s[50:51], exec, s[40:41]
	s_cbranch_execz .LBB6_5128
; %bb.5115:                             ;   in Loop: Header=BB6_3885 Depth=4
	v_cmp_ne_u32_e32 vcc, 0, v1
	v_mov_b32_e32 v18, 0
	s_and_saveexec_b64 s[52:53], vcc
	s_cbranch_execz .LBB6_5127
; %bb.5116:                             ;   in Loop: Header=BB6_3885 Depth=4
	v_bfe_u32 v18, v1, 23, 8
	v_and_b32_e32 v0, 0x7fffff, v1
	v_cmp_gt_u32_e64 s[40:41], s85, v18
	v_sub_u32_e32 v1, 0x79, v18
	v_cmp_eq_u32_e32 vcc, 0, v18
	v_cndmask_b32_e64 v1, 0, v1, s[40:41]
	v_mov_b32_e32 v21, 0x78
	v_or_b32_e32 v2, 0x800000, v0
	v_cndmask_b32_e32 v21, v1, v21, vcc
	v_cndmask_b32_e32 v52, v2, v0, vcc
	v_add_u32_e32 v0, 20, v21
	v_lshlrev_b64 v[0:1], v0, -1
	v_add_u32_e32 v2, 19, v21
	v_lshlrev_b64 v[24:25], v2, 1
	v_bfi_b32 v1, v1, 0, 0
	v_bfi_b32 v0, v0, 0, v52
	v_cmp_eq_u64_e64 s[40:41], v[0:1], v[24:25]
	v_lshrrev_b64 v[0:1], v21, v[52:53]
	v_mov_b32_e32 v2, v1
	v_mov_b32_e32 v1, v0
	s_and_saveexec_b64 s[54:55], s[40:41]
; %bb.5117:                             ;   in Loop: Header=BB6_3885 Depth=4
	v_bfe_u32 v1, v0, 20, 1
	v_add_co_u32_e64 v1, s[40:41], v0, v1
	v_add_co_u32_e64 v1, s[40:41], -1, v1
; %bb.5118:                             ;   in Loop: Header=BB6_3885 Depth=4
	s_or_b64 exec, exec, s[54:55]
	v_add_u32_e32 v2, 0xffffff81, v18
	v_mov_b32_e32 v18, 0xffffff82
	v_cndmask_b32_e32 v2, v2, v18, vcc
	v_lshrrev_b32_e32 v18, 23, v0
	v_add3_u32 v21, v21, v2, v18
	v_add_u32_e32 v18, 6, v21
	v_and_b32_e32 v1, 0xfffff, v1
	v_add_u32_e32 v52, v1, v0
	v_cmp_ne_u32_e32 vcc, 0, v18
                                        ; implicit-def: $vgpr0_vgpr1
                                        ; implicit-def: $vgpr2
	s_and_saveexec_b64 s[40:41], vcc
	s_xor_b64 s[40:41], exec, s[40:41]
; %bb.5119:                             ;   in Loop: Header=BB6_3885 Depth=4
	v_cmp_lt_u64_e32 vcc, s[88:89], v[52:53]
	v_add_u32_e32 v0, 7, v21
	v_cndmask_b32_e32 v2, v18, v0, vcc
	v_cndmask_b32_e64 v0, 0, 1, vcc
	v_lshrrev_b64 v[0:1], v0, v[52:53]
; %bb.5120:                             ;   in Loop: Header=BB6_3885 Depth=4
	s_andn2_saveexec_b64 s[40:41], s[40:41]
; %bb.5121:                             ;   in Loop: Header=BB6_3885 Depth=4
	v_mov_b32_e32 v0, v52
	v_bfe_u32 v2, v52, 23, 1
	v_mov_b32_e32 v1, v53
; %bb.5122:                             ;   in Loop: Header=BB6_3885 Depth=4
	s_or_b64 exec, exec, s[40:41]
	v_lshrrev_b64 v[0:1], 20, v[0:1]
	v_cmp_gt_i32_e32 vcc, 16, v2
	v_cndmask_b32_e32 v1, 0, v1, vcc
	v_cndmask_b32_e32 v0, 7, v0, vcc
	v_cmp_ne_u64_e32 vcc, 0, v[0:1]
	v_cmp_ne_u32_e64 s[40:41], 0, v2
	s_or_b64 s[40:41], s[40:41], vcc
                                        ; implicit-def: $vgpr18
	s_and_saveexec_b64 vcc, s[40:41]
	s_xor_b64 s[40:41], exec, vcc
; %bb.5123:                             ;   in Loop: Header=BB6_3885 Depth=4
	v_min_i32_e32 v1, 15, v2
	v_lshl_or_b32 v1, v1, 3, v19
	v_and_or_b32 v18, v0, 7, v1
                                        ; implicit-def: $vgpr19
; %bb.5124:                             ;   in Loop: Header=BB6_3885 Depth=4
	s_andn2_saveexec_b64 s[40:41], s[40:41]
; %bb.5125:                             ;   in Loop: Header=BB6_3885 Depth=4
	v_mov_b32_e32 v18, v19
; %bb.5126:                             ;   in Loop: Header=BB6_3885 Depth=4
	s_or_b64 exec, exec, s[40:41]
.LBB6_5127:                             ;   in Loop: Header=BB6_3885 Depth=4
	s_or_b64 exec, exec, s[52:53]
                                        ; implicit-def: $vgpr19
.LBB6_5128:                             ;   in Loop: Header=BB6_3885 Depth=4
	s_andn2_saveexec_b64 s[40:41], s[50:51]
; %bb.5129:                             ;   in Loop: Header=BB6_3885 Depth=4
	v_or_b32_e32 v18, 0x7e, v19
; %bb.5130:                             ;   in Loop: Header=BB6_3885 Depth=4
	s_or_b64 exec, exec, s[40:41]
                                        ; implicit-def: $vgpr1
.LBB6_5131:                             ;   in Loop: Header=BB6_3885 Depth=4
	s_andn2_saveexec_b64 s[40:41], s[48:49]
; %bb.5132:                             ;   in Loop: Header=BB6_3885 Depth=4
	v_or_b32_sdwa v18, v1, s83 dst_sel:DWORD dst_unused:UNUSED_PAD src0_sel:BYTE_3 src1_sel:DWORD
; %bb.5133:                             ;   in Loop: Header=BB6_3885 Depth=4
	s_or_b64 exec, exec, s[40:41]
	s_waitcnt vmcnt(1)
	v_and_b32_e32 v0, 0xff, v42
	v_cmp_ne_u16_e64 s[40:41], 0, v0
	s_and_b64 vcc, exec, s[28:29]
	s_mov_b64 s[48:49], -1
                                        ; implicit-def: $vgpr1
	s_cbranch_vccnz .LBB6_5147
; %bb.5134:                             ;   in Loop: Header=BB6_3885 Depth=4
	v_mov_b32_e32 v19, 0
	v_mov_b32_e32 v2, 0
	s_and_saveexec_b64 s[48:49], s[40:41]
	s_cbranch_execz .LBB6_5140
; %bb.5135:                             ;   in Loop: Header=BB6_3885 Depth=4
	v_cmp_ne_u16_e32 vcc, s82, v0
	v_bfrev_b32_e32 v2, 1
	s_and_saveexec_b64 s[50:51], vcc
	s_cbranch_execz .LBB6_5139
; %bb.5136:                             ;   in Loop: Header=BB6_3885 Depth=4
	v_and_b32_e32 v1, 0x7f, v42
	v_cmp_ne_u32_e32 vcc, s83, v1
	v_mov_b32_e32 v2, 0x7f800001
	s_and_saveexec_b64 s[52:53], vcc
	s_cbranch_execz .LBB6_5138
; %bb.5137:                             ;   in Loop: Header=BB6_3885 Depth=4
	v_and_b32_e32 v21, 7, v0
	v_lshrrev_b32_e32 v22, 3, v1
	v_cmp_gt_u32_e32 vcc, 8, v1
	v_ffbh_u32_e32 v1, v21
	v_min_u32_e32 v24, 32, v1
	v_subrev_u32_e32 v1, 28, v24
	v_lshlrev_b64 v[1:2], v1, v[0:1]
	v_sub_u32_e32 v2, 29, v24
	v_and_b32_e32 v1, 7, v1
	v_cndmask_b32_e32 v2, v22, v2, vcc
	v_cndmask_b32_e32 v1, v21, v1, vcc
	v_lshlrev_b32_e32 v21, 24, v42
	v_bfrev_b32_e32 v22, 60
	v_lshlrev_b32_e32 v1, 20, v1
	v_and_b32_e32 v21, 0x80000000, v21
	v_lshl_add_u32 v2, v2, 23, v22
	v_or3_b32 v2, v21, v2, v1
.LBB6_5138:                             ;   in Loop: Header=BB6_3885 Depth=4
	s_or_b64 exec, exec, s[52:53]
.LBB6_5139:                             ;   in Loop: Header=BB6_3885 Depth=4
	s_or_b64 exec, exec, s[50:51]
.LBB6_5140:                             ;   in Loop: Header=BB6_3885 Depth=4
	s_or_b64 exec, exec, s[48:49]
	v_and_b32_e32 v1, 0xff, v27
	v_cmp_ne_u16_e32 vcc, 0, v1
	s_and_saveexec_b64 s[48:49], vcc
	s_cbranch_execz .LBB6_5146
; %bb.5141:                             ;   in Loop: Header=BB6_3885 Depth=4
	v_cmp_ne_u16_e32 vcc, s82, v1
	v_bfrev_b32_e32 v19, 1
	s_and_saveexec_b64 s[50:51], vcc
	s_cbranch_execz .LBB6_5145
; %bb.5142:                             ;   in Loop: Header=BB6_3885 Depth=4
	v_and_b32_e32 v21, 0x7f, v27
	v_cmp_ne_u32_e32 vcc, s83, v21
	v_mov_b32_e32 v19, 0x7f800001
	s_and_saveexec_b64 s[52:53], vcc
	s_cbranch_execz .LBB6_5144
; %bb.5143:                             ;   in Loop: Header=BB6_3885 Depth=4
	v_and_b32_e32 v19, 7, v1
	v_lshrrev_b32_e32 v24, 3, v21
	v_cmp_gt_u32_e32 vcc, 8, v21
	v_ffbh_u32_e32 v21, v19
	v_min_u32_e32 v25, 32, v21
	v_subrev_u32_e32 v21, 28, v25
	v_lshlrev_b64 v[21:22], v21, v[1:2]
	v_sub_u32_e32 v1, 29, v25
	v_and_b32_e32 v21, 7, v21
	v_cndmask_b32_e32 v1, v24, v1, vcc
	v_cndmask_b32_e32 v19, v19, v21, vcc
	v_lshlrev_b32_e32 v21, 24, v27
	v_bfrev_b32_e32 v22, 60
	v_lshlrev_b32_e32 v19, 20, v19
	v_and_b32_e32 v21, 0x80000000, v21
	v_lshl_add_u32 v1, v1, 23, v22
	v_or3_b32 v19, v21, v1, v19
.LBB6_5144:                             ;   in Loop: Header=BB6_3885 Depth=4
	s_or_b64 exec, exec, s[52:53]
.LBB6_5145:                             ;   in Loop: Header=BB6_3885 Depth=4
	s_or_b64 exec, exec, s[50:51]
.LBB6_5146:                             ;   in Loop: Header=BB6_3885 Depth=4
	s_or_b64 exec, exec, s[48:49]
	v_max_f32_e32 v1, v19, v19
	v_max_f32_e32 v2, v2, v2
	;; [unrolled: 1-line block ×3, first 2 shown]
	s_mov_b64 s[48:49], 0
.LBB6_5147:                             ;   in Loop: Header=BB6_3885 Depth=4
	s_and_b64 vcc, exec, s[48:49]
	s_cbranch_vccz .LBB6_5161
; %bb.5148:                             ;   in Loop: Header=BB6_3885 Depth=4
	v_mov_b32_e32 v2, 0
	v_mov_b32_e32 v1, 0
	s_and_saveexec_b64 s[48:49], s[40:41]
	s_cbranch_execz .LBB6_5154
; %bb.5149:                             ;   in Loop: Header=BB6_3885 Depth=4
	v_cmp_ne_u16_e32 vcc, s82, v0
	v_bfrev_b32_e32 v1, 1
	s_and_saveexec_b64 s[40:41], vcc
	s_cbranch_execz .LBB6_5153
; %bb.5150:                             ;   in Loop: Header=BB6_3885 Depth=4
	v_and_b32_e32 v19, 0x7f, v42
	v_cmp_ne_u32_e32 vcc, s83, v19
	v_mov_b32_e32 v1, 0x7f800001
	s_and_saveexec_b64 s[50:51], vcc
	s_cbranch_execz .LBB6_5152
; %bb.5151:                             ;   in Loop: Header=BB6_3885 Depth=4
	v_and_b32_e32 v21, 7, v0
	v_ffbh_u32_e32 v1, v21
	v_lshrrev_b32_e32 v22, 3, v19
	v_cmp_gt_u32_e32 vcc, 8, v19
	v_min_u32_e32 v19, 32, v1
	v_subrev_u32_e32 v1, 28, v19
	v_lshlrev_b64 v[0:1], v1, v[0:1]
	v_sub_u32_e32 v1, 29, v19
	v_and_b32_e32 v0, 7, v0
	v_cndmask_b32_e32 v1, v22, v1, vcc
	v_cndmask_b32_e32 v0, v21, v0, vcc
	v_lshlrev_b32_e32 v19, 24, v42
	v_bfrev_b32_e32 v21, 60
	v_lshlrev_b32_e32 v0, 20, v0
	v_and_b32_e32 v19, 0x80000000, v19
	v_lshl_add_u32 v1, v1, 23, v21
	v_or3_b32 v1, v19, v1, v0
.LBB6_5152:                             ;   in Loop: Header=BB6_3885 Depth=4
	s_or_b64 exec, exec, s[50:51]
.LBB6_5153:                             ;   in Loop: Header=BB6_3885 Depth=4
	s_or_b64 exec, exec, s[40:41]
.LBB6_5154:                             ;   in Loop: Header=BB6_3885 Depth=4
	s_or_b64 exec, exec, s[48:49]
	v_and_b32_e32 v0, 0xff, v27
	v_cmp_ne_u16_e32 vcc, 0, v0
	s_and_saveexec_b64 s[40:41], vcc
	s_cbranch_execz .LBB6_5160
; %bb.5155:                             ;   in Loop: Header=BB6_3885 Depth=4
	v_cmp_ne_u16_e32 vcc, s82, v0
	v_bfrev_b32_e32 v2, 1
	s_and_saveexec_b64 s[48:49], vcc
	s_cbranch_execz .LBB6_5159
; %bb.5156:                             ;   in Loop: Header=BB6_3885 Depth=4
	v_and_b32_e32 v19, 0x7f, v27
	v_cmp_ne_u32_e32 vcc, s83, v19
	v_mov_b32_e32 v2, 0x7f800001
	s_and_saveexec_b64 s[50:51], vcc
	s_cbranch_execz .LBB6_5158
; %bb.5157:                             ;   in Loop: Header=BB6_3885 Depth=4
	v_and_b32_e32 v2, 7, v0
	v_lshrrev_b32_e32 v24, 3, v19
	v_cmp_gt_u32_e32 vcc, 8, v19
	v_ffbh_u32_e32 v19, v2
	v_min_u32_e32 v19, 32, v19
	v_subrev_u32_e32 v21, 28, v19
	v_lshlrev_b64 v[21:22], v21, v[0:1]
	v_sub_u32_e32 v0, 29, v19
	v_and_b32_e32 v19, 7, v21
	v_cndmask_b32_e32 v0, v24, v0, vcc
	v_cndmask_b32_e32 v2, v2, v19, vcc
	v_lshlrev_b32_e32 v19, 24, v27
	v_bfrev_b32_e32 v21, 60
	v_lshlrev_b32_e32 v2, 20, v2
	v_and_b32_e32 v19, 0x80000000, v19
	v_lshl_add_u32 v0, v0, 23, v21
	v_or3_b32 v2, v19, v0, v2
.LBB6_5158:                             ;   in Loop: Header=BB6_3885 Depth=4
	s_or_b64 exec, exec, s[50:51]
.LBB6_5159:                             ;   in Loop: Header=BB6_3885 Depth=4
	s_or_b64 exec, exec, s[48:49]
.LBB6_5160:                             ;   in Loop: Header=BB6_3885 Depth=4
	s_or_b64 exec, exec, s[40:41]
	v_max_f32_e32 v0, v2, v2
	v_max_f32_e32 v1, v1, v1
	v_min_f32_e32 v1, v1, v0
.LBB6_5161:                             ;   in Loop: Header=BB6_3885 Depth=4
	v_and_b32_e32 v52, 0x7f800000, v1
	v_cmp_ne_u64_e32 vcc, s[76:77], v[52:53]
                                        ; implicit-def: $vgpr19
	s_and_saveexec_b64 s[40:41], vcc
	s_xor_b64 s[48:49], exec, s[40:41]
	s_cbranch_execz .LBB6_5179
; %bb.5162:                             ;   in Loop: Header=BB6_3885 Depth=4
	v_and_b32_e32 v52, 0x7fffffff, v1
	v_cmp_gt_u64_e32 vcc, s[78:79], v[52:53]
	v_and_b32_sdwa v21, v1, s82 dst_sel:DWORD dst_unused:UNUSED_PAD src0_sel:BYTE_3 src1_sel:DWORD
                                        ; implicit-def: $vgpr19
	s_and_saveexec_b64 s[40:41], vcc
	s_xor_b64 s[50:51], exec, s[40:41]
	s_cbranch_execz .LBB6_5176
; %bb.5163:                             ;   in Loop: Header=BB6_3885 Depth=4
	v_cmp_ne_u32_e32 vcc, 0, v1
	v_mov_b32_e32 v19, 0
	s_and_saveexec_b64 s[52:53], vcc
	s_cbranch_execz .LBB6_5175
; %bb.5164:                             ;   in Loop: Header=BB6_3885 Depth=4
	v_bfe_u32 v19, v1, 23, 8
	v_and_b32_e32 v0, 0x7fffff, v1
	v_cmp_gt_u32_e64 s[40:41], s85, v19
	v_sub_u32_e32 v1, 0x79, v19
	v_cmp_eq_u32_e32 vcc, 0, v19
	v_cndmask_b32_e64 v1, 0, v1, s[40:41]
	v_mov_b32_e32 v22, 0x78
	v_or_b32_e32 v2, 0x800000, v0
	v_cndmask_b32_e32 v22, v1, v22, vcc
	v_cndmask_b32_e32 v52, v2, v0, vcc
	v_add_u32_e32 v0, 20, v22
	v_lshlrev_b64 v[0:1], v0, -1
	v_add_u32_e32 v2, 19, v22
	v_lshlrev_b64 v[24:25], v2, 1
	v_bfi_b32 v1, v1, 0, 0
	v_bfi_b32 v0, v0, 0, v52
	v_cmp_eq_u64_e64 s[40:41], v[0:1], v[24:25]
	v_lshrrev_b64 v[0:1], v22, v[52:53]
	v_mov_b32_e32 v2, v1
	v_mov_b32_e32 v1, v0
	s_and_saveexec_b64 s[54:55], s[40:41]
; %bb.5165:                             ;   in Loop: Header=BB6_3885 Depth=4
	v_bfe_u32 v1, v0, 20, 1
	v_add_co_u32_e64 v1, s[40:41], v0, v1
	v_add_co_u32_e64 v1, s[40:41], -1, v1
; %bb.5166:                             ;   in Loop: Header=BB6_3885 Depth=4
	s_or_b64 exec, exec, s[54:55]
	v_add_u32_e32 v2, 0xffffff81, v19
	v_mov_b32_e32 v19, 0xffffff82
	v_cndmask_b32_e32 v2, v2, v19, vcc
	v_lshrrev_b32_e32 v19, 23, v0
	v_add3_u32 v22, v22, v2, v19
	v_add_u32_e32 v19, 6, v22
	v_and_b32_e32 v1, 0xfffff, v1
	v_add_u32_e32 v52, v1, v0
	v_cmp_ne_u32_e32 vcc, 0, v19
                                        ; implicit-def: $vgpr0_vgpr1
                                        ; implicit-def: $vgpr2
	s_and_saveexec_b64 s[40:41], vcc
	s_xor_b64 s[40:41], exec, s[40:41]
; %bb.5167:                             ;   in Loop: Header=BB6_3885 Depth=4
	v_cmp_lt_u64_e32 vcc, s[88:89], v[52:53]
	v_add_u32_e32 v0, 7, v22
	v_cndmask_b32_e32 v2, v19, v0, vcc
	v_cndmask_b32_e64 v0, 0, 1, vcc
	v_lshrrev_b64 v[0:1], v0, v[52:53]
; %bb.5168:                             ;   in Loop: Header=BB6_3885 Depth=4
	s_andn2_saveexec_b64 s[40:41], s[40:41]
; %bb.5169:                             ;   in Loop: Header=BB6_3885 Depth=4
	v_mov_b32_e32 v0, v52
	v_bfe_u32 v2, v52, 23, 1
	v_mov_b32_e32 v1, v53
; %bb.5170:                             ;   in Loop: Header=BB6_3885 Depth=4
	s_or_b64 exec, exec, s[40:41]
	v_lshrrev_b64 v[0:1], 20, v[0:1]
	v_cmp_gt_i32_e32 vcc, 16, v2
	v_cndmask_b32_e32 v1, 0, v1, vcc
	v_cndmask_b32_e32 v0, 7, v0, vcc
	v_cmp_ne_u64_e32 vcc, 0, v[0:1]
	v_cmp_ne_u32_e64 s[40:41], 0, v2
	s_or_b64 s[40:41], s[40:41], vcc
                                        ; implicit-def: $vgpr19
	s_and_saveexec_b64 vcc, s[40:41]
	s_xor_b64 s[40:41], exec, vcc
; %bb.5171:                             ;   in Loop: Header=BB6_3885 Depth=4
	v_min_i32_e32 v1, 15, v2
	v_lshl_or_b32 v1, v1, 3, v21
	v_and_or_b32 v19, v0, 7, v1
                                        ; implicit-def: $vgpr21
; %bb.5172:                             ;   in Loop: Header=BB6_3885 Depth=4
	s_andn2_saveexec_b64 s[40:41], s[40:41]
; %bb.5173:                             ;   in Loop: Header=BB6_3885 Depth=4
	v_mov_b32_e32 v19, v21
; %bb.5174:                             ;   in Loop: Header=BB6_3885 Depth=4
	s_or_b64 exec, exec, s[40:41]
.LBB6_5175:                             ;   in Loop: Header=BB6_3885 Depth=4
	s_or_b64 exec, exec, s[52:53]
                                        ; implicit-def: $vgpr21
.LBB6_5176:                             ;   in Loop: Header=BB6_3885 Depth=4
	s_andn2_saveexec_b64 s[40:41], s[50:51]
; %bb.5177:                             ;   in Loop: Header=BB6_3885 Depth=4
	v_or_b32_e32 v19, 0x7e, v21
; %bb.5178:                             ;   in Loop: Header=BB6_3885 Depth=4
	s_or_b64 exec, exec, s[40:41]
                                        ; implicit-def: $vgpr1
.LBB6_5179:                             ;   in Loop: Header=BB6_3885 Depth=4
	s_andn2_saveexec_b64 s[40:41], s[48:49]
; %bb.5180:                             ;   in Loop: Header=BB6_3885 Depth=4
	v_or_b32_sdwa v19, v1, s83 dst_sel:DWORD dst_unused:UNUSED_PAD src0_sel:BYTE_3 src1_sel:DWORD
; %bb.5181:                             ;   in Loop: Header=BB6_3885 Depth=4
	s_or_b64 exec, exec, s[40:41]
	v_and_b32_e32 v0, 0xff, v55
	v_cmp_ne_u16_e64 s[40:41], 0, v0
	s_and_b64 vcc, exec, s[28:29]
	s_mov_b64 s[48:49], -1
                                        ; implicit-def: $vgpr1
	s_cbranch_vccnz .LBB6_5195
; %bb.5182:                             ;   in Loop: Header=BB6_3885 Depth=4
	v_mov_b32_e32 v21, 0
	v_mov_b32_e32 v2, 0
	s_and_saveexec_b64 s[48:49], s[40:41]
	s_cbranch_execz .LBB6_5188
; %bb.5183:                             ;   in Loop: Header=BB6_3885 Depth=4
	v_cmp_ne_u16_e32 vcc, s82, v0
	v_bfrev_b32_e32 v2, 1
	s_and_saveexec_b64 s[50:51], vcc
	s_cbranch_execz .LBB6_5187
; %bb.5184:                             ;   in Loop: Header=BB6_3885 Depth=4
	v_and_b32_e32 v1, 0x7f, v55
	v_cmp_ne_u32_e32 vcc, s83, v1
	v_mov_b32_e32 v2, 0x7f800001
	s_and_saveexec_b64 s[52:53], vcc
	s_cbranch_execz .LBB6_5186
; %bb.5185:                             ;   in Loop: Header=BB6_3885 Depth=4
	v_and_b32_e32 v22, 7, v0
	v_lshrrev_b32_e32 v24, 3, v1
	v_cmp_gt_u32_e32 vcc, 8, v1
	v_ffbh_u32_e32 v1, v22
	v_min_u32_e32 v25, 32, v1
	v_subrev_u32_e32 v1, 28, v25
	v_lshlrev_b64 v[1:2], v1, v[0:1]
	v_sub_u32_e32 v2, 29, v25
	v_and_b32_e32 v1, 7, v1
	v_cndmask_b32_e32 v2, v24, v2, vcc
	v_cndmask_b32_e32 v1, v22, v1, vcc
	v_lshlrev_b32_e32 v22, 24, v55
	v_bfrev_b32_e32 v24, 60
	v_lshlrev_b32_e32 v1, 20, v1
	v_and_b32_e32 v22, 0x80000000, v22
	v_lshl_add_u32 v2, v2, 23, v24
	v_or3_b32 v2, v22, v2, v1
.LBB6_5186:                             ;   in Loop: Header=BB6_3885 Depth=4
	s_or_b64 exec, exec, s[52:53]
.LBB6_5187:                             ;   in Loop: Header=BB6_3885 Depth=4
	s_or_b64 exec, exec, s[50:51]
.LBB6_5188:                             ;   in Loop: Header=BB6_3885 Depth=4
	s_or_b64 exec, exec, s[48:49]
	v_and_b32_e32 v1, 0xff, v28
	v_cmp_ne_u16_e32 vcc, 0, v1
	s_and_saveexec_b64 s[48:49], vcc
	s_cbranch_execz .LBB6_5194
; %bb.5189:                             ;   in Loop: Header=BB6_3885 Depth=4
	v_cmp_ne_u16_e32 vcc, s82, v1
	v_bfrev_b32_e32 v21, 1
	s_and_saveexec_b64 s[50:51], vcc
	s_cbranch_execz .LBB6_5193
; %bb.5190:                             ;   in Loop: Header=BB6_3885 Depth=4
	v_and_b32_e32 v22, 0x7f, v28
	v_cmp_ne_u32_e32 vcc, s83, v22
	v_mov_b32_e32 v21, 0x7f800001
	s_and_saveexec_b64 s[52:53], vcc
	s_cbranch_execz .LBB6_5192
; %bb.5191:                             ;   in Loop: Header=BB6_3885 Depth=4
	v_and_b32_e32 v24, 7, v1
	v_ffbh_u32_e32 v21, v24
	v_min_u32_e32 v27, 32, v21
	v_subrev_u32_e32 v21, 28, v27
	v_lshrrev_b32_e32 v25, 3, v22
	v_cmp_gt_u32_e32 vcc, 8, v22
	v_lshlrev_b64 v[21:22], v21, v[1:2]
	v_sub_u32_e32 v1, 29, v27
	v_and_b32_e32 v21, 7, v21
	v_cndmask_b32_e32 v1, v25, v1, vcc
	v_cndmask_b32_e32 v21, v24, v21, vcc
	v_lshlrev_b32_e32 v22, 24, v28
	v_bfrev_b32_e32 v24, 60
	v_lshlrev_b32_e32 v21, 20, v21
	v_and_b32_e32 v22, 0x80000000, v22
	v_lshl_add_u32 v1, v1, 23, v24
	v_or3_b32 v21, v22, v1, v21
.LBB6_5192:                             ;   in Loop: Header=BB6_3885 Depth=4
	s_or_b64 exec, exec, s[52:53]
.LBB6_5193:                             ;   in Loop: Header=BB6_3885 Depth=4
	s_or_b64 exec, exec, s[50:51]
.LBB6_5194:                             ;   in Loop: Header=BB6_3885 Depth=4
	s_or_b64 exec, exec, s[48:49]
	v_max_f32_e32 v1, v21, v21
	v_max_f32_e32 v2, v2, v2
	;; [unrolled: 1-line block ×3, first 2 shown]
	s_mov_b64 s[48:49], 0
.LBB6_5195:                             ;   in Loop: Header=BB6_3885 Depth=4
	s_and_b64 vcc, exec, s[48:49]
	s_cbranch_vccz .LBB6_5209
; %bb.5196:                             ;   in Loop: Header=BB6_3885 Depth=4
	v_mov_b32_e32 v2, 0
	v_mov_b32_e32 v1, 0
	s_and_saveexec_b64 s[48:49], s[40:41]
	s_cbranch_execz .LBB6_5202
; %bb.5197:                             ;   in Loop: Header=BB6_3885 Depth=4
	v_cmp_ne_u16_e32 vcc, s82, v0
	v_bfrev_b32_e32 v1, 1
	s_and_saveexec_b64 s[40:41], vcc
	s_cbranch_execz .LBB6_5201
; %bb.5198:                             ;   in Loop: Header=BB6_3885 Depth=4
	v_and_b32_e32 v21, 0x7f, v55
	v_cmp_ne_u32_e32 vcc, s83, v21
	v_mov_b32_e32 v1, 0x7f800001
	s_and_saveexec_b64 s[50:51], vcc
	s_cbranch_execz .LBB6_5200
; %bb.5199:                             ;   in Loop: Header=BB6_3885 Depth=4
	v_and_b32_e32 v22, 7, v0
	v_ffbh_u32_e32 v1, v22
	v_lshrrev_b32_e32 v24, 3, v21
	v_cmp_gt_u32_e32 vcc, 8, v21
	v_min_u32_e32 v21, 32, v1
	v_subrev_u32_e32 v1, 28, v21
	v_lshlrev_b64 v[0:1], v1, v[0:1]
	v_sub_u32_e32 v1, 29, v21
	v_and_b32_e32 v0, 7, v0
	v_cndmask_b32_e32 v1, v24, v1, vcc
	v_cndmask_b32_e32 v0, v22, v0, vcc
	v_lshlrev_b32_e32 v21, 24, v55
	v_bfrev_b32_e32 v22, 60
	v_lshlrev_b32_e32 v0, 20, v0
	v_and_b32_e32 v21, 0x80000000, v21
	v_lshl_add_u32 v1, v1, 23, v22
	v_or3_b32 v1, v21, v1, v0
.LBB6_5200:                             ;   in Loop: Header=BB6_3885 Depth=4
	s_or_b64 exec, exec, s[50:51]
.LBB6_5201:                             ;   in Loop: Header=BB6_3885 Depth=4
	s_or_b64 exec, exec, s[40:41]
.LBB6_5202:                             ;   in Loop: Header=BB6_3885 Depth=4
	s_or_b64 exec, exec, s[48:49]
	v_and_b32_e32 v0, 0xff, v28
	v_cmp_ne_u16_e32 vcc, 0, v0
	s_and_saveexec_b64 s[40:41], vcc
	s_cbranch_execz .LBB6_5208
; %bb.5203:                             ;   in Loop: Header=BB6_3885 Depth=4
	v_cmp_ne_u16_e32 vcc, s82, v0
	v_bfrev_b32_e32 v2, 1
	s_and_saveexec_b64 s[48:49], vcc
	s_cbranch_execz .LBB6_5207
; %bb.5204:                             ;   in Loop: Header=BB6_3885 Depth=4
	v_and_b32_e32 v21, 0x7f, v28
	v_cmp_ne_u32_e32 vcc, s83, v21
	v_mov_b32_e32 v2, 0x7f800001
	s_and_saveexec_b64 s[50:51], vcc
	s_cbranch_execz .LBB6_5206
; %bb.5205:                             ;   in Loop: Header=BB6_3885 Depth=4
	v_and_b32_e32 v2, 7, v0
	v_lshrrev_b32_e32 v24, 3, v21
	v_cmp_gt_u32_e32 vcc, 8, v21
	v_ffbh_u32_e32 v21, v2
	v_min_u32_e32 v25, 32, v21
	v_subrev_u32_e32 v21, 28, v25
	v_lshlrev_b64 v[21:22], v21, v[0:1]
	v_sub_u32_e32 v0, 29, v25
	v_and_b32_e32 v21, 7, v21
	v_cndmask_b32_e32 v0, v24, v0, vcc
	v_cndmask_b32_e32 v2, v2, v21, vcc
	v_lshlrev_b32_e32 v21, 24, v28
	v_bfrev_b32_e32 v22, 60
	v_lshlrev_b32_e32 v2, 20, v2
	v_and_b32_e32 v21, 0x80000000, v21
	v_lshl_add_u32 v0, v0, 23, v22
	v_or3_b32 v2, v21, v0, v2
.LBB6_5206:                             ;   in Loop: Header=BB6_3885 Depth=4
	s_or_b64 exec, exec, s[50:51]
.LBB6_5207:                             ;   in Loop: Header=BB6_3885 Depth=4
	s_or_b64 exec, exec, s[48:49]
.LBB6_5208:                             ;   in Loop: Header=BB6_3885 Depth=4
	s_or_b64 exec, exec, s[40:41]
	v_max_f32_e32 v0, v2, v2
	v_max_f32_e32 v1, v1, v1
	v_min_f32_e32 v1, v1, v0
.LBB6_5209:                             ;   in Loop: Header=BB6_3885 Depth=4
	v_and_b32_e32 v52, 0x7f800000, v1
	v_cmp_ne_u64_e32 vcc, s[76:77], v[52:53]
                                        ; implicit-def: $vgpr27
	s_and_saveexec_b64 s[40:41], vcc
	s_xor_b64 s[48:49], exec, s[40:41]
	s_cbranch_execz .LBB6_5227
; %bb.5210:                             ;   in Loop: Header=BB6_3885 Depth=4
	v_and_b32_e32 v52, 0x7fffffff, v1
	v_cmp_gt_u64_e32 vcc, s[78:79], v[52:53]
	v_and_b32_sdwa v21, v1, s82 dst_sel:DWORD dst_unused:UNUSED_PAD src0_sel:BYTE_3 src1_sel:DWORD
                                        ; implicit-def: $vgpr27
	s_and_saveexec_b64 s[40:41], vcc
	s_xor_b64 s[50:51], exec, s[40:41]
	s_cbranch_execz .LBB6_5224
; %bb.5211:                             ;   in Loop: Header=BB6_3885 Depth=4
	v_cmp_ne_u32_e32 vcc, 0, v1
	v_mov_b32_e32 v27, 0
	s_and_saveexec_b64 s[52:53], vcc
	s_cbranch_execz .LBB6_5223
; %bb.5212:                             ;   in Loop: Header=BB6_3885 Depth=4
	v_bfe_u32 v22, v1, 23, 8
	v_and_b32_e32 v0, 0x7fffff, v1
	v_cmp_gt_u32_e64 s[40:41], s85, v22
	v_sub_u32_e32 v1, 0x79, v22
	v_cmp_eq_u32_e32 vcc, 0, v22
	v_cndmask_b32_e64 v1, 0, v1, s[40:41]
	v_mov_b32_e32 v24, 0x78
	v_or_b32_e32 v2, 0x800000, v0
	v_cndmask_b32_e32 v24, v1, v24, vcc
	v_cndmask_b32_e32 v52, v2, v0, vcc
	v_add_u32_e32 v0, 20, v24
	v_lshlrev_b64 v[0:1], v0, -1
	v_add_u32_e32 v2, 19, v24
	v_lshlrev_b64 v[27:28], v2, 1
	v_bfi_b32 v1, v1, 0, 0
	v_bfi_b32 v0, v0, 0, v52
	v_cmp_eq_u64_e64 s[40:41], v[0:1], v[27:28]
	v_lshrrev_b64 v[0:1], v24, v[52:53]
	v_mov_b32_e32 v2, v1
	v_mov_b32_e32 v1, v0
	s_and_saveexec_b64 s[54:55], s[40:41]
; %bb.5213:                             ;   in Loop: Header=BB6_3885 Depth=4
	v_bfe_u32 v1, v0, 20, 1
	v_add_co_u32_e64 v1, s[40:41], v0, v1
	v_add_co_u32_e64 v1, s[40:41], -1, v1
; %bb.5214:                             ;   in Loop: Header=BB6_3885 Depth=4
	s_or_b64 exec, exec, s[54:55]
	v_add_u32_e32 v2, 0xffffff81, v22
	v_mov_b32_e32 v22, 0xffffff82
	v_cndmask_b32_e32 v2, v2, v22, vcc
	v_lshrrev_b32_e32 v22, 23, v0
	v_add3_u32 v24, v24, v2, v22
	v_add_u32_e32 v22, 6, v24
	v_and_b32_e32 v1, 0xfffff, v1
	v_add_u32_e32 v52, v1, v0
	v_cmp_ne_u32_e32 vcc, 0, v22
                                        ; implicit-def: $vgpr0_vgpr1
                                        ; implicit-def: $vgpr2
	s_and_saveexec_b64 s[40:41], vcc
	s_xor_b64 s[40:41], exec, s[40:41]
; %bb.5215:                             ;   in Loop: Header=BB6_3885 Depth=4
	v_cmp_lt_u64_e32 vcc, s[88:89], v[52:53]
	v_add_u32_e32 v0, 7, v24
	v_cndmask_b32_e32 v2, v22, v0, vcc
	v_cndmask_b32_e64 v0, 0, 1, vcc
	v_lshrrev_b64 v[0:1], v0, v[52:53]
; %bb.5216:                             ;   in Loop: Header=BB6_3885 Depth=4
	s_andn2_saveexec_b64 s[40:41], s[40:41]
; %bb.5217:                             ;   in Loop: Header=BB6_3885 Depth=4
	v_mov_b32_e32 v0, v52
	v_bfe_u32 v2, v52, 23, 1
	v_mov_b32_e32 v1, v53
; %bb.5218:                             ;   in Loop: Header=BB6_3885 Depth=4
	s_or_b64 exec, exec, s[40:41]
	v_lshrrev_b64 v[0:1], 20, v[0:1]
	v_cmp_gt_i32_e32 vcc, 16, v2
	v_cndmask_b32_e32 v1, 0, v1, vcc
	v_cndmask_b32_e32 v0, 7, v0, vcc
	v_cmp_ne_u64_e32 vcc, 0, v[0:1]
	v_cmp_ne_u32_e64 s[40:41], 0, v2
	s_or_b64 s[40:41], s[40:41], vcc
                                        ; implicit-def: $vgpr27
	s_and_saveexec_b64 vcc, s[40:41]
	s_xor_b64 s[40:41], exec, vcc
; %bb.5219:                             ;   in Loop: Header=BB6_3885 Depth=4
	v_min_i32_e32 v1, 15, v2
	v_lshl_or_b32 v1, v1, 3, v21
	v_and_or_b32 v27, v0, 7, v1
                                        ; implicit-def: $vgpr21
; %bb.5220:                             ;   in Loop: Header=BB6_3885 Depth=4
	s_andn2_saveexec_b64 s[40:41], s[40:41]
; %bb.5221:                             ;   in Loop: Header=BB6_3885 Depth=4
	v_mov_b32_e32 v27, v21
; %bb.5222:                             ;   in Loop: Header=BB6_3885 Depth=4
	s_or_b64 exec, exec, s[40:41]
.LBB6_5223:                             ;   in Loop: Header=BB6_3885 Depth=4
	s_or_b64 exec, exec, s[52:53]
                                        ; implicit-def: $vgpr21
.LBB6_5224:                             ;   in Loop: Header=BB6_3885 Depth=4
	s_andn2_saveexec_b64 s[40:41], s[50:51]
; %bb.5225:                             ;   in Loop: Header=BB6_3885 Depth=4
	v_or_b32_e32 v27, 0x7e, v21
; %bb.5226:                             ;   in Loop: Header=BB6_3885 Depth=4
	s_or_b64 exec, exec, s[40:41]
                                        ; implicit-def: $vgpr1
.LBB6_5227:                             ;   in Loop: Header=BB6_3885 Depth=4
	s_andn2_saveexec_b64 s[40:41], s[48:49]
; %bb.5228:                             ;   in Loop: Header=BB6_3885 Depth=4
	v_or_b32_sdwa v27, v1, s83 dst_sel:DWORD dst_unused:UNUSED_PAD src0_sel:BYTE_3 src1_sel:DWORD
; %bb.5229:                             ;   in Loop: Header=BB6_3885 Depth=4
	s_or_b64 exec, exec, s[40:41]
	v_and_b32_e32 v0, 0xff, v40
	v_cmp_ne_u16_e64 s[40:41], 0, v0
	s_and_b64 vcc, exec, s[28:29]
	s_mov_b64 s[48:49], -1
                                        ; implicit-def: $vgpr1
	s_cbranch_vccnz .LBB6_5243
; %bb.5230:                             ;   in Loop: Header=BB6_3885 Depth=4
	v_mov_b32_e32 v21, 0
	v_mov_b32_e32 v2, 0
	s_and_saveexec_b64 s[48:49], s[40:41]
	s_cbranch_execz .LBB6_5236
; %bb.5231:                             ;   in Loop: Header=BB6_3885 Depth=4
	v_cmp_ne_u16_e32 vcc, s82, v0
	v_bfrev_b32_e32 v2, 1
	s_and_saveexec_b64 s[50:51], vcc
	s_cbranch_execz .LBB6_5235
; %bb.5232:                             ;   in Loop: Header=BB6_3885 Depth=4
	v_and_b32_e32 v1, 0x7f, v40
	v_cmp_ne_u32_e32 vcc, s83, v1
	v_mov_b32_e32 v2, 0x7f800001
	s_and_saveexec_b64 s[52:53], vcc
	s_cbranch_execz .LBB6_5234
; %bb.5233:                             ;   in Loop: Header=BB6_3885 Depth=4
	v_and_b32_e32 v22, 7, v0
	v_lshrrev_b32_e32 v24, 3, v1
	v_cmp_gt_u32_e32 vcc, 8, v1
	v_ffbh_u32_e32 v1, v22
	v_min_u32_e32 v25, 32, v1
	v_subrev_u32_e32 v1, 28, v25
	v_lshlrev_b64 v[1:2], v1, v[0:1]
	v_sub_u32_e32 v2, 29, v25
	v_and_b32_e32 v1, 7, v1
	v_cndmask_b32_e32 v2, v24, v2, vcc
	v_cndmask_b32_e32 v1, v22, v1, vcc
	v_lshlrev_b32_e32 v22, 24, v40
	v_bfrev_b32_e32 v24, 60
	v_lshlrev_b32_e32 v1, 20, v1
	v_and_b32_e32 v22, 0x80000000, v22
	v_lshl_add_u32 v2, v2, 23, v24
	v_or3_b32 v2, v22, v2, v1
.LBB6_5234:                             ;   in Loop: Header=BB6_3885 Depth=4
	s_or_b64 exec, exec, s[52:53]
.LBB6_5235:                             ;   in Loop: Header=BB6_3885 Depth=4
	s_or_b64 exec, exec, s[50:51]
.LBB6_5236:                             ;   in Loop: Header=BB6_3885 Depth=4
	s_or_b64 exec, exec, s[48:49]
	v_and_b32_e32 v1, 0xff, v29
	v_cmp_ne_u16_e32 vcc, 0, v1
	s_and_saveexec_b64 s[48:49], vcc
	s_cbranch_execz .LBB6_5242
; %bb.5237:                             ;   in Loop: Header=BB6_3885 Depth=4
	v_cmp_ne_u16_e32 vcc, s82, v1
	v_bfrev_b32_e32 v21, 1
	s_and_saveexec_b64 s[50:51], vcc
	s_cbranch_execz .LBB6_5241
; %bb.5238:                             ;   in Loop: Header=BB6_3885 Depth=4
	v_and_b32_e32 v22, 0x7f, v29
	v_cmp_ne_u32_e32 vcc, s83, v22
	v_mov_b32_e32 v21, 0x7f800001
	s_and_saveexec_b64 s[52:53], vcc
	s_cbranch_execz .LBB6_5240
; %bb.5239:                             ;   in Loop: Header=BB6_3885 Depth=4
	v_and_b32_e32 v24, 7, v1
	v_ffbh_u32_e32 v21, v24
	v_min_u32_e32 v28, 32, v21
	v_subrev_u32_e32 v21, 28, v28
	v_lshrrev_b32_e32 v25, 3, v22
	v_cmp_gt_u32_e32 vcc, 8, v22
	v_lshlrev_b64 v[21:22], v21, v[1:2]
	v_sub_u32_e32 v1, 29, v28
	v_and_b32_e32 v21, 7, v21
	v_cndmask_b32_e32 v1, v25, v1, vcc
	v_cndmask_b32_e32 v21, v24, v21, vcc
	v_lshlrev_b32_e32 v22, 24, v29
	v_bfrev_b32_e32 v24, 60
	v_lshlrev_b32_e32 v21, 20, v21
	v_and_b32_e32 v22, 0x80000000, v22
	v_lshl_add_u32 v1, v1, 23, v24
	v_or3_b32 v21, v22, v1, v21
.LBB6_5240:                             ;   in Loop: Header=BB6_3885 Depth=4
	s_or_b64 exec, exec, s[52:53]
.LBB6_5241:                             ;   in Loop: Header=BB6_3885 Depth=4
	s_or_b64 exec, exec, s[50:51]
.LBB6_5242:                             ;   in Loop: Header=BB6_3885 Depth=4
	s_or_b64 exec, exec, s[48:49]
	v_max_f32_e32 v1, v21, v21
	v_max_f32_e32 v2, v2, v2
	;; [unrolled: 1-line block ×3, first 2 shown]
	s_mov_b64 s[48:49], 0
.LBB6_5243:                             ;   in Loop: Header=BB6_3885 Depth=4
	s_and_b64 vcc, exec, s[48:49]
	s_cbranch_vccz .LBB6_5257
; %bb.5244:                             ;   in Loop: Header=BB6_3885 Depth=4
	v_mov_b32_e32 v2, 0
	v_mov_b32_e32 v1, 0
	s_and_saveexec_b64 s[48:49], s[40:41]
	s_cbranch_execz .LBB6_5250
; %bb.5245:                             ;   in Loop: Header=BB6_3885 Depth=4
	v_cmp_ne_u16_e32 vcc, s82, v0
	v_bfrev_b32_e32 v1, 1
	s_and_saveexec_b64 s[40:41], vcc
	s_cbranch_execz .LBB6_5249
; %bb.5246:                             ;   in Loop: Header=BB6_3885 Depth=4
	v_and_b32_e32 v21, 0x7f, v40
	v_cmp_ne_u32_e32 vcc, s83, v21
	v_mov_b32_e32 v1, 0x7f800001
	s_and_saveexec_b64 s[50:51], vcc
	s_cbranch_execz .LBB6_5248
; %bb.5247:                             ;   in Loop: Header=BB6_3885 Depth=4
	v_and_b32_e32 v22, 7, v0
	v_ffbh_u32_e32 v1, v22
	v_lshrrev_b32_e32 v24, 3, v21
	v_cmp_gt_u32_e32 vcc, 8, v21
	v_min_u32_e32 v21, 32, v1
	v_subrev_u32_e32 v1, 28, v21
	v_lshlrev_b64 v[0:1], v1, v[0:1]
	v_sub_u32_e32 v1, 29, v21
	v_and_b32_e32 v0, 7, v0
	v_cndmask_b32_e32 v1, v24, v1, vcc
	v_cndmask_b32_e32 v0, v22, v0, vcc
	v_lshlrev_b32_e32 v21, 24, v40
	v_bfrev_b32_e32 v22, 60
	v_lshlrev_b32_e32 v0, 20, v0
	v_and_b32_e32 v21, 0x80000000, v21
	v_lshl_add_u32 v1, v1, 23, v22
	v_or3_b32 v1, v21, v1, v0
.LBB6_5248:                             ;   in Loop: Header=BB6_3885 Depth=4
	s_or_b64 exec, exec, s[50:51]
.LBB6_5249:                             ;   in Loop: Header=BB6_3885 Depth=4
	s_or_b64 exec, exec, s[40:41]
.LBB6_5250:                             ;   in Loop: Header=BB6_3885 Depth=4
	s_or_b64 exec, exec, s[48:49]
	v_and_b32_e32 v0, 0xff, v29
	v_cmp_ne_u16_e32 vcc, 0, v0
	s_and_saveexec_b64 s[40:41], vcc
	s_cbranch_execz .LBB6_5256
; %bb.5251:                             ;   in Loop: Header=BB6_3885 Depth=4
	v_cmp_ne_u16_e32 vcc, s82, v0
	v_bfrev_b32_e32 v2, 1
	s_and_saveexec_b64 s[48:49], vcc
	s_cbranch_execz .LBB6_5255
; %bb.5252:                             ;   in Loop: Header=BB6_3885 Depth=4
	v_and_b32_e32 v21, 0x7f, v29
	v_cmp_ne_u32_e32 vcc, s83, v21
	v_mov_b32_e32 v2, 0x7f800001
	s_and_saveexec_b64 s[50:51], vcc
	s_cbranch_execz .LBB6_5254
; %bb.5253:                             ;   in Loop: Header=BB6_3885 Depth=4
	v_and_b32_e32 v2, 7, v0
	v_lshrrev_b32_e32 v24, 3, v21
	v_cmp_gt_u32_e32 vcc, 8, v21
	v_ffbh_u32_e32 v21, v2
	v_min_u32_e32 v25, 32, v21
	v_subrev_u32_e32 v21, 28, v25
	v_lshlrev_b64 v[21:22], v21, v[0:1]
	v_sub_u32_e32 v0, 29, v25
	v_and_b32_e32 v21, 7, v21
	v_cndmask_b32_e32 v0, v24, v0, vcc
	v_cndmask_b32_e32 v2, v2, v21, vcc
	v_lshlrev_b32_e32 v21, 24, v29
	v_bfrev_b32_e32 v22, 60
	v_lshlrev_b32_e32 v2, 20, v2
	v_and_b32_e32 v21, 0x80000000, v21
	v_lshl_add_u32 v0, v0, 23, v22
	v_or3_b32 v2, v21, v0, v2
.LBB6_5254:                             ;   in Loop: Header=BB6_3885 Depth=4
	s_or_b64 exec, exec, s[50:51]
.LBB6_5255:                             ;   in Loop: Header=BB6_3885 Depth=4
	s_or_b64 exec, exec, s[48:49]
.LBB6_5256:                             ;   in Loop: Header=BB6_3885 Depth=4
	s_or_b64 exec, exec, s[40:41]
	v_max_f32_e32 v0, v2, v2
	v_max_f32_e32 v1, v1, v1
	v_min_f32_e32 v1, v1, v0
.LBB6_5257:                             ;   in Loop: Header=BB6_3885 Depth=4
	v_and_b32_e32 v52, 0x7f800000, v1
	v_cmp_ne_u64_e32 vcc, s[76:77], v[52:53]
                                        ; implicit-def: $vgpr21
	s_and_saveexec_b64 s[40:41], vcc
	s_xor_b64 s[48:49], exec, s[40:41]
	s_cbranch_execz .LBB6_5275
; %bb.5258:                             ;   in Loop: Header=BB6_3885 Depth=4
	v_and_b32_e32 v52, 0x7fffffff, v1
	v_cmp_gt_u64_e32 vcc, s[78:79], v[52:53]
	v_and_b32_sdwa v22, v1, s82 dst_sel:DWORD dst_unused:UNUSED_PAD src0_sel:BYTE_3 src1_sel:DWORD
                                        ; implicit-def: $vgpr21
	s_and_saveexec_b64 s[40:41], vcc
	s_xor_b64 s[50:51], exec, s[40:41]
	s_cbranch_execz .LBB6_5272
; %bb.5259:                             ;   in Loop: Header=BB6_3885 Depth=4
	v_cmp_ne_u32_e32 vcc, 0, v1
	v_mov_b32_e32 v21, 0
	s_and_saveexec_b64 s[52:53], vcc
	s_cbranch_execz .LBB6_5271
; %bb.5260:                             ;   in Loop: Header=BB6_3885 Depth=4
	v_bfe_u32 v21, v1, 23, 8
	v_and_b32_e32 v0, 0x7fffff, v1
	v_cmp_gt_u32_e64 s[40:41], s85, v21
	v_sub_u32_e32 v1, 0x79, v21
	v_cmp_eq_u32_e32 vcc, 0, v21
	v_cndmask_b32_e64 v1, 0, v1, s[40:41]
	v_mov_b32_e32 v24, 0x78
	v_or_b32_e32 v2, 0x800000, v0
	v_cndmask_b32_e32 v24, v1, v24, vcc
	v_cndmask_b32_e32 v52, v2, v0, vcc
	v_add_u32_e32 v0, 20, v24
	v_lshlrev_b64 v[0:1], v0, -1
	v_add_u32_e32 v2, 19, v24
	v_lshlrev_b64 v[28:29], v2, 1
	v_bfi_b32 v1, v1, 0, 0
	v_bfi_b32 v0, v0, 0, v52
	v_cmp_eq_u64_e64 s[40:41], v[0:1], v[28:29]
	v_lshrrev_b64 v[0:1], v24, v[52:53]
	v_mov_b32_e32 v2, v1
	v_mov_b32_e32 v1, v0
	s_and_saveexec_b64 s[54:55], s[40:41]
; %bb.5261:                             ;   in Loop: Header=BB6_3885 Depth=4
	v_bfe_u32 v1, v0, 20, 1
	v_add_co_u32_e64 v1, s[40:41], v0, v1
	v_add_co_u32_e64 v1, s[40:41], -1, v1
; %bb.5262:                             ;   in Loop: Header=BB6_3885 Depth=4
	s_or_b64 exec, exec, s[54:55]
	v_add_u32_e32 v2, 0xffffff81, v21
	v_mov_b32_e32 v21, 0xffffff82
	v_cndmask_b32_e32 v2, v2, v21, vcc
	v_lshrrev_b32_e32 v21, 23, v0
	v_add3_u32 v24, v24, v2, v21
	v_add_u32_e32 v21, 6, v24
	v_and_b32_e32 v1, 0xfffff, v1
	v_add_u32_e32 v52, v1, v0
	v_cmp_ne_u32_e32 vcc, 0, v21
                                        ; implicit-def: $vgpr0_vgpr1
                                        ; implicit-def: $vgpr2
	s_and_saveexec_b64 s[40:41], vcc
	s_xor_b64 s[40:41], exec, s[40:41]
; %bb.5263:                             ;   in Loop: Header=BB6_3885 Depth=4
	v_cmp_lt_u64_e32 vcc, s[88:89], v[52:53]
	v_add_u32_e32 v0, 7, v24
	v_cndmask_b32_e32 v2, v21, v0, vcc
	v_cndmask_b32_e64 v0, 0, 1, vcc
	v_lshrrev_b64 v[0:1], v0, v[52:53]
; %bb.5264:                             ;   in Loop: Header=BB6_3885 Depth=4
	s_andn2_saveexec_b64 s[40:41], s[40:41]
; %bb.5265:                             ;   in Loop: Header=BB6_3885 Depth=4
	v_mov_b32_e32 v0, v52
	v_bfe_u32 v2, v52, 23, 1
	v_mov_b32_e32 v1, v53
; %bb.5266:                             ;   in Loop: Header=BB6_3885 Depth=4
	s_or_b64 exec, exec, s[40:41]
	v_lshrrev_b64 v[0:1], 20, v[0:1]
	v_cmp_gt_i32_e32 vcc, 16, v2
	v_cndmask_b32_e32 v1, 0, v1, vcc
	v_cndmask_b32_e32 v0, 7, v0, vcc
	v_cmp_ne_u64_e32 vcc, 0, v[0:1]
	v_cmp_ne_u32_e64 s[40:41], 0, v2
	s_or_b64 s[40:41], s[40:41], vcc
                                        ; implicit-def: $vgpr21
	s_and_saveexec_b64 vcc, s[40:41]
	s_xor_b64 s[40:41], exec, vcc
; %bb.5267:                             ;   in Loop: Header=BB6_3885 Depth=4
	v_min_i32_e32 v1, 15, v2
	v_lshl_or_b32 v1, v1, 3, v22
	v_and_or_b32 v21, v0, 7, v1
                                        ; implicit-def: $vgpr22
; %bb.5268:                             ;   in Loop: Header=BB6_3885 Depth=4
	s_andn2_saveexec_b64 s[40:41], s[40:41]
; %bb.5269:                             ;   in Loop: Header=BB6_3885 Depth=4
	v_mov_b32_e32 v21, v22
; %bb.5270:                             ;   in Loop: Header=BB6_3885 Depth=4
	s_or_b64 exec, exec, s[40:41]
.LBB6_5271:                             ;   in Loop: Header=BB6_3885 Depth=4
	s_or_b64 exec, exec, s[52:53]
                                        ; implicit-def: $vgpr22
.LBB6_5272:                             ;   in Loop: Header=BB6_3885 Depth=4
	s_andn2_saveexec_b64 s[40:41], s[50:51]
; %bb.5273:                             ;   in Loop: Header=BB6_3885 Depth=4
	v_or_b32_e32 v21, 0x7e, v22
; %bb.5274:                             ;   in Loop: Header=BB6_3885 Depth=4
	s_or_b64 exec, exec, s[40:41]
                                        ; implicit-def: $vgpr1
.LBB6_5275:                             ;   in Loop: Header=BB6_3885 Depth=4
	s_andn2_saveexec_b64 s[40:41], s[48:49]
; %bb.5276:                             ;   in Loop: Header=BB6_3885 Depth=4
	v_or_b32_sdwa v21, v1, s83 dst_sel:DWORD dst_unused:UNUSED_PAD src0_sel:BYTE_3 src1_sel:DWORD
; %bb.5277:                             ;   in Loop: Header=BB6_3885 Depth=4
	s_or_b64 exec, exec, s[40:41]
	v_and_b32_e32 v0, 0xff, v34
	v_cmp_ne_u16_e64 s[40:41], 0, v0
	s_and_b64 vcc, exec, s[28:29]
	s_mov_b64 s[48:49], -1
                                        ; implicit-def: $vgpr1
	s_cbranch_vccnz .LBB6_5291
; %bb.5278:                             ;   in Loop: Header=BB6_3885 Depth=4
	v_mov_b32_e32 v22, 0
	v_mov_b32_e32 v2, 0
	s_and_saveexec_b64 s[48:49], s[40:41]
	s_cbranch_execz .LBB6_5284
; %bb.5279:                             ;   in Loop: Header=BB6_3885 Depth=4
	v_cmp_ne_u16_e32 vcc, s82, v0
	v_bfrev_b32_e32 v2, 1
	s_and_saveexec_b64 s[50:51], vcc
	s_cbranch_execz .LBB6_5283
; %bb.5280:                             ;   in Loop: Header=BB6_3885 Depth=4
	v_and_b32_e32 v1, 0x7f, v34
	v_cmp_ne_u32_e32 vcc, s83, v1
	v_mov_b32_e32 v2, 0x7f800001
	s_and_saveexec_b64 s[52:53], vcc
	s_cbranch_execz .LBB6_5282
; %bb.5281:                             ;   in Loop: Header=BB6_3885 Depth=4
	v_and_b32_e32 v24, 7, v0
	v_lshrrev_b32_e32 v25, 3, v1
	v_cmp_gt_u32_e32 vcc, 8, v1
	v_ffbh_u32_e32 v1, v24
	v_min_u32_e32 v28, 32, v1
	v_subrev_u32_e32 v1, 28, v28
	v_lshlrev_b64 v[1:2], v1, v[0:1]
	v_sub_u32_e32 v2, 29, v28
	v_and_b32_e32 v1, 7, v1
	v_cndmask_b32_e32 v2, v25, v2, vcc
	v_cndmask_b32_e32 v1, v24, v1, vcc
	v_lshlrev_b32_e32 v24, 24, v34
	v_bfrev_b32_e32 v25, 60
	v_lshlrev_b32_e32 v1, 20, v1
	v_and_b32_e32 v24, 0x80000000, v24
	v_lshl_add_u32 v2, v2, 23, v25
	v_or3_b32 v2, v24, v2, v1
.LBB6_5282:                             ;   in Loop: Header=BB6_3885 Depth=4
	s_or_b64 exec, exec, s[52:53]
.LBB6_5283:                             ;   in Loop: Header=BB6_3885 Depth=4
	s_or_b64 exec, exec, s[50:51]
.LBB6_5284:                             ;   in Loop: Header=BB6_3885 Depth=4
	s_or_b64 exec, exec, s[48:49]
	v_and_b32_e32 v1, 0xff, v30
	v_cmp_ne_u16_e32 vcc, 0, v1
	s_and_saveexec_b64 s[48:49], vcc
	s_cbranch_execz .LBB6_5290
; %bb.5285:                             ;   in Loop: Header=BB6_3885 Depth=4
	v_cmp_ne_u16_e32 vcc, s82, v1
	v_bfrev_b32_e32 v22, 1
	s_and_saveexec_b64 s[50:51], vcc
	s_cbranch_execz .LBB6_5289
; %bb.5286:                             ;   in Loop: Header=BB6_3885 Depth=4
	v_and_b32_e32 v24, 0x7f, v30
	v_cmp_ne_u32_e32 vcc, s83, v24
	v_mov_b32_e32 v22, 0x7f800001
	s_and_saveexec_b64 s[52:53], vcc
	s_cbranch_execz .LBB6_5288
; %bb.5287:                             ;   in Loop: Header=BB6_3885 Depth=4
	v_and_b32_e32 v22, 7, v1
	v_lshrrev_b32_e32 v28, 3, v24
	v_cmp_gt_u32_e32 vcc, 8, v24
	v_ffbh_u32_e32 v24, v22
	v_min_u32_e32 v29, 32, v24
	v_subrev_u32_e32 v24, 28, v29
	v_lshlrev_b64 v[24:25], v24, v[1:2]
	v_sub_u32_e32 v1, 29, v29
	v_and_b32_e32 v24, 7, v24
	v_cndmask_b32_e32 v1, v28, v1, vcc
	v_cndmask_b32_e32 v22, v22, v24, vcc
	v_lshlrev_b32_e32 v24, 24, v30
	v_bfrev_b32_e32 v25, 60
	v_lshlrev_b32_e32 v22, 20, v22
	v_and_b32_e32 v24, 0x80000000, v24
	v_lshl_add_u32 v1, v1, 23, v25
	v_or3_b32 v22, v24, v1, v22
.LBB6_5288:                             ;   in Loop: Header=BB6_3885 Depth=4
	s_or_b64 exec, exec, s[52:53]
.LBB6_5289:                             ;   in Loop: Header=BB6_3885 Depth=4
	s_or_b64 exec, exec, s[50:51]
.LBB6_5290:                             ;   in Loop: Header=BB6_3885 Depth=4
	s_or_b64 exec, exec, s[48:49]
	v_max_f32_e32 v1, v22, v22
	v_max_f32_e32 v2, v2, v2
	;; [unrolled: 1-line block ×3, first 2 shown]
	s_mov_b64 s[48:49], 0
.LBB6_5291:                             ;   in Loop: Header=BB6_3885 Depth=4
	s_and_b64 vcc, exec, s[48:49]
	s_cbranch_vccz .LBB6_5305
; %bb.5292:                             ;   in Loop: Header=BB6_3885 Depth=4
	v_mov_b32_e32 v2, 0
	v_mov_b32_e32 v1, 0
	s_and_saveexec_b64 s[48:49], s[40:41]
	s_cbranch_execz .LBB6_5298
; %bb.5293:                             ;   in Loop: Header=BB6_3885 Depth=4
	v_cmp_ne_u16_e32 vcc, s82, v0
	v_bfrev_b32_e32 v1, 1
	s_and_saveexec_b64 s[40:41], vcc
	s_cbranch_execz .LBB6_5297
; %bb.5294:                             ;   in Loop: Header=BB6_3885 Depth=4
	v_and_b32_e32 v22, 0x7f, v34
	v_cmp_ne_u32_e32 vcc, s83, v22
	v_mov_b32_e32 v1, 0x7f800001
	s_and_saveexec_b64 s[50:51], vcc
	s_cbranch_execz .LBB6_5296
; %bb.5295:                             ;   in Loop: Header=BB6_3885 Depth=4
	v_and_b32_e32 v24, 7, v0
	v_ffbh_u32_e32 v1, v24
	v_lshrrev_b32_e32 v25, 3, v22
	v_cmp_gt_u32_e32 vcc, 8, v22
	v_min_u32_e32 v22, 32, v1
	v_subrev_u32_e32 v1, 28, v22
	v_lshlrev_b64 v[0:1], v1, v[0:1]
	v_sub_u32_e32 v1, 29, v22
	v_and_b32_e32 v0, 7, v0
	v_cndmask_b32_e32 v1, v25, v1, vcc
	v_cndmask_b32_e32 v0, v24, v0, vcc
	v_lshlrev_b32_e32 v22, 24, v34
	v_bfrev_b32_e32 v24, 60
	v_lshlrev_b32_e32 v0, 20, v0
	v_and_b32_e32 v22, 0x80000000, v22
	v_lshl_add_u32 v1, v1, 23, v24
	v_or3_b32 v1, v22, v1, v0
.LBB6_5296:                             ;   in Loop: Header=BB6_3885 Depth=4
	s_or_b64 exec, exec, s[50:51]
.LBB6_5297:                             ;   in Loop: Header=BB6_3885 Depth=4
	s_or_b64 exec, exec, s[40:41]
.LBB6_5298:                             ;   in Loop: Header=BB6_3885 Depth=4
	s_or_b64 exec, exec, s[48:49]
	v_and_b32_e32 v0, 0xff, v30
	v_cmp_ne_u16_e32 vcc, 0, v0
	s_and_saveexec_b64 s[40:41], vcc
	s_cbranch_execz .LBB6_5304
; %bb.5299:                             ;   in Loop: Header=BB6_3885 Depth=4
	v_cmp_ne_u16_e32 vcc, s82, v0
	v_bfrev_b32_e32 v2, 1
	s_and_saveexec_b64 s[48:49], vcc
	s_cbranch_execz .LBB6_5303
; %bb.5300:                             ;   in Loop: Header=BB6_3885 Depth=4
	v_and_b32_e32 v22, 0x7f, v30
	v_cmp_ne_u32_e32 vcc, s83, v22
	v_mov_b32_e32 v2, 0x7f800001
	s_and_saveexec_b64 s[50:51], vcc
	s_cbranch_execz .LBB6_5302
; %bb.5301:                             ;   in Loop: Header=BB6_3885 Depth=4
	v_and_b32_e32 v2, 7, v0
	v_lshrrev_b32_e32 v28, 3, v22
	v_cmp_gt_u32_e32 vcc, 8, v22
	v_ffbh_u32_e32 v22, v2
	v_min_u32_e32 v22, 32, v22
	v_subrev_u32_e32 v24, 28, v22
	v_lshlrev_b64 v[24:25], v24, v[0:1]
	v_sub_u32_e32 v0, 29, v22
	v_and_b32_e32 v22, 7, v24
	v_cndmask_b32_e32 v0, v28, v0, vcc
	v_cndmask_b32_e32 v2, v2, v22, vcc
	v_lshlrev_b32_e32 v22, 24, v30
	v_bfrev_b32_e32 v24, 60
	v_lshlrev_b32_e32 v2, 20, v2
	v_and_b32_e32 v22, 0x80000000, v22
	v_lshl_add_u32 v0, v0, 23, v24
	v_or3_b32 v2, v22, v0, v2
.LBB6_5302:                             ;   in Loop: Header=BB6_3885 Depth=4
	s_or_b64 exec, exec, s[50:51]
.LBB6_5303:                             ;   in Loop: Header=BB6_3885 Depth=4
	s_or_b64 exec, exec, s[48:49]
.LBB6_5304:                             ;   in Loop: Header=BB6_3885 Depth=4
	s_or_b64 exec, exec, s[40:41]
	v_max_f32_e32 v0, v2, v2
	v_max_f32_e32 v1, v1, v1
	v_min_f32_e32 v1, v1, v0
.LBB6_5305:                             ;   in Loop: Header=BB6_3885 Depth=4
	v_and_b32_e32 v52, 0x7f800000, v1
	v_cmp_ne_u64_e32 vcc, s[76:77], v[52:53]
                                        ; implicit-def: $vgpr22
	s_and_saveexec_b64 s[40:41], vcc
	s_xor_b64 s[48:49], exec, s[40:41]
	s_cbranch_execz .LBB6_5323
; %bb.5306:                             ;   in Loop: Header=BB6_3885 Depth=4
	v_and_b32_e32 v52, 0x7fffffff, v1
	v_cmp_gt_u64_e32 vcc, s[78:79], v[52:53]
	v_and_b32_sdwa v24, v1, s82 dst_sel:DWORD dst_unused:UNUSED_PAD src0_sel:BYTE_3 src1_sel:DWORD
                                        ; implicit-def: $vgpr22
	s_and_saveexec_b64 s[40:41], vcc
	s_xor_b64 s[50:51], exec, s[40:41]
	s_cbranch_execz .LBB6_5320
; %bb.5307:                             ;   in Loop: Header=BB6_3885 Depth=4
	v_cmp_ne_u32_e32 vcc, 0, v1
	v_mov_b32_e32 v22, 0
	s_and_saveexec_b64 s[52:53], vcc
	s_cbranch_execz .LBB6_5319
; %bb.5308:                             ;   in Loop: Header=BB6_3885 Depth=4
	v_bfe_u32 v22, v1, 23, 8
	v_and_b32_e32 v0, 0x7fffff, v1
	v_cmp_gt_u32_e64 s[40:41], s85, v22
	v_sub_u32_e32 v1, 0x79, v22
	v_cmp_eq_u32_e32 vcc, 0, v22
	v_cndmask_b32_e64 v1, 0, v1, s[40:41]
	v_mov_b32_e32 v25, 0x78
	v_or_b32_e32 v2, 0x800000, v0
	v_cndmask_b32_e32 v25, v1, v25, vcc
	v_cndmask_b32_e32 v52, v2, v0, vcc
	v_add_u32_e32 v0, 20, v25
	v_lshlrev_b64 v[0:1], v0, -1
	v_add_u32_e32 v2, 19, v25
	v_lshlrev_b64 v[28:29], v2, 1
	v_bfi_b32 v1, v1, 0, 0
	v_bfi_b32 v0, v0, 0, v52
	v_cmp_eq_u64_e64 s[40:41], v[0:1], v[28:29]
	v_lshrrev_b64 v[0:1], v25, v[52:53]
	v_mov_b32_e32 v2, v1
	v_mov_b32_e32 v1, v0
	s_and_saveexec_b64 s[54:55], s[40:41]
; %bb.5309:                             ;   in Loop: Header=BB6_3885 Depth=4
	v_bfe_u32 v1, v0, 20, 1
	v_add_co_u32_e64 v1, s[40:41], v0, v1
	v_add_co_u32_e64 v1, s[40:41], -1, v1
; %bb.5310:                             ;   in Loop: Header=BB6_3885 Depth=4
	s_or_b64 exec, exec, s[54:55]
	v_add_u32_e32 v2, 0xffffff81, v22
	v_mov_b32_e32 v22, 0xffffff82
	v_cndmask_b32_e32 v2, v2, v22, vcc
	v_lshrrev_b32_e32 v22, 23, v0
	v_add3_u32 v25, v25, v2, v22
	v_add_u32_e32 v22, 6, v25
	v_and_b32_e32 v1, 0xfffff, v1
	v_add_u32_e32 v52, v1, v0
	v_cmp_ne_u32_e32 vcc, 0, v22
                                        ; implicit-def: $vgpr0_vgpr1
                                        ; implicit-def: $vgpr2
	s_and_saveexec_b64 s[40:41], vcc
	s_xor_b64 s[40:41], exec, s[40:41]
; %bb.5311:                             ;   in Loop: Header=BB6_3885 Depth=4
	v_cmp_lt_u64_e32 vcc, s[88:89], v[52:53]
	v_add_u32_e32 v0, 7, v25
	v_cndmask_b32_e32 v2, v22, v0, vcc
	v_cndmask_b32_e64 v0, 0, 1, vcc
	v_lshrrev_b64 v[0:1], v0, v[52:53]
; %bb.5312:                             ;   in Loop: Header=BB6_3885 Depth=4
	s_andn2_saveexec_b64 s[40:41], s[40:41]
; %bb.5313:                             ;   in Loop: Header=BB6_3885 Depth=4
	v_mov_b32_e32 v0, v52
	v_bfe_u32 v2, v52, 23, 1
	v_mov_b32_e32 v1, v53
; %bb.5314:                             ;   in Loop: Header=BB6_3885 Depth=4
	s_or_b64 exec, exec, s[40:41]
	v_lshrrev_b64 v[0:1], 20, v[0:1]
	v_cmp_gt_i32_e32 vcc, 16, v2
	v_cndmask_b32_e32 v1, 0, v1, vcc
	v_cndmask_b32_e32 v0, 7, v0, vcc
	v_cmp_ne_u64_e32 vcc, 0, v[0:1]
	v_cmp_ne_u32_e64 s[40:41], 0, v2
	s_or_b64 s[40:41], s[40:41], vcc
                                        ; implicit-def: $vgpr22
	s_and_saveexec_b64 vcc, s[40:41]
	s_xor_b64 s[40:41], exec, vcc
; %bb.5315:                             ;   in Loop: Header=BB6_3885 Depth=4
	v_min_i32_e32 v1, 15, v2
	v_lshl_or_b32 v1, v1, 3, v24
	v_and_or_b32 v22, v0, 7, v1
                                        ; implicit-def: $vgpr24
; %bb.5316:                             ;   in Loop: Header=BB6_3885 Depth=4
	s_andn2_saveexec_b64 s[40:41], s[40:41]
; %bb.5317:                             ;   in Loop: Header=BB6_3885 Depth=4
	v_mov_b32_e32 v22, v24
; %bb.5318:                             ;   in Loop: Header=BB6_3885 Depth=4
	s_or_b64 exec, exec, s[40:41]
.LBB6_5319:                             ;   in Loop: Header=BB6_3885 Depth=4
	s_or_b64 exec, exec, s[52:53]
                                        ; implicit-def: $vgpr24
.LBB6_5320:                             ;   in Loop: Header=BB6_3885 Depth=4
	s_andn2_saveexec_b64 s[40:41], s[50:51]
; %bb.5321:                             ;   in Loop: Header=BB6_3885 Depth=4
	v_or_b32_e32 v22, 0x7e, v24
; %bb.5322:                             ;   in Loop: Header=BB6_3885 Depth=4
	s_or_b64 exec, exec, s[40:41]
                                        ; implicit-def: $vgpr1
.LBB6_5323:                             ;   in Loop: Header=BB6_3885 Depth=4
	s_andn2_saveexec_b64 s[40:41], s[48:49]
; %bb.5324:                             ;   in Loop: Header=BB6_3885 Depth=4
	v_or_b32_sdwa v22, v1, s83 dst_sel:DWORD dst_unused:UNUSED_PAD src0_sel:BYTE_3 src1_sel:DWORD
; %bb.5325:                             ;   in Loop: Header=BB6_3885 Depth=4
	s_or_b64 exec, exec, s[40:41]
	v_and_b32_e32 v0, 0xff, v33
	v_cmp_ne_u16_e64 s[40:41], 0, v0
	s_and_b64 vcc, exec, s[28:29]
	s_mov_b64 s[48:49], -1
                                        ; implicit-def: $vgpr1
	s_cbranch_vccnz .LBB6_5339
; %bb.5326:                             ;   in Loop: Header=BB6_3885 Depth=4
	v_mov_b32_e32 v24, 0
	v_mov_b32_e32 v2, 0
	s_and_saveexec_b64 s[48:49], s[40:41]
	s_cbranch_execz .LBB6_5332
; %bb.5327:                             ;   in Loop: Header=BB6_3885 Depth=4
	v_cmp_ne_u16_e32 vcc, s82, v0
	v_bfrev_b32_e32 v2, 1
	s_and_saveexec_b64 s[50:51], vcc
	s_cbranch_execz .LBB6_5331
; %bb.5328:                             ;   in Loop: Header=BB6_3885 Depth=4
	v_and_b32_e32 v1, 0x7f, v33
	v_cmp_ne_u32_e32 vcc, s83, v1
	v_mov_b32_e32 v2, 0x7f800001
	s_and_saveexec_b64 s[52:53], vcc
	s_cbranch_execz .LBB6_5330
; %bb.5329:                             ;   in Loop: Header=BB6_3885 Depth=4
	v_and_b32_e32 v25, 7, v0
	v_lshrrev_b32_e32 v28, 3, v1
	v_cmp_gt_u32_e32 vcc, 8, v1
	v_ffbh_u32_e32 v1, v25
	v_min_u32_e32 v29, 32, v1
	v_subrev_u32_e32 v1, 28, v29
	v_lshlrev_b64 v[1:2], v1, v[0:1]
	v_sub_u32_e32 v2, 29, v29
	v_and_b32_e32 v1, 7, v1
	v_cndmask_b32_e32 v2, v28, v2, vcc
	v_cndmask_b32_e32 v1, v25, v1, vcc
	v_lshlrev_b32_e32 v25, 24, v33
	v_bfrev_b32_e32 v28, 60
	v_lshlrev_b32_e32 v1, 20, v1
	v_and_b32_e32 v25, 0x80000000, v25
	v_lshl_add_u32 v2, v2, 23, v28
	v_or3_b32 v2, v25, v2, v1
.LBB6_5330:                             ;   in Loop: Header=BB6_3885 Depth=4
	s_or_b64 exec, exec, s[52:53]
.LBB6_5331:                             ;   in Loop: Header=BB6_3885 Depth=4
	s_or_b64 exec, exec, s[50:51]
.LBB6_5332:                             ;   in Loop: Header=BB6_3885 Depth=4
	s_or_b64 exec, exec, s[48:49]
	v_and_b32_e32 v1, 0xff, v31
	v_cmp_ne_u16_e32 vcc, 0, v1
	s_and_saveexec_b64 s[48:49], vcc
	s_cbranch_execz .LBB6_5338
; %bb.5333:                             ;   in Loop: Header=BB6_3885 Depth=4
	v_cmp_ne_u16_e32 vcc, s82, v1
	v_bfrev_b32_e32 v24, 1
	s_and_saveexec_b64 s[50:51], vcc
	s_cbranch_execz .LBB6_5337
; %bb.5334:                             ;   in Loop: Header=BB6_3885 Depth=4
	v_and_b32_e32 v25, 0x7f, v31
	v_cmp_ne_u32_e32 vcc, s83, v25
	v_mov_b32_e32 v24, 0x7f800001
	s_and_saveexec_b64 s[52:53], vcc
	s_cbranch_execz .LBB6_5336
; %bb.5335:                             ;   in Loop: Header=BB6_3885 Depth=4
	v_and_b32_e32 v28, 7, v1
	v_ffbh_u32_e32 v24, v28
	v_min_u32_e32 v30, 32, v24
	v_subrev_u32_e32 v24, 28, v30
	v_lshrrev_b32_e32 v29, 3, v25
	v_cmp_gt_u32_e32 vcc, 8, v25
	v_lshlrev_b64 v[24:25], v24, v[1:2]
	v_sub_u32_e32 v1, 29, v30
	v_and_b32_e32 v24, 7, v24
	v_cndmask_b32_e32 v1, v29, v1, vcc
	v_cndmask_b32_e32 v24, v28, v24, vcc
	v_lshlrev_b32_e32 v25, 24, v31
	v_bfrev_b32_e32 v28, 60
	v_lshlrev_b32_e32 v24, 20, v24
	v_and_b32_e32 v25, 0x80000000, v25
	v_lshl_add_u32 v1, v1, 23, v28
	v_or3_b32 v24, v25, v1, v24
.LBB6_5336:                             ;   in Loop: Header=BB6_3885 Depth=4
	s_or_b64 exec, exec, s[52:53]
.LBB6_5337:                             ;   in Loop: Header=BB6_3885 Depth=4
	s_or_b64 exec, exec, s[50:51]
.LBB6_5338:                             ;   in Loop: Header=BB6_3885 Depth=4
	s_or_b64 exec, exec, s[48:49]
	v_max_f32_e32 v1, v24, v24
	v_max_f32_e32 v2, v2, v2
	;; [unrolled: 1-line block ×3, first 2 shown]
	s_mov_b64 s[48:49], 0
.LBB6_5339:                             ;   in Loop: Header=BB6_3885 Depth=4
	s_and_b64 vcc, exec, s[48:49]
	s_cbranch_vccz .LBB6_5353
; %bb.5340:                             ;   in Loop: Header=BB6_3885 Depth=4
	v_mov_b32_e32 v2, 0
	v_mov_b32_e32 v1, 0
	s_and_saveexec_b64 s[48:49], s[40:41]
	s_cbranch_execz .LBB6_5346
; %bb.5341:                             ;   in Loop: Header=BB6_3885 Depth=4
	v_cmp_ne_u16_e32 vcc, s82, v0
	v_bfrev_b32_e32 v1, 1
	s_and_saveexec_b64 s[40:41], vcc
	s_cbranch_execz .LBB6_5345
; %bb.5342:                             ;   in Loop: Header=BB6_3885 Depth=4
	v_and_b32_e32 v24, 0x7f, v33
	v_cmp_ne_u32_e32 vcc, s83, v24
	v_mov_b32_e32 v1, 0x7f800001
	s_and_saveexec_b64 s[50:51], vcc
	s_cbranch_execz .LBB6_5344
; %bb.5343:                             ;   in Loop: Header=BB6_3885 Depth=4
	v_and_b32_e32 v25, 7, v0
	v_ffbh_u32_e32 v1, v25
	v_lshrrev_b32_e32 v28, 3, v24
	v_cmp_gt_u32_e32 vcc, 8, v24
	v_min_u32_e32 v24, 32, v1
	v_subrev_u32_e32 v1, 28, v24
	v_lshlrev_b64 v[0:1], v1, v[0:1]
	v_sub_u32_e32 v1, 29, v24
	v_and_b32_e32 v0, 7, v0
	v_cndmask_b32_e32 v1, v28, v1, vcc
	v_cndmask_b32_e32 v0, v25, v0, vcc
	v_lshlrev_b32_e32 v24, 24, v33
	v_bfrev_b32_e32 v25, 60
	v_lshlrev_b32_e32 v0, 20, v0
	v_and_b32_e32 v24, 0x80000000, v24
	v_lshl_add_u32 v1, v1, 23, v25
	v_or3_b32 v1, v24, v1, v0
.LBB6_5344:                             ;   in Loop: Header=BB6_3885 Depth=4
	s_or_b64 exec, exec, s[50:51]
.LBB6_5345:                             ;   in Loop: Header=BB6_3885 Depth=4
	s_or_b64 exec, exec, s[40:41]
.LBB6_5346:                             ;   in Loop: Header=BB6_3885 Depth=4
	s_or_b64 exec, exec, s[48:49]
	v_and_b32_e32 v0, 0xff, v31
	v_cmp_ne_u16_e32 vcc, 0, v0
	s_and_saveexec_b64 s[40:41], vcc
	s_cbranch_execz .LBB6_5352
; %bb.5347:                             ;   in Loop: Header=BB6_3885 Depth=4
	v_cmp_ne_u16_e32 vcc, s82, v0
	v_bfrev_b32_e32 v2, 1
	s_and_saveexec_b64 s[48:49], vcc
	s_cbranch_execz .LBB6_5351
; %bb.5348:                             ;   in Loop: Header=BB6_3885 Depth=4
	v_and_b32_e32 v24, 0x7f, v31
	v_cmp_ne_u32_e32 vcc, s83, v24
	v_mov_b32_e32 v2, 0x7f800001
	s_and_saveexec_b64 s[50:51], vcc
	s_cbranch_execz .LBB6_5350
; %bb.5349:                             ;   in Loop: Header=BB6_3885 Depth=4
	v_and_b32_e32 v2, 7, v0
	v_lshrrev_b32_e32 v28, 3, v24
	v_cmp_gt_u32_e32 vcc, 8, v24
	v_ffbh_u32_e32 v24, v2
	v_min_u32_e32 v29, 32, v24
	v_subrev_u32_e32 v24, 28, v29
	v_lshlrev_b64 v[24:25], v24, v[0:1]
	v_sub_u32_e32 v0, 29, v29
	v_and_b32_e32 v24, 7, v24
	v_cndmask_b32_e32 v0, v28, v0, vcc
	v_cndmask_b32_e32 v2, v2, v24, vcc
	v_lshlrev_b32_e32 v24, 24, v31
	v_bfrev_b32_e32 v25, 60
	v_lshlrev_b32_e32 v2, 20, v2
	v_and_b32_e32 v24, 0x80000000, v24
	v_lshl_add_u32 v0, v0, 23, v25
	v_or3_b32 v2, v24, v0, v2
.LBB6_5350:                             ;   in Loop: Header=BB6_3885 Depth=4
	s_or_b64 exec, exec, s[50:51]
.LBB6_5351:                             ;   in Loop: Header=BB6_3885 Depth=4
	s_or_b64 exec, exec, s[48:49]
.LBB6_5352:                             ;   in Loop: Header=BB6_3885 Depth=4
	s_or_b64 exec, exec, s[40:41]
	v_max_f32_e32 v0, v2, v2
	v_max_f32_e32 v1, v1, v1
	v_min_f32_e32 v1, v1, v0
.LBB6_5353:                             ;   in Loop: Header=BB6_3885 Depth=4
	v_and_b32_e32 v52, 0x7f800000, v1
	v_cmp_ne_u64_e32 vcc, s[76:77], v[52:53]
                                        ; implicit-def: $vgpr24
	s_and_saveexec_b64 s[40:41], vcc
	s_xor_b64 s[48:49], exec, s[40:41]
	s_cbranch_execz .LBB6_5371
; %bb.5354:                             ;   in Loop: Header=BB6_3885 Depth=4
	v_and_b32_e32 v52, 0x7fffffff, v1
	v_cmp_gt_u64_e32 vcc, s[78:79], v[52:53]
	v_and_b32_sdwa v25, v1, s82 dst_sel:DWORD dst_unused:UNUSED_PAD src0_sel:BYTE_3 src1_sel:DWORD
                                        ; implicit-def: $vgpr24
	s_and_saveexec_b64 s[40:41], vcc
	s_xor_b64 s[50:51], exec, s[40:41]
	s_cbranch_execz .LBB6_5368
; %bb.5355:                             ;   in Loop: Header=BB6_3885 Depth=4
	v_cmp_ne_u32_e32 vcc, 0, v1
	v_mov_b32_e32 v24, 0
	s_and_saveexec_b64 s[52:53], vcc
	s_cbranch_execz .LBB6_5367
; %bb.5356:                             ;   in Loop: Header=BB6_3885 Depth=4
	v_bfe_u32 v24, v1, 23, 8
	v_and_b32_e32 v0, 0x7fffff, v1
	v_cmp_gt_u32_e64 s[40:41], s85, v24
	v_sub_u32_e32 v1, 0x79, v24
	v_cmp_eq_u32_e32 vcc, 0, v24
	v_cndmask_b32_e64 v1, 0, v1, s[40:41]
	v_mov_b32_e32 v28, 0x78
	v_or_b32_e32 v2, 0x800000, v0
	v_cndmask_b32_e32 v28, v1, v28, vcc
	v_cndmask_b32_e32 v52, v2, v0, vcc
	v_add_u32_e32 v0, 20, v28
	v_lshlrev_b64 v[0:1], v0, -1
	v_add_u32_e32 v2, 19, v28
	v_lshlrev_b64 v[29:30], v2, 1
	v_bfi_b32 v1, v1, 0, 0
	v_bfi_b32 v0, v0, 0, v52
	v_cmp_eq_u64_e64 s[40:41], v[0:1], v[29:30]
	v_lshrrev_b64 v[0:1], v28, v[52:53]
	v_mov_b32_e32 v2, v1
	v_mov_b32_e32 v1, v0
	s_and_saveexec_b64 s[54:55], s[40:41]
; %bb.5357:                             ;   in Loop: Header=BB6_3885 Depth=4
	v_bfe_u32 v1, v0, 20, 1
	v_add_co_u32_e64 v1, s[40:41], v0, v1
	v_add_co_u32_e64 v1, s[40:41], -1, v1
; %bb.5358:                             ;   in Loop: Header=BB6_3885 Depth=4
	s_or_b64 exec, exec, s[54:55]
	v_add_u32_e32 v2, 0xffffff81, v24
	v_mov_b32_e32 v24, 0xffffff82
	v_cndmask_b32_e32 v2, v2, v24, vcc
	v_lshrrev_b32_e32 v24, 23, v0
	v_add3_u32 v28, v28, v2, v24
	v_add_u32_e32 v24, 6, v28
	v_and_b32_e32 v1, 0xfffff, v1
	v_add_u32_e32 v52, v1, v0
	v_cmp_ne_u32_e32 vcc, 0, v24
                                        ; implicit-def: $vgpr0_vgpr1
                                        ; implicit-def: $vgpr2
	s_and_saveexec_b64 s[40:41], vcc
	s_xor_b64 s[40:41], exec, s[40:41]
; %bb.5359:                             ;   in Loop: Header=BB6_3885 Depth=4
	v_cmp_lt_u64_e32 vcc, s[88:89], v[52:53]
	v_add_u32_e32 v0, 7, v28
	v_cndmask_b32_e32 v2, v24, v0, vcc
	v_cndmask_b32_e64 v0, 0, 1, vcc
	v_lshrrev_b64 v[0:1], v0, v[52:53]
; %bb.5360:                             ;   in Loop: Header=BB6_3885 Depth=4
	s_andn2_saveexec_b64 s[40:41], s[40:41]
; %bb.5361:                             ;   in Loop: Header=BB6_3885 Depth=4
	v_mov_b32_e32 v0, v52
	v_bfe_u32 v2, v52, 23, 1
	v_mov_b32_e32 v1, v53
; %bb.5362:                             ;   in Loop: Header=BB6_3885 Depth=4
	s_or_b64 exec, exec, s[40:41]
	v_lshrrev_b64 v[0:1], 20, v[0:1]
	v_cmp_gt_i32_e32 vcc, 16, v2
	v_cndmask_b32_e32 v1, 0, v1, vcc
	v_cndmask_b32_e32 v0, 7, v0, vcc
	v_cmp_ne_u64_e32 vcc, 0, v[0:1]
	v_cmp_ne_u32_e64 s[40:41], 0, v2
	s_or_b64 s[40:41], s[40:41], vcc
                                        ; implicit-def: $vgpr24
	s_and_saveexec_b64 vcc, s[40:41]
	s_xor_b64 s[40:41], exec, vcc
; %bb.5363:                             ;   in Loop: Header=BB6_3885 Depth=4
	v_min_i32_e32 v1, 15, v2
	v_lshl_or_b32 v1, v1, 3, v25
	v_and_or_b32 v24, v0, 7, v1
                                        ; implicit-def: $vgpr25
; %bb.5364:                             ;   in Loop: Header=BB6_3885 Depth=4
	s_andn2_saveexec_b64 s[40:41], s[40:41]
; %bb.5365:                             ;   in Loop: Header=BB6_3885 Depth=4
	v_mov_b32_e32 v24, v25
; %bb.5366:                             ;   in Loop: Header=BB6_3885 Depth=4
	s_or_b64 exec, exec, s[40:41]
.LBB6_5367:                             ;   in Loop: Header=BB6_3885 Depth=4
	s_or_b64 exec, exec, s[52:53]
                                        ; implicit-def: $vgpr25
.LBB6_5368:                             ;   in Loop: Header=BB6_3885 Depth=4
	s_andn2_saveexec_b64 s[40:41], s[50:51]
; %bb.5369:                             ;   in Loop: Header=BB6_3885 Depth=4
	v_or_b32_e32 v24, 0x7e, v25
; %bb.5370:                             ;   in Loop: Header=BB6_3885 Depth=4
	s_or_b64 exec, exec, s[40:41]
                                        ; implicit-def: $vgpr1
.LBB6_5371:                             ;   in Loop: Header=BB6_3885 Depth=4
	s_andn2_saveexec_b64 s[40:41], s[48:49]
; %bb.5372:                             ;   in Loop: Header=BB6_3885 Depth=4
	v_or_b32_sdwa v24, v1, s83 dst_sel:DWORD dst_unused:UNUSED_PAD src0_sel:BYTE_3 src1_sel:DWORD
; %bb.5373:                             ;   in Loop: Header=BB6_3885 Depth=4
	s_or_b64 exec, exec, s[40:41]
	v_and_b32_e32 v0, 0xff, v50
	v_cmp_ne_u16_e64 s[40:41], 0, v0
	s_and_b64 vcc, exec, s[28:29]
	s_mov_b64 s[28:29], -1
                                        ; implicit-def: $vgpr2
	s_cbranch_vccnz .LBB6_5387
; %bb.5374:                             ;   in Loop: Header=BB6_3885 Depth=4
	v_mov_b32_e32 v25, 0
	v_mov_b32_e32 v2, 0
	s_and_saveexec_b64 s[28:29], s[40:41]
	s_cbranch_execz .LBB6_5380
; %bb.5375:                             ;   in Loop: Header=BB6_3885 Depth=4
	v_cmp_ne_u16_e32 vcc, s82, v0
	v_bfrev_b32_e32 v2, 1
	s_and_saveexec_b64 s[48:49], vcc
	s_cbranch_execz .LBB6_5379
; %bb.5376:                             ;   in Loop: Header=BB6_3885 Depth=4
	v_and_b32_e32 v1, 0x7f, v50
	v_cmp_ne_u32_e32 vcc, s83, v1
	v_mov_b32_e32 v2, 0x7f800001
	s_and_saveexec_b64 s[50:51], vcc
	s_cbranch_execz .LBB6_5378
; %bb.5377:                             ;   in Loop: Header=BB6_3885 Depth=4
	v_and_b32_e32 v28, 7, v0
	v_lshrrev_b32_e32 v29, 3, v1
	v_cmp_gt_u32_e32 vcc, 8, v1
	v_ffbh_u32_e32 v1, v28
	v_min_u32_e32 v30, 32, v1
	v_subrev_u32_e32 v1, 28, v30
	v_lshlrev_b64 v[1:2], v1, v[0:1]
	v_sub_u32_e32 v2, 29, v30
	v_and_b32_e32 v1, 7, v1
	v_cndmask_b32_e32 v2, v29, v2, vcc
	v_cndmask_b32_e32 v1, v28, v1, vcc
	v_lshlrev_b32_e32 v28, 24, v50
	v_bfrev_b32_e32 v29, 60
	v_lshlrev_b32_e32 v1, 20, v1
	v_and_b32_e32 v28, 0x80000000, v28
	v_lshl_add_u32 v2, v2, 23, v29
	v_or3_b32 v2, v28, v2, v1
.LBB6_5378:                             ;   in Loop: Header=BB6_3885 Depth=4
	s_or_b64 exec, exec, s[50:51]
.LBB6_5379:                             ;   in Loop: Header=BB6_3885 Depth=4
	s_or_b64 exec, exec, s[48:49]
.LBB6_5380:                             ;   in Loop: Header=BB6_3885 Depth=4
	s_or_b64 exec, exec, s[28:29]
	v_and_b32_e32 v1, 0xff, v51
	v_cmp_ne_u16_e32 vcc, 0, v1
	s_and_saveexec_b64 s[28:29], vcc
	s_cbranch_execz .LBB6_5386
; %bb.5381:                             ;   in Loop: Header=BB6_3885 Depth=4
	v_cmp_ne_u16_e32 vcc, s82, v1
	v_bfrev_b32_e32 v25, 1
	s_and_saveexec_b64 s[48:49], vcc
	s_cbranch_execz .LBB6_5385
; %bb.5382:                             ;   in Loop: Header=BB6_3885 Depth=4
	v_and_b32_e32 v28, 0x7f, v51
	v_cmp_ne_u32_e32 vcc, s83, v28
	v_mov_b32_e32 v25, 0x7f800001
	s_and_saveexec_b64 s[50:51], vcc
	s_cbranch_execz .LBB6_5384
; %bb.5383:                             ;   in Loop: Header=BB6_3885 Depth=4
	v_and_b32_e32 v25, 7, v1
	v_lshrrev_b32_e32 v30, 3, v28
	v_cmp_gt_u32_e32 vcc, 8, v28
	v_ffbh_u32_e32 v28, v25
	v_min_u32_e32 v31, 32, v28
	v_subrev_u32_e32 v28, 28, v31
	v_lshlrev_b64 v[28:29], v28, v[1:2]
	v_sub_u32_e32 v1, 29, v31
	v_and_b32_e32 v28, 7, v28
	v_cndmask_b32_e32 v1, v30, v1, vcc
	v_cndmask_b32_e32 v25, v25, v28, vcc
	v_lshlrev_b32_e32 v28, 24, v51
	v_bfrev_b32_e32 v29, 60
	v_lshlrev_b32_e32 v25, 20, v25
	v_and_b32_e32 v28, 0x80000000, v28
	v_lshl_add_u32 v1, v1, 23, v29
	v_or3_b32 v25, v28, v1, v25
.LBB6_5384:                             ;   in Loop: Header=BB6_3885 Depth=4
	s_or_b64 exec, exec, s[50:51]
.LBB6_5385:                             ;   in Loop: Header=BB6_3885 Depth=4
	s_or_b64 exec, exec, s[48:49]
.LBB6_5386:                             ;   in Loop: Header=BB6_3885 Depth=4
	s_or_b64 exec, exec, s[28:29]
	v_max_f32_e32 v1, v25, v25
	v_max_f32_e32 v2, v2, v2
	;; [unrolled: 1-line block ×3, first 2 shown]
	s_mov_b64 s[28:29], 0
.LBB6_5387:                             ;   in Loop: Header=BB6_3885 Depth=4
	s_and_b64 vcc, exec, s[28:29]
	s_cbranch_vccz .LBB6_5401
; %bb.5388:                             ;   in Loop: Header=BB6_3885 Depth=4
	v_mov_b32_e32 v2, 0
	v_mov_b32_e32 v1, 0
	s_and_saveexec_b64 s[28:29], s[40:41]
	s_cbranch_execz .LBB6_5394
; %bb.5389:                             ;   in Loop: Header=BB6_3885 Depth=4
	v_cmp_ne_u16_e32 vcc, s82, v0
	v_bfrev_b32_e32 v1, 1
	s_and_saveexec_b64 s[40:41], vcc
	s_cbranch_execz .LBB6_5393
; %bb.5390:                             ;   in Loop: Header=BB6_3885 Depth=4
	v_and_b32_e32 v25, 0x7f, v50
	v_cmp_ne_u32_e32 vcc, s83, v25
	v_mov_b32_e32 v1, 0x7f800001
	s_and_saveexec_b64 s[48:49], vcc
	s_cbranch_execz .LBB6_5392
; %bb.5391:                             ;   in Loop: Header=BB6_3885 Depth=4
	v_and_b32_e32 v28, 7, v0
	v_ffbh_u32_e32 v1, v28
	v_lshrrev_b32_e32 v29, 3, v25
	v_cmp_gt_u32_e32 vcc, 8, v25
	v_min_u32_e32 v25, 32, v1
	v_subrev_u32_e32 v1, 28, v25
	v_lshlrev_b64 v[0:1], v1, v[0:1]
	v_sub_u32_e32 v1, 29, v25
	v_and_b32_e32 v0, 7, v0
	v_cndmask_b32_e32 v1, v29, v1, vcc
	v_cndmask_b32_e32 v0, v28, v0, vcc
	v_lshlrev_b32_e32 v25, 24, v50
	v_bfrev_b32_e32 v28, 60
	v_lshlrev_b32_e32 v0, 20, v0
	v_and_b32_e32 v25, 0x80000000, v25
	v_lshl_add_u32 v1, v1, 23, v28
	v_or3_b32 v1, v25, v1, v0
.LBB6_5392:                             ;   in Loop: Header=BB6_3885 Depth=4
	s_or_b64 exec, exec, s[48:49]
.LBB6_5393:                             ;   in Loop: Header=BB6_3885 Depth=4
	s_or_b64 exec, exec, s[40:41]
.LBB6_5394:                             ;   in Loop: Header=BB6_3885 Depth=4
	s_or_b64 exec, exec, s[28:29]
	v_and_b32_e32 v0, 0xff, v51
	v_cmp_ne_u16_e32 vcc, 0, v0
	s_and_saveexec_b64 s[28:29], vcc
	s_cbranch_execz .LBB6_5400
; %bb.5395:                             ;   in Loop: Header=BB6_3885 Depth=4
	v_cmp_ne_u16_e32 vcc, s82, v0
	v_bfrev_b32_e32 v2, 1
	s_and_saveexec_b64 s[40:41], vcc
	s_cbranch_execz .LBB6_5399
; %bb.5396:                             ;   in Loop: Header=BB6_3885 Depth=4
	v_and_b32_e32 v25, 0x7f, v51
	v_cmp_ne_u32_e32 vcc, s83, v25
	v_mov_b32_e32 v2, 0x7f800001
	s_and_saveexec_b64 s[48:49], vcc
	s_cbranch_execz .LBB6_5398
; %bb.5397:                             ;   in Loop: Header=BB6_3885 Depth=4
	v_and_b32_e32 v2, 7, v0
	v_lshrrev_b32_e32 v30, 3, v25
	v_cmp_gt_u32_e32 vcc, 8, v25
	v_ffbh_u32_e32 v25, v2
	v_min_u32_e32 v25, 32, v25
	v_subrev_u32_e32 v28, 28, v25
	v_lshlrev_b64 v[28:29], v28, v[0:1]
	v_sub_u32_e32 v0, 29, v25
	v_and_b32_e32 v25, 7, v28
	v_cndmask_b32_e32 v0, v30, v0, vcc
	v_cndmask_b32_e32 v2, v2, v25, vcc
	v_lshlrev_b32_e32 v25, 24, v51
	v_bfrev_b32_e32 v28, 60
	v_lshlrev_b32_e32 v2, 20, v2
	v_and_b32_e32 v25, 0x80000000, v25
	v_lshl_add_u32 v0, v0, 23, v28
	v_or3_b32 v2, v25, v0, v2
.LBB6_5398:                             ;   in Loop: Header=BB6_3885 Depth=4
	s_or_b64 exec, exec, s[48:49]
.LBB6_5399:                             ;   in Loop: Header=BB6_3885 Depth=4
	s_or_b64 exec, exec, s[40:41]
.LBB6_5400:                             ;   in Loop: Header=BB6_3885 Depth=4
	s_or_b64 exec, exec, s[28:29]
	v_max_f32_e32 v0, v2, v2
	v_max_f32_e32 v1, v1, v1
	v_min_f32_e32 v2, v1, v0
.LBB6_5401:                             ;   in Loop: Header=BB6_3885 Depth=4
	v_and_b32_e32 v52, 0x7f800000, v2
	v_cmp_ne_u64_e32 vcc, s[76:77], v[52:53]
                                        ; implicit-def: $vgpr1
	s_and_saveexec_b64 s[28:29], vcc
	s_xor_b64 s[40:41], exec, s[28:29]
	s_cbranch_execz .LBB6_5419
; %bb.5402:                             ;   in Loop: Header=BB6_3885 Depth=4
	v_and_b32_e32 v52, 0x7fffffff, v2
	v_cmp_gt_u64_e32 vcc, s[78:79], v[52:53]
	v_and_b32_sdwa v25, v2, s82 dst_sel:DWORD dst_unused:UNUSED_PAD src0_sel:BYTE_3 src1_sel:DWORD
                                        ; implicit-def: $vgpr1
	s_and_saveexec_b64 s[28:29], vcc
	s_xor_b64 s[48:49], exec, s[28:29]
	s_cbranch_execz .LBB6_5416
; %bb.5403:                             ;   in Loop: Header=BB6_3885 Depth=4
	v_cmp_ne_u32_e32 vcc, 0, v2
	v_mov_b32_e32 v1, 0
	s_and_saveexec_b64 s[50:51], vcc
	s_cbranch_execz .LBB6_5415
; %bb.5404:                             ;   in Loop: Header=BB6_3885 Depth=4
	v_bfe_u32 v28, v2, 23, 8
	v_cmp_gt_u32_e64 s[28:29], s85, v28
	v_sub_u32_e32 v1, 0x79, v28
	v_and_b32_e32 v0, 0x7fffff, v2
	v_cmp_eq_u32_e32 vcc, 0, v28
	v_cndmask_b32_e64 v1, 0, v1, s[28:29]
	v_mov_b32_e32 v29, 0x78
	v_or_b32_e32 v2, 0x800000, v0
	v_cndmask_b32_e32 v29, v1, v29, vcc
	v_cndmask_b32_e32 v52, v2, v0, vcc
	v_add_u32_e32 v0, 20, v29
	v_lshlrev_b64 v[0:1], v0, -1
	v_add_u32_e32 v2, 19, v29
	v_lshlrev_b64 v[30:31], v2, 1
	v_bfi_b32 v1, v1, 0, 0
	v_bfi_b32 v0, v0, 0, v52
	v_cmp_eq_u64_e64 s[28:29], v[0:1], v[30:31]
	v_lshrrev_b64 v[0:1], v29, v[52:53]
	v_mov_b32_e32 v2, v1
	v_mov_b32_e32 v1, v0
	s_and_saveexec_b64 s[52:53], s[28:29]
; %bb.5405:                             ;   in Loop: Header=BB6_3885 Depth=4
	v_bfe_u32 v1, v0, 20, 1
	v_add_co_u32_e64 v1, s[28:29], v0, v1
	v_add_co_u32_e64 v1, s[28:29], -1, v1
; %bb.5406:                             ;   in Loop: Header=BB6_3885 Depth=4
	s_or_b64 exec, exec, s[52:53]
	v_add_u32_e32 v2, 0xffffff81, v28
	v_mov_b32_e32 v28, 0xffffff82
	v_cndmask_b32_e32 v2, v2, v28, vcc
	v_lshrrev_b32_e32 v28, 23, v0
	v_add3_u32 v29, v29, v2, v28
	v_add_u32_e32 v28, 6, v29
	v_and_b32_e32 v1, 0xfffff, v1
	v_add_u32_e32 v52, v1, v0
	v_cmp_ne_u32_e32 vcc, 0, v28
                                        ; implicit-def: $vgpr0_vgpr1
                                        ; implicit-def: $vgpr2
	s_and_saveexec_b64 s[28:29], vcc
	s_xor_b64 s[28:29], exec, s[28:29]
; %bb.5407:                             ;   in Loop: Header=BB6_3885 Depth=4
	v_cmp_lt_u64_e32 vcc, s[88:89], v[52:53]
	v_add_u32_e32 v0, 7, v29
	v_cndmask_b32_e32 v2, v28, v0, vcc
	v_cndmask_b32_e64 v0, 0, 1, vcc
	v_lshrrev_b64 v[0:1], v0, v[52:53]
; %bb.5408:                             ;   in Loop: Header=BB6_3885 Depth=4
	s_andn2_saveexec_b64 s[28:29], s[28:29]
; %bb.5409:                             ;   in Loop: Header=BB6_3885 Depth=4
	v_mov_b32_e32 v0, v52
	v_bfe_u32 v2, v52, 23, 1
	v_mov_b32_e32 v1, v53
; %bb.5410:                             ;   in Loop: Header=BB6_3885 Depth=4
	s_or_b64 exec, exec, s[28:29]
	v_lshrrev_b64 v[0:1], 20, v[0:1]
	v_cmp_gt_i32_e32 vcc, 16, v2
	v_cndmask_b32_e32 v1, 0, v1, vcc
	v_cndmask_b32_e32 v0, 7, v0, vcc
	v_cmp_ne_u64_e32 vcc, 0, v[0:1]
	v_cmp_ne_u32_e64 s[28:29], 0, v2
	s_or_b64 s[28:29], s[28:29], vcc
                                        ; implicit-def: $vgpr1
	s_and_saveexec_b64 vcc, s[28:29]
	s_xor_b64 s[28:29], exec, vcc
; %bb.5411:                             ;   in Loop: Header=BB6_3885 Depth=4
	v_min_i32_e32 v1, 15, v2
	v_lshl_or_b32 v1, v1, 3, v25
	v_and_or_b32 v1, v0, 7, v1
                                        ; implicit-def: $vgpr25
; %bb.5412:                             ;   in Loop: Header=BB6_3885 Depth=4
	s_andn2_saveexec_b64 s[28:29], s[28:29]
; %bb.5413:                             ;   in Loop: Header=BB6_3885 Depth=4
	v_mov_b32_e32 v1, v25
; %bb.5414:                             ;   in Loop: Header=BB6_3885 Depth=4
	s_or_b64 exec, exec, s[28:29]
.LBB6_5415:                             ;   in Loop: Header=BB6_3885 Depth=4
	s_or_b64 exec, exec, s[50:51]
                                        ; implicit-def: $vgpr25
.LBB6_5416:                             ;   in Loop: Header=BB6_3885 Depth=4
	s_andn2_saveexec_b64 s[28:29], s[48:49]
; %bb.5417:                             ;   in Loop: Header=BB6_3885 Depth=4
	v_or_b32_e32 v1, 0x7e, v25
; %bb.5418:                             ;   in Loop: Header=BB6_3885 Depth=4
	s_or_b64 exec, exec, s[28:29]
                                        ; implicit-def: $vgpr2
.LBB6_5419:                             ;   in Loop: Header=BB6_3885 Depth=4
	s_andn2_saveexec_b64 s[28:29], s[40:41]
	s_cbranch_execz .LBB6_3884
; %bb.5420:                             ;   in Loop: Header=BB6_3885 Depth=4
	v_or_b32_sdwa v1, v2, s83 dst_sel:DWORD dst_unused:UNUSED_PAD src0_sel:BYTE_3 src1_sel:DWORD
	s_branch .LBB6_3884
.LBB6_5421:                             ;   in Loop: Header=BB6_272 Depth=3
	s_or_b64 exec, exec, s[38:39]
	buffer_load_dword v38, off, s[0:3], s33 offset:308 ; 4-byte Folded Reload
	buffer_load_dword v49, off, s[0:3], s33 offset:284 ; 4-byte Folded Reload
	;; [unrolled: 1-line block ×12, first 2 shown]
.LBB6_5422:                             ;   in Loop: Header=BB6_272 Depth=3
	s_or_b64 exec, exec, s[42:43]
	s_waitcnt vmcnt(0)
	v_lshlrev_b32_e32 v0, 11, v1
	v_cmp_ne_u32_e32 vcc, v5, v0
	s_and_b64 exec, exec, vcc
	s_cbranch_execz .LBB6_5474
; %bb.5423:                             ;   in Loop: Header=BB6_272 Depth=3
	v_lshlrev_b32_e32 v1, 6, v4
	v_sub_u32_e32 v1, v2, v1
	v_lshlrev_b32_e32 v2, 6, v7
	v_sub_u32_e32 v1, v1, v2
	v_add_u32_e32 v0, v0, v1
	v_sub_u32_e32 v4, v5, v0
	v_cmp_lt_i32_e32 vcc, 0, v4
	s_and_b64 exec, exec, vcc
	s_cbranch_execz .LBB6_5474
; %bb.5424:                             ;   in Loop: Header=BB6_272 Depth=3
	s_trap 2
	ds_read_b128 v[6:9], v0
	v_add_u32_e32 v5, v0, v3
	ds_read_b64 v[0:1], v0
	v_ashrrev_i32_e32 v11, 31, v5
	s_bitcmp1_b32 s87, 0
	s_waitcnt lgkmcnt(0)
	v_add_co_u32_e32 v2, vcc, v6, v5
	v_addc_co_u32_e32 v3, vcc, v7, v11, vcc
	v_add_co_u32_e32 v8, vcc, v8, v5
	v_addc_co_u32_e32 v9, vcc, v9, v11, vcc
	;; [unrolled: 2-line block ×3, first 2 shown]
	s_mov_b64 s[46:47], 0
	s_cselect_b64 s[38:39], -1, 0
	s_branch .LBB6_5426
.LBB6_5425:                             ;   in Loop: Header=BB6_5426 Depth=4
	s_or_b64 exec, exec, s[28:29]
	buffer_load_dword v0, off, s[0:3], s33 offset:188 ; 4-byte Folded Reload
	s_waitcnt vmcnt(0)
	v_add_co_u32_e32 v2, vcc, v2, v0
	v_addc_co_u32_e32 v3, vcc, 0, v3, vcc
	v_add_co_u32_e32 v8, vcc, v8, v0
	v_addc_co_u32_e32 v9, vcc, 0, v9, vcc
	v_sub_u32_e32 v4, v4, v0
	v_cmp_gt_i32_e32 vcc, 1, v4
	flat_store_byte v[10:11], v1 glc slc
	s_or_b64 s[46:47], vcc, s[46:47]
	v_add_co_u32_e32 v10, vcc, v10, v0
	v_addc_co_u32_e32 v11, vcc, 0, v11, vcc
	s_andn2_b64 exec, exec, s[46:47]
	s_cbranch_execz .LBB6_5474
.LBB6_5426:                             ;   Parent Loop BB6_47 Depth=1
                                        ;     Parent Loop BB6_269 Depth=2
                                        ;       Parent Loop BB6_272 Depth=3
                                        ; =>      This Inner Loop Header: Depth=4
	flat_load_ubyte v5, v[8:9] glc slc
	flat_load_ubyte v6, v[2:3] glc slc
	s_mov_b64 s[48:49], -1
	s_and_b64 vcc, exec, s[38:39]
                                        ; implicit-def: $vgpr0
	s_waitcnt vmcnt(0) lgkmcnt(0)
	v_cmp_ne_u16_e64 s[40:41], 0, v5
	v_cmp_ne_u16_e64 s[28:29], s82, v5
	v_and_b32_sdwa v1, sext(v5), s84 dst_sel:DWORD dst_unused:UNUSED_PAD src0_sel:BYTE_0 src1_sel:DWORD
	v_cmp_ne_u16_e64 s[42:43], 0, v6
	s_cbranch_vccz .LBB6_5440
; %bb.5427:                             ;   in Loop: Header=BB6_5426 Depth=4
	v_mov_b32_e32 v7, 0
	v_mov_b32_e32 v12, 0
	s_and_saveexec_b64 s[48:49], s[42:43]
	s_cbranch_execz .LBB6_5433
; %bb.5428:                             ;   in Loop: Header=BB6_5426 Depth=4
	v_cmp_ne_u16_e32 vcc, s82, v6
	v_bfrev_b32_e32 v12, 1
	s_and_saveexec_b64 s[50:51], vcc
	s_cbranch_execz .LBB6_5432
; %bb.5429:                             ;   in Loop: Header=BB6_5426 Depth=4
	v_and_b32_e32 v0, 0xffff, v6
	v_and_b32_e32 v13, 0x7f, v0
	v_cmp_ne_u32_e32 vcc, s83, v13
	v_mov_b32_e32 v12, 0x7f800001
	s_and_saveexec_b64 s[52:53], vcc
	s_cbranch_execz .LBB6_5431
; %bb.5430:                             ;   in Loop: Header=BB6_5426 Depth=4
	v_and_b32_e32 v14, 7, v0
	v_ffbh_u32_e32 v12, v14
	v_min_u32_e32 v16, 32, v12
	v_subrev_u32_e32 v12, 28, v16
	v_lshrrev_b32_e32 v15, 3, v13
	v_cmp_gt_u32_e32 vcc, 8, v13
	v_lshlrev_b64 v[12:13], v12, v[0:1]
	v_sub_u32_e32 v0, 29, v16
	v_and_b32_e32 v12, 7, v12
	v_cndmask_b32_e32 v0, v15, v0, vcc
	v_cndmask_b32_e32 v12, v14, v12, vcc
	v_lshlrev_b32_e32 v13, 24, v6
	v_bfrev_b32_e32 v14, 60
	v_lshlrev_b32_e32 v12, 20, v12
	v_and_b32_e32 v13, 0x80000000, v13
	v_lshl_add_u32 v0, v0, 23, v14
	v_or3_b32 v12, v13, v0, v12
.LBB6_5431:                             ;   in Loop: Header=BB6_5426 Depth=4
	s_or_b64 exec, exec, s[52:53]
.LBB6_5432:                             ;   in Loop: Header=BB6_5426 Depth=4
	s_or_b64 exec, exec, s[50:51]
.LBB6_5433:                             ;   in Loop: Header=BB6_5426 Depth=4
	s_or_b64 exec, exec, s[48:49]
	s_and_saveexec_b64 s[48:49], s[40:41]
	s_cbranch_execz .LBB6_5439
; %bb.5434:                             ;   in Loop: Header=BB6_5426 Depth=4
	v_bfrev_b32_e32 v7, 1
	s_and_saveexec_b64 s[50:51], s[28:29]
	s_cbranch_execz .LBB6_5438
; %bb.5435:                             ;   in Loop: Header=BB6_5426 Depth=4
	v_and_b32_e32 v0, 0xffff, v5
	v_and_b32_e32 v13, 0x7f, v0
	v_cmp_ne_u32_e32 vcc, s83, v13
	v_mov_b32_e32 v7, 0x7f800001
	s_and_saveexec_b64 s[52:53], vcc
	s_cbranch_execz .LBB6_5437
; %bb.5436:                             ;   in Loop: Header=BB6_5426 Depth=4
	v_and_b32_e32 v7, 7, v0
	v_lshrrev_b32_e32 v15, 3, v13
	v_cmp_gt_u32_e32 vcc, 8, v13
	v_ffbh_u32_e32 v13, v7
	v_min_u32_e32 v16, 32, v13
	v_subrev_u32_e32 v13, 28, v16
	v_lshlrev_b64 v[13:14], v13, v[0:1]
	v_sub_u32_e32 v0, 29, v16
	v_and_b32_e32 v13, 7, v13
	v_cndmask_b32_e32 v7, v7, v13, vcc
	v_cndmask_b32_e32 v0, v15, v0, vcc
	v_lshlrev_b32_e32 v7, 20, v7
	v_lshl_or_b32 v0, v0, 23, v7
	v_add_u32_e32 v0, 0x3c000000, v0
	v_or_b32_e32 v7, v0, v1
.LBB6_5437:                             ;   in Loop: Header=BB6_5426 Depth=4
	s_or_b64 exec, exec, s[52:53]
.LBB6_5438:                             ;   in Loop: Header=BB6_5426 Depth=4
	s_or_b64 exec, exec, s[50:51]
.LBB6_5439:                             ;   in Loop: Header=BB6_5426 Depth=4
	s_or_b64 exec, exec, s[48:49]
	v_max_f32_e32 v0, v7, v7
	v_max_f32_e32 v7, v12, v12
	;; [unrolled: 1-line block ×3, first 2 shown]
	s_mov_b64 s[48:49], 0
.LBB6_5440:                             ;   in Loop: Header=BB6_5426 Depth=4
	s_and_b64 vcc, exec, s[48:49]
	s_cbranch_vccz .LBB6_5454
; %bb.5441:                             ;   in Loop: Header=BB6_5426 Depth=4
	v_mov_b32_e32 v7, 0
	v_mov_b32_e32 v12, 0
	s_and_saveexec_b64 s[48:49], s[42:43]
	s_cbranch_execz .LBB6_5447
; %bb.5442:                             ;   in Loop: Header=BB6_5426 Depth=4
	v_cmp_ne_u16_e32 vcc, s82, v6
	v_bfrev_b32_e32 v12, 1
	s_and_saveexec_b64 s[42:43], vcc
	s_cbranch_execz .LBB6_5446
; %bb.5443:                             ;   in Loop: Header=BB6_5426 Depth=4
	v_and_b32_e32 v0, 0xffff, v6
	v_and_b32_e32 v13, 0x7f, v0
	v_cmp_ne_u32_e32 vcc, s83, v13
	v_mov_b32_e32 v12, 0x7f800001
	s_and_saveexec_b64 s[50:51], vcc
	s_cbranch_execz .LBB6_5445
; %bb.5444:                             ;   in Loop: Header=BB6_5426 Depth=4
	v_and_b32_e32 v14, 7, v0
	v_ffbh_u32_e32 v12, v14
	v_min_u32_e32 v16, 32, v12
	v_subrev_u32_e32 v12, 28, v16
	v_lshrrev_b32_e32 v15, 3, v13
	v_cmp_gt_u32_e32 vcc, 8, v13
	v_lshlrev_b64 v[12:13], v12, v[0:1]
	v_sub_u32_e32 v0, 29, v16
	v_and_b32_e32 v12, 7, v12
	v_cndmask_b32_e32 v0, v15, v0, vcc
	v_cndmask_b32_e32 v12, v14, v12, vcc
	v_lshlrev_b32_e32 v6, 24, v6
	v_bfrev_b32_e32 v13, 60
	v_lshlrev_b32_e32 v12, 20, v12
	v_and_b32_e32 v6, 0x80000000, v6
	v_lshl_add_u32 v0, v0, 23, v13
	v_or3_b32 v12, v6, v0, v12
.LBB6_5445:                             ;   in Loop: Header=BB6_5426 Depth=4
	s_or_b64 exec, exec, s[50:51]
.LBB6_5446:                             ;   in Loop: Header=BB6_5426 Depth=4
	s_or_b64 exec, exec, s[42:43]
.LBB6_5447:                             ;   in Loop: Header=BB6_5426 Depth=4
	s_or_b64 exec, exec, s[48:49]
	s_and_saveexec_b64 s[42:43], s[40:41]
	s_cbranch_execz .LBB6_5453
; %bb.5448:                             ;   in Loop: Header=BB6_5426 Depth=4
	v_bfrev_b32_e32 v7, 1
	s_and_saveexec_b64 s[40:41], s[28:29]
	s_cbranch_execz .LBB6_5452
; %bb.5449:                             ;   in Loop: Header=BB6_5426 Depth=4
	v_and_b32_e32 v0, 0xffff, v5
	v_and_b32_e32 v5, 0x7f, v0
	v_cmp_ne_u32_e32 vcc, s83, v5
	v_mov_b32_e32 v7, 0x7f800001
	s_and_saveexec_b64 s[28:29], vcc
	s_cbranch_execz .LBB6_5451
; %bb.5450:                             ;   in Loop: Header=BB6_5426 Depth=4
	v_and_b32_e32 v7, 7, v0
	v_lshrrev_b32_e32 v13, 3, v5
	v_cmp_gt_u32_e32 vcc, 8, v5
	v_ffbh_u32_e32 v5, v7
	v_min_u32_e32 v14, 32, v5
	v_subrev_u32_e32 v5, 28, v14
	v_lshlrev_b64 v[5:6], v5, v[0:1]
	v_sub_u32_e32 v0, 29, v14
	v_and_b32_e32 v5, 7, v5
	v_cndmask_b32_e32 v5, v7, v5, vcc
	v_cndmask_b32_e32 v0, v13, v0, vcc
	v_lshlrev_b32_e32 v5, 20, v5
	v_lshl_or_b32 v0, v0, 23, v5
	v_add_u32_e32 v0, 0x3c000000, v0
	v_or_b32_e32 v7, v0, v1
.LBB6_5451:                             ;   in Loop: Header=BB6_5426 Depth=4
	s_or_b64 exec, exec, s[28:29]
.LBB6_5452:                             ;   in Loop: Header=BB6_5426 Depth=4
	s_or_b64 exec, exec, s[40:41]
.LBB6_5453:                             ;   in Loop: Header=BB6_5426 Depth=4
	s_or_b64 exec, exec, s[42:43]
	v_max_f32_e32 v0, v7, v7
	v_max_f32_e32 v1, v12, v12
	v_min_f32_e32 v0, v1, v0
.LBB6_5454:                             ;   in Loop: Header=BB6_5426 Depth=4
	v_and_b32_e32 v52, 0x7f800000, v0
	v_cmp_ne_u64_e32 vcc, s[76:77], v[52:53]
                                        ; implicit-def: $vgpr1
	s_and_saveexec_b64 s[28:29], vcc
	s_xor_b64 s[40:41], exec, s[28:29]
	s_cbranch_execz .LBB6_5472
; %bb.5455:                             ;   in Loop: Header=BB6_5426 Depth=4
	v_and_b32_e32 v52, 0x7fffffff, v0
	v_cmp_gt_u64_e32 vcc, s[78:79], v[52:53]
	v_and_b32_sdwa v7, v0, s82 dst_sel:DWORD dst_unused:UNUSED_PAD src0_sel:BYTE_3 src1_sel:DWORD
                                        ; implicit-def: $vgpr1
	s_and_saveexec_b64 s[28:29], vcc
	s_xor_b64 s[42:43], exec, s[28:29]
	s_cbranch_execz .LBB6_5469
; %bb.5456:                             ;   in Loop: Header=BB6_5426 Depth=4
	v_cmp_ne_u32_e32 vcc, 0, v0
	v_mov_b32_e32 v1, 0
	s_and_saveexec_b64 s[48:49], vcc
	s_cbranch_execz .LBB6_5468
; %bb.5457:                             ;   in Loop: Header=BB6_5426 Depth=4
	v_bfe_u32 v12, v0, 23, 8
	v_and_b32_e32 v1, 0x7fffff, v0
	v_cmp_gt_u32_e64 s[28:29], s85, v12
	v_sub_u32_e32 v0, 0x79, v12
	v_cmp_eq_u32_e32 vcc, 0, v12
	v_cndmask_b32_e64 v0, 0, v0, s[28:29]
	v_mov_b32_e32 v6, 0x78
	v_cndmask_b32_e32 v13, v0, v6, vcc
	v_or_b32_e32 v5, 0x800000, v1
	v_add_u32_e32 v0, 20, v13
	v_cndmask_b32_e32 v52, v5, v1, vcc
	v_lshlrev_b64 v[0:1], v0, -1
	v_add_u32_e32 v5, 19, v13
	v_lshlrev_b64 v[5:6], v5, 1
	v_bfi_b32 v1, v1, 0, 0
	v_bfi_b32 v0, v0, 0, v52
	v_cmp_eq_u64_e64 s[28:29], v[0:1], v[5:6]
	v_lshrrev_b64 v[0:1], v13, v[52:53]
	v_mov_b32_e32 v6, v1
	v_mov_b32_e32 v5, v0
	s_and_saveexec_b64 s[50:51], s[28:29]
; %bb.5458:                             ;   in Loop: Header=BB6_5426 Depth=4
	v_bfe_u32 v1, v0, 20, 1
	v_add_co_u32_e64 v1, s[28:29], v0, v1
	v_add_co_u32_e64 v5, s[28:29], -1, v1
; %bb.5459:                             ;   in Loop: Header=BB6_5426 Depth=4
	s_or_b64 exec, exec, s[50:51]
	v_add_u32_e32 v1, 0xffffff81, v12
	v_mov_b32_e32 v6, 0xffffff82
	v_cndmask_b32_e32 v1, v1, v6, vcc
	v_lshrrev_b32_e32 v6, 23, v0
	v_add3_u32 v12, v13, v1, v6
	v_add_u32_e32 v6, 6, v12
	v_and_b32_e32 v1, 0xfffff, v5
	v_add_u32_e32 v52, v1, v0
	v_cmp_ne_u32_e32 vcc, 0, v6
                                        ; implicit-def: $vgpr0_vgpr1
                                        ; implicit-def: $vgpr5
	s_and_saveexec_b64 s[28:29], vcc
	s_xor_b64 s[28:29], exec, s[28:29]
; %bb.5460:                             ;   in Loop: Header=BB6_5426 Depth=4
	v_cmp_lt_u64_e32 vcc, s[88:89], v[52:53]
	v_add_u32_e32 v0, 7, v12
	v_cndmask_b32_e32 v5, v6, v0, vcc
	v_cndmask_b32_e64 v0, 0, 1, vcc
	v_lshrrev_b64 v[0:1], v0, v[52:53]
; %bb.5461:                             ;   in Loop: Header=BB6_5426 Depth=4
	s_andn2_saveexec_b64 s[28:29], s[28:29]
; %bb.5462:                             ;   in Loop: Header=BB6_5426 Depth=4
	v_mov_b32_e32 v0, v52
	v_bfe_u32 v5, v52, 23, 1
	v_mov_b32_e32 v1, v53
; %bb.5463:                             ;   in Loop: Header=BB6_5426 Depth=4
	s_or_b64 exec, exec, s[28:29]
	v_lshrrev_b64 v[0:1], 20, v[0:1]
	v_cmp_gt_i32_e32 vcc, 16, v5
	v_cndmask_b32_e32 v1, 0, v1, vcc
	v_cndmask_b32_e32 v0, 7, v0, vcc
	v_cmp_ne_u64_e32 vcc, 0, v[0:1]
	v_cmp_ne_u32_e64 s[28:29], 0, v5
	s_or_b64 s[28:29], s[28:29], vcc
                                        ; implicit-def: $vgpr1
	s_and_saveexec_b64 vcc, s[28:29]
	s_xor_b64 s[28:29], exec, vcc
; %bb.5464:                             ;   in Loop: Header=BB6_5426 Depth=4
	v_min_i32_e32 v1, 15, v5
	v_lshl_or_b32 v1, v1, 3, v7
	v_and_or_b32 v1, v0, 7, v1
                                        ; implicit-def: $vgpr7
; %bb.5465:                             ;   in Loop: Header=BB6_5426 Depth=4
	s_andn2_saveexec_b64 s[28:29], s[28:29]
; %bb.5466:                             ;   in Loop: Header=BB6_5426 Depth=4
	v_mov_b32_e32 v1, v7
; %bb.5467:                             ;   in Loop: Header=BB6_5426 Depth=4
	s_or_b64 exec, exec, s[28:29]
.LBB6_5468:                             ;   in Loop: Header=BB6_5426 Depth=4
	s_or_b64 exec, exec, s[48:49]
                                        ; implicit-def: $vgpr7
.LBB6_5469:                             ;   in Loop: Header=BB6_5426 Depth=4
	s_andn2_saveexec_b64 s[28:29], s[42:43]
; %bb.5470:                             ;   in Loop: Header=BB6_5426 Depth=4
	v_or_b32_e32 v1, 0x7e, v7
; %bb.5471:                             ;   in Loop: Header=BB6_5426 Depth=4
	s_or_b64 exec, exec, s[28:29]
                                        ; implicit-def: $vgpr0
.LBB6_5472:                             ;   in Loop: Header=BB6_5426 Depth=4
	s_andn2_saveexec_b64 s[28:29], s[40:41]
	s_cbranch_execz .LBB6_5425
; %bb.5473:                             ;   in Loop: Header=BB6_5426 Depth=4
	v_or_b32_sdwa v1, v0, s83 dst_sel:DWORD dst_unused:UNUSED_PAD src0_sel:BYTE_3 src1_sel:DWORD
	s_branch .LBB6_5425
.LBB6_5474:                             ;   in Loop: Header=BB6_272 Depth=3
	s_or_b64 exec, exec, s[44:45]
	v_cmp_lt_i32_e64 s[28:29], 0, v50
	s_and_saveexec_b64 s[40:41], s[10:11]
	s_cbranch_execnz .LBB6_5475
; %bb.16591:                            ;   in Loop: Header=BB6_272 Depth=3
	s_getpc_b64 s[98:99]
.Lpost_getpc32:
	s_add_u32 s98, s98, (.LBB6_347-.Lpost_getpc32)&4294967295
	s_addc_u32 s99, s99, (.LBB6_347-.Lpost_getpc32)>>32
	s_setpc_b64 s[98:99]
.LBB6_5475:                             ;   in Loop: Header=BB6_272 Depth=3
	s_and_saveexec_b64 s[42:43], s[72:73]
	s_xor_b64 s[42:43], exec, s[42:43]
	s_cbranch_execz .LBB6_5490
; %bb.5476:                             ;   in Loop: Header=BB6_272 Depth=3
	s_and_saveexec_b64 s[44:45], s[16:17]
	s_cbranch_execz .LBB6_5489
; %bb.5477:                             ;   in Loop: Header=BB6_272 Depth=3
	s_mov_b64 s[38:39], exec
	v_mbcnt_lo_u32_b32 v0, s38, 0
	v_mbcnt_hi_u32_b32 v0, s39, v0
	v_cmp_eq_u32_e32 vcc, 0, v0
	s_waitcnt vmcnt(0) lgkmcnt(0)
	buffer_wbinvl1_vol
	s_and_saveexec_b64 s[46:47], vcc
	s_cbranch_execz .LBB6_5479
; %bb.5478:                             ;   in Loop: Header=BB6_272 Depth=3
	s_bcnt1_i32_b64 vcc_lo, s[38:39]
	v_mov_b32_e32 v0, vcc_lo
	v_mov_b32_e32 v1, v53
	ds_add_u64 v0, v[0:1]
	s_trap 2
.LBB6_5479:                             ;   in Loop: Header=BB6_272 Depth=3
	s_or_b64 exec, exec, s[46:47]
	s_trap 2
	ds_read_b64 v[0:1], v0
	s_waitcnt lgkmcnt(0)
	buffer_load_dword v2, off, s[0:3], s33 offset:76 ; 4-byte Folded Reload
	buffer_load_dword v3, off, s[0:3], s33 offset:80 ; 4-byte Folded Reload
	s_waitcnt vmcnt(1)
	v_add_co_u32_e32 v2, vcc, v2, v48
	s_waitcnt vmcnt(0)
	v_addc_co_u32_e32 v3, vcc, 0, v3, vcc
	buffer_store_dword v2, off, s[0:3], s33 offset:76 ; 4-byte Folded Spill
	s_nop 0
	buffer_store_dword v3, off, s[0:3], s33 offset:80 ; 4-byte Folded Spill
	v_cmp_lt_u64_e32 vcc, v[0:1], v[2:3]
	s_and_saveexec_b64 s[46:47], vcc
	s_cbranch_execz .LBB6_5488
; %bb.5480:                             ;   in Loop: Header=BB6_272 Depth=3
	s_mov_b32 s64, 0
	s_mov_b64 s[38:39], 0
                                        ; implicit-def: $sgpr48_sgpr49
                                        ; implicit-def: $sgpr50_sgpr51
	s_branch .LBB6_5482
.LBB6_5481:                             ;   in Loop: Header=BB6_5482 Depth=4
	s_or_b64 exec, exec, s[54:55]
	s_and_b64 vcc, exec, vcc
	s_or_b64 s[38:39], vcc, s[38:39]
	s_andn2_b64 vcc, s[48:49], exec
	s_and_b64 s[48:49], s[50:51], exec
	s_or_b64 s[48:49], vcc, s[48:49]
	s_andn2_b64 exec, exec, s[38:39]
	s_cbranch_execz .LBB6_5486
.LBB6_5482:                             ;   Parent Loop BB6_47 Depth=1
                                        ;     Parent Loop BB6_269 Depth=2
                                        ;       Parent Loop BB6_272 Depth=3
                                        ; =>      This Inner Loop Header: Depth=4
	s_add_i32 s64, s64, 1
	s_cmpk_lg_i32 s64, 0x2710
	s_cselect_b64 s[52:53], -1, 0
	s_and_b64 vcc, exec, s[52:53]
	s_cbranch_vccz .LBB6_5484
; %bb.5483:                             ;   in Loop: Header=BB6_5482 Depth=4
	s_mov_b64 vcc, -1
	s_or_b64 s[50:51], s[50:51], exec
	s_and_saveexec_b64 s[54:55], s[52:53]
	s_cbranch_execz .LBB6_5481
	s_branch .LBB6_5485
.LBB6_5484:                             ;   in Loop: Header=BB6_5482 Depth=4
	s_trap 2
	ds_read_b64 v[0:1], v0
	s_andn2_b64 s[52:53], s[52:53], exec
	s_mov_b32 s64, 0
	s_waitcnt vmcnt(0) lgkmcnt(0)
	flat_load_dword v0, v[0:1] glc
	s_waitcnt vmcnt(0) lgkmcnt(0)
	buffer_wbinvl1_vol
	v_cmp_eq_u32_e32 vcc, 0, v0
	s_and_b64 vcc, vcc, exec
	s_or_b64 s[52:53], s[52:53], vcc
	s_mov_b64 vcc, -1
	s_or_b64 s[50:51], s[50:51], exec
	s_and_saveexec_b64 s[54:55], s[52:53]
	s_cbranch_execz .LBB6_5481
.LBB6_5485:                             ;   in Loop: Header=BB6_5482 Depth=4
	s_sleep 1
	s_trap 2
	ds_read_b64 v[0:1], v0
	s_waitcnt lgkmcnt(0)
	buffer_load_dword v2, off, s[0:3], s33 offset:76 ; 4-byte Folded Reload
	buffer_load_dword v3, off, s[0:3], s33 offset:80 ; 4-byte Folded Reload
	s_andn2_b64 s[50:51], s[50:51], exec
	s_waitcnt vmcnt(0)
	v_cmp_ge_u64_e32 vcc, v[0:1], v[2:3]
	s_orn2_b64 vcc, vcc, exec
	s_branch .LBB6_5481
.LBB6_5486:                             ;   in Loop: Header=BB6_272 Depth=3
	s_or_b64 exec, exec, s[38:39]
	s_and_saveexec_b64 vcc, s[48:49]
	s_xor_b64 vcc, exec, vcc
	s_cbranch_execz .LBB6_5488
; %bb.5487:                             ;   in Loop: Header=BB6_272 Depth=3
	v_mov_b32_e32 v0, 1
	ds_write_b32 v0, v0
	s_trap 2
.LBB6_5488:                             ;   in Loop: Header=BB6_272 Depth=3
	s_or_b64 exec, exec, s[46:47]
	;;#ASMSTART
	s_wakeup
	;;#ASMEND
.LBB6_5489:                             ;   in Loop: Header=BB6_272 Depth=3
	s_or_b64 exec, exec, s[44:45]
.LBB6_5490:                             ;   in Loop: Header=BB6_272 Depth=3
	s_andn2_saveexec_b64 s[42:43], s[42:43]
	s_cbranch_execz .LBB6_5492
; %bb.5491:                             ;   in Loop: Header=BB6_272 Depth=3
	s_waitcnt vmcnt(0) lgkmcnt(0)
	buffer_wbinvl1_vol
	s_barrier
.LBB6_5492:                             ;   in Loop: Header=BB6_272 Depth=3
	s_or_b64 exec, exec, s[42:43]
	s_or_b64 exec, exec, s[40:41]
                                        ; implicit-def: $vgpr0
	s_and_saveexec_b64 s[40:41], s[24:25]
	s_xor_b64 s[40:41], exec, s[40:41]
	s_cbranch_execz .LBB6_5493
; %bb.16593:                            ;   in Loop: Header=BB6_272 Depth=3
	s_getpc_b64 s[98:99]
.Lpost_getpc33:
	s_add_u32 s98, s98, (.LBB6_348-.Lpost_getpc33)&4294967295
	s_addc_u32 s99, s99, (.LBB6_348-.Lpost_getpc33)>>32
	s_setpc_b64 s[98:99]
.LBB6_5493:                             ;   in Loop: Header=BB6_272 Depth=3
	s_andn2_saveexec_b64 s[28:29], s[40:41]
	s_cbranch_execz .LBB6_5512
.LBB6_5494:                             ;   in Loop: Header=BB6_272 Depth=3
	s_and_saveexec_b64 s[40:41], s[72:73]
	s_xor_b64 s[40:41], exec, s[40:41]
	s_cbranch_execz .LBB6_5509
; %bb.5495:                             ;   in Loop: Header=BB6_272 Depth=3
	s_and_saveexec_b64 s[42:43], s[16:17]
	s_cbranch_execz .LBB6_5508
; %bb.5496:                             ;   in Loop: Header=BB6_272 Depth=3
	s_mov_b64 s[46:47], exec
	v_mbcnt_lo_u32_b32 v0, s46, 0
	v_mbcnt_hi_u32_b32 v0, s47, v0
	v_cmp_eq_u32_e32 vcc, 0, v0
	;;#ASMSTART
	s_waitcnt lgkmcnt(0) vmcnt(0)
	;;#ASMEND
	s_and_saveexec_b64 s[44:45], vcc
	s_cbranch_execz .LBB6_5498
; %bb.5497:                             ;   in Loop: Header=BB6_272 Depth=3
	s_bcnt1_i32_b64 s46, s[46:47]
	v_mov_b32_e32 v0, s46
	v_mov_b32_e32 v1, v53
	s_waitcnt lgkmcnt(0)
	ds_add_u64 v0, v[0:1]
	s_trap 2
.LBB6_5498:                             ;   in Loop: Header=BB6_272 Depth=3
	s_or_b64 exec, exec, s[44:45]
	s_trap 2
	ds_read_b64 v[0:1], v0
	s_waitcnt lgkmcnt(0)
	buffer_load_dword v2, off, s[0:3], s33 offset:76 ; 4-byte Folded Reload
	buffer_load_dword v3, off, s[0:3], s33 offset:80 ; 4-byte Folded Reload
	s_waitcnt vmcnt(0)
	v_add_co_u32_e32 v2, vcc, v2, v48
	v_addc_co_u32_e32 v3, vcc, 0, v3, vcc
	buffer_store_dword v2, off, s[0:3], s33 offset:76 ; 4-byte Folded Spill
	s_nop 0
	buffer_store_dword v3, off, s[0:3], s33 offset:80 ; 4-byte Folded Spill
	v_cmp_lt_u64_e32 vcc, v[0:1], v[2:3]
	s_and_saveexec_b64 s[44:45], vcc
	s_cbranch_execz .LBB6_5507
; %bb.5499:                             ;   in Loop: Header=BB6_272 Depth=3
	s_mov_b32 s54, 0
	s_mov_b64 s[46:47], 0
                                        ; implicit-def: $sgpr38_sgpr39
                                        ; implicit-def: $sgpr48_sgpr49
	s_branch .LBB6_5501
.LBB6_5500:                             ;   in Loop: Header=BB6_5501 Depth=4
	s_or_b64 exec, exec, s[52:53]
	s_and_b64 vcc, exec, vcc
	s_or_b64 s[46:47], vcc, s[46:47]
	s_andn2_b64 vcc, s[38:39], exec
	s_and_b64 s[38:39], s[48:49], exec
	s_or_b64 s[38:39], vcc, s[38:39]
	s_andn2_b64 exec, exec, s[46:47]
	s_cbranch_execz .LBB6_5505
.LBB6_5501:                             ;   Parent Loop BB6_47 Depth=1
                                        ;     Parent Loop BB6_269 Depth=2
                                        ;       Parent Loop BB6_272 Depth=3
                                        ; =>      This Inner Loop Header: Depth=4
	s_add_i32 s54, s54, 1
	s_cmpk_lg_i32 s54, 0x2710
	s_cselect_b64 s[50:51], -1, 0
	s_and_b64 vcc, exec, s[50:51]
	s_cbranch_vccz .LBB6_5503
; %bb.5502:                             ;   in Loop: Header=BB6_5501 Depth=4
	s_mov_b64 vcc, -1
	s_or_b64 s[48:49], s[48:49], exec
	s_and_saveexec_b64 s[52:53], s[50:51]
	s_cbranch_execz .LBB6_5500
	s_branch .LBB6_5504
.LBB6_5503:                             ;   in Loop: Header=BB6_5501 Depth=4
	s_trap 2
	ds_read_b64 v[0:1], v0
	s_andn2_b64 s[50:51], s[50:51], exec
	s_mov_b32 s54, 0
	s_waitcnt vmcnt(0) lgkmcnt(0)
	flat_load_dword v0, v[0:1] glc
	s_waitcnt vmcnt(0) lgkmcnt(0)
	buffer_wbinvl1_vol
	v_cmp_eq_u32_e32 vcc, 0, v0
	s_and_b64 vcc, vcc, exec
	s_or_b64 s[50:51], s[50:51], vcc
	s_mov_b64 vcc, -1
	s_or_b64 s[48:49], s[48:49], exec
	s_and_saveexec_b64 s[52:53], s[50:51]
	s_cbranch_execz .LBB6_5500
.LBB6_5504:                             ;   in Loop: Header=BB6_5501 Depth=4
	s_sleep 1
	s_trap 2
	ds_read_b64 v[0:1], v0
	s_waitcnt lgkmcnt(0)
	buffer_load_dword v2, off, s[0:3], s33 offset:76 ; 4-byte Folded Reload
	buffer_load_dword v3, off, s[0:3], s33 offset:80 ; 4-byte Folded Reload
	s_andn2_b64 s[48:49], s[48:49], exec
	s_waitcnt vmcnt(0)
	v_cmp_ge_u64_e32 vcc, v[0:1], v[2:3]
	s_orn2_b64 vcc, vcc, exec
	s_branch .LBB6_5500
.LBB6_5505:                             ;   in Loop: Header=BB6_272 Depth=3
	s_or_b64 exec, exec, s[46:47]
	s_and_saveexec_b64 s[46:47], s[38:39]
	s_xor_b64 s[46:47], exec, s[46:47]
	s_cbranch_execz .LBB6_5507
; %bb.5506:                             ;   in Loop: Header=BB6_272 Depth=3
	v_mov_b32_e32 v0, 1
	ds_write_b32 v0, v0
	s_trap 2
.LBB6_5507:                             ;   in Loop: Header=BB6_272 Depth=3
	s_or_b64 exec, exec, s[44:45]
	;;#ASMSTART
	s_wakeup
	;;#ASMEND
.LBB6_5508:                             ;   in Loop: Header=BB6_272 Depth=3
	s_or_b64 exec, exec, s[42:43]
.LBB6_5509:                             ;   in Loop: Header=BB6_272 Depth=3
	s_andn2_saveexec_b64 s[40:41], s[40:41]
	s_cbranch_execz .LBB6_5511
; %bb.5510:                             ;   in Loop: Header=BB6_272 Depth=3
	;;#ASMSTART
	s_waitcnt lgkmcnt(0) vmcnt(0)
	;;#ASMEND
	s_waitcnt vmcnt(0) lgkmcnt(0)
	s_barrier
.LBB6_5511:                             ;   in Loop: Header=BB6_272 Depth=3
	s_or_b64 exec, exec, s[40:41]
	buffer_load_dword v0, off, s[0:3], s33 offset:72 ; 4-byte Folded Reload
	s_waitcnt vmcnt(0)
	v_and_b32_e32 v0, 16, v0
.LBB6_5512:                             ;   in Loop: Header=BB6_272 Depth=3
	s_or_b64 exec, exec, s[28:29]
	v_cmp_ne_u32_e32 vcc, 0, v0
	s_xor_b64 s[28:29], s[12:13], -1
	s_and_b64 s[40:41], vcc, s[28:29]
	s_and_saveexec_b64 s[28:29], s[40:41]
	s_cbranch_execz .LBB6_5514
; %bb.5513:                             ;   in Loop: Header=BB6_272 Depth=3
	buffer_load_dword v0, off, s[0:3], s33 offset:220 ; 4-byte Folded Reload
	buffer_load_dword v1, off, s[0:3], s33 offset:224 ; 4-byte Folded Reload
	s_waitcnt vmcnt(0)
	v_mov_b32_e32 v2, 1
	flat_store_dword v[0:1], v2
.LBB6_5514:                             ;   in Loop: Header=BB6_272 Depth=3
	s_or_b64 exec, exec, s[28:29]
	buffer_load_dword v0, off, s[0:3], s33 offset:72 ; 4-byte Folded Reload
	s_waitcnt vmcnt(0)
	v_and_b32_e32 v0, 48, v0
	v_cmp_ne_u32_e32 vcc, 0, v0
	s_and_saveexec_b64 s[28:29], vcc
	s_cbranch_execnz .LBB6_5515
; %bb.16595:                            ;   in Loop: Header=BB6_272 Depth=3
	s_getpc_b64 s[98:99]
.Lpost_getpc34:
	s_add_u32 s98, s98, (.LBB6_271-.Lpost_getpc34)&4294967295
	s_addc_u32 s99, s99, (.LBB6_271-.Lpost_getpc34)>>32
	s_setpc_b64 s[98:99]
.LBB6_5515:                             ;   in Loop: Header=BB6_272 Depth=3
	buffer_load_dword v2, off, s[0:3], s33 offset:84 ; 4-byte Folded Reload
	buffer_load_dword v3, off, s[0:3], s33 offset:88 ; 4-byte Folded Reload
	;; [unrolled: 1-line block ×4, first 2 shown]
	s_waitcnt vmcnt(0)
	v_add_co_u32_e32 v2, vcc, 2, v2
	v_addc_co_u32_e32 v3, vcc, 0, v3, vcc
	buffer_store_dword v2, off, s[0:3], s33 offset:84 ; 4-byte Folded Spill
	s_nop 0
	buffer_store_dword v3, off, s[0:3], s33 offset:88 ; 4-byte Folded Spill
	flat_store_dwordx2 v[0:1], v[2:3]
; %bb.16559:                            ;   in Loop: Header=BB6_272 Depth=3
	s_getpc_b64 s[98:99]
.Lpost_getpc16:
	s_add_u32 s98, s98, (.LBB6_271-.Lpost_getpc16)&4294967295
	s_addc_u32 s99, s99, (.LBB6_271-.Lpost_getpc16)>>32
	s_setpc_b64 s[98:99]
.LBB6_5516:                             ;   in Loop: Header=BB6_269 Depth=2
	s_or_b64 exec, exec, s[34:35]
.LBB6_5517:                             ;   in Loop: Header=BB6_269 Depth=2
	s_or_b64 exec, exec, s[30:31]
	v_cmp_gt_i32_e32 vcc, 2, v0
	s_and_saveexec_b64 s[40:41], vcc
	s_cbranch_execnz .LBB6_5518
; %bb.16597:                            ;   in Loop: Header=BB6_269 Depth=2
	s_getpc_b64 s[98:99]
.Lpost_getpc35:
	s_add_u32 s98, s98, (.LBB6_268-.Lpost_getpc35)&4294967295
	s_addc_u32 s99, s99, (.LBB6_268-.Lpost_getpc35)>>32
	s_setpc_b64 s[98:99]
.LBB6_5518:                             ;   in Loop: Header=BB6_269 Depth=2
	v_cmp_eq_u32_e64 s[44:45], 0, v0
	s_mov_b64 s[42:43], 0
	s_branch .LBB6_5520
.LBB6_5519:                             ;   in Loop: Header=BB6_5520 Depth=3
	s_or_b64 exec, exec, s[28:29]
	v_add_u32_e32 v39, v49, v39
	s_mov_b64 s[44:45], 0
	s_andn2_b64 exec, exec, s[42:43]
	s_cbranch_execnz .LBB6_5520
; %bb.16599:                            ;   in Loop: Header=BB6_269 Depth=2
	s_getpc_b64 s[98:99]
.Lpost_getpc36:
	s_add_u32 s98, s98, (.LBB6_267-.Lpost_getpc36)&4294967295
	s_addc_u32 s99, s99, (.LBB6_267-.Lpost_getpc36)>>32
	s_setpc_b64 s[98:99]
.LBB6_5520:                             ;   Parent Loop BB6_47 Depth=1
                                        ;     Parent Loop BB6_269 Depth=2
                                        ; =>    This Loop Header: Depth=3
                                        ;         Child Loop BB6_5526 Depth 4
                                        ;         Child Loop BB6_5554 Depth 4
	;; [unrolled: 1-line block ×3, first 2 shown]
	v_sub_u32_e32 v0, v38, v39
	v_min_i32_e32 v49, v49, v0
	buffer_load_dword v0, off, s[0:3], s33 offset:72 ; 4-byte Folded Reload
	s_waitcnt vmcnt(0)
	v_and_b32_e32 v0, 12, v0
	v_cmp_ne_u32_e32 vcc, 0, v0
	s_and_saveexec_b64 s[46:47], vcc
	s_cbranch_execz .LBB6_5546
; %bb.5521:                             ;   in Loop: Header=BB6_5520 Depth=3
	buffer_load_dword v0, off, s[0:3], s33 offset:72 ; 4-byte Folded Reload
	s_waitcnt vmcnt(0)
	v_and_b32_e32 v4, 8, v0
	buffer_load_dword v0, off, s[0:3], s33 offset:56 ; 4-byte Folded Reload
	buffer_load_dword v1, off, s[0:3], s33 offset:60 ; 4-byte Folded Reload
	;; [unrolled: 1-line block ×4, first 2 shown]
	s_waitcnt vmcnt(0)
	v_add_co_u32_e32 v0, vcc, v0, v4
	v_addc_co_u32_e32 v1, vcc, 0, v1, vcc
	v_add_co_u32_e32 v2, vcc, 2, v2
	v_addc_co_u32_e32 v3, vcc, 0, v3, vcc
	v_cmp_lt_u64_e32 vcc, v[0:1], v[2:3]
	s_and_saveexec_b64 s[30:31], vcc
	s_cbranch_execz .LBB6_5533
; %bb.5522:                             ;   in Loop: Header=BB6_5520 Depth=3
	buffer_load_dword v0, off, s[0:3], s33 offset:72 ; 4-byte Folded Reload
	s_mov_b32 s9, 0
	s_mov_b64 s[34:35], 0
                                        ; implicit-def: $sgpr36_sgpr37
                                        ; implicit-def: $sgpr38_sgpr39
                                        ; implicit-def: $sgpr48_sgpr49
	s_waitcnt vmcnt(0)
	v_and_b32_e32 v0, 64, v0
	v_cmp_eq_u32_e32 vcc, 0, v0
	s_branch .LBB6_5526
.LBB6_5523:                             ;   in Loop: Header=BB6_5526 Depth=4
	buffer_load_dword v5, off, s[0:3], s33 offset:56 ; 4-byte Folded Reload
	buffer_load_dword v6, off, s[0:3], s33 offset:60 ; 4-byte Folded Reload
	s_or_b64 s[54:55], s[54:55], exec
	s_waitcnt vmcnt(1)
	v_add_co_u32_e64 v5, s[28:29], v5, v4
	s_waitcnt vmcnt(0)
	v_addc_co_u32_e64 v6, s[28:29], 0, v6, s[28:29]
	v_cmp_ge_u64_e64 s[28:29], v[5:6], v[2:3]
	s_orn2_b64 s[52:53], s[28:29], exec
.LBB6_5524:                             ;   in Loop: Header=BB6_5526 Depth=4
	s_or_b64 exec, exec, s[66:67]
	s_andn2_b64 s[28:29], s[48:49], exec
	s_and_b64 s[48:49], s[54:55], exec
	s_or_b64 s[48:49], s[28:29], s[48:49]
	s_andn2_b64 s[28:29], s[38:39], exec
	s_and_b64 s[38:39], s[52:53], exec
	s_or_b64 s[38:39], s[28:29], s[38:39]
.LBB6_5525:                             ;   in Loop: Header=BB6_5526 Depth=4
	s_or_b64 exec, exec, s[50:51]
	s_and_b64 s[28:29], exec, s[38:39]
	s_or_b64 s[34:35], s[28:29], s[34:35]
	s_andn2_b64 s[28:29], s[36:37], exec
	s_and_b64 s[36:37], s[48:49], exec
	s_or_b64 s[36:37], s[28:29], s[36:37]
	s_andn2_b64 exec, exec, s[34:35]
	s_cbranch_execz .LBB6_5530
.LBB6_5526:                             ;   Parent Loop BB6_47 Depth=1
                                        ;     Parent Loop BB6_269 Depth=2
                                        ;       Parent Loop BB6_5520 Depth=3
                                        ; =>      This Inner Loop Header: Depth=4
	s_sleep 1
	buffer_load_dword v0, off, s[0:3], s33 offset:64 ; 4-byte Folded Reload
	buffer_load_dword v1, off, s[0:3], s33 offset:68 ; 4-byte Folded Reload
	s_or_b64 s[48:49], s[48:49], exec
	s_or_b64 s[38:39], s[38:39], exec
	s_waitcnt vmcnt(0)
	flat_load_dwordx2 v[0:1], v[0:1] glc
	s_waitcnt vmcnt(0) lgkmcnt(0)
	buffer_store_dword v0, off, s[0:3], s33 offset:56 ; 4-byte Folded Spill
	s_nop 0
	buffer_store_dword v1, off, s[0:3], s33 offset:60 ; 4-byte Folded Spill
                                        ; implicit-def: $vgpr0
	s_and_saveexec_b64 s[50:51], vcc
	s_cbranch_execz .LBB6_5525
; %bb.5527:                             ;   in Loop: Header=BB6_5526 Depth=4
	s_cmpk_lt_i32 s9, 0x270f
	s_cselect_b64 s[64:65], -1, 0
	s_cmpk_gt_i32 s9, 0x270e
	s_mov_b64 s[52:53], -1
	s_cbranch_scc0 .LBB6_5529
; %bb.5528:                             ;   in Loop: Header=BB6_5526 Depth=4
	s_trap 2
	ds_read_b64 v[0:1], v0
	s_andn2_b64 s[64:65], s[64:65], exec
	s_mov_b32 s9, 0
	s_mov_b64 s[54:55], 0
	s_waitcnt vmcnt(0) lgkmcnt(0)
	flat_load_dword v0, v[0:1] glc
	s_waitcnt vmcnt(0) lgkmcnt(0)
	buffer_wbinvl1_vol
	v_cmp_eq_u32_e64 s[28:29], 0, v0
	s_and_b64 s[28:29], s[28:29], exec
	s_or_b64 s[64:65], s[64:65], s[28:29]
	s_and_saveexec_b64 s[66:67], s[64:65]
	s_cbranch_execz .LBB6_5524
	s_branch .LBB6_5523
.LBB6_5529:                             ;   in Loop: Header=BB6_5526 Depth=4
	s_add_i32 s9, s9, 1
	s_mov_b64 s[54:55], -1
                                        ; implicit-def: $vgpr0
	s_and_saveexec_b64 s[66:67], s[64:65]
	s_cbranch_execz .LBB6_5524
	s_branch .LBB6_5523
.LBB6_5530:                             ;   in Loop: Header=BB6_5520 Depth=3
	s_or_b64 exec, exec, s[34:35]
	s_xor_b64 s[28:29], s[36:37], -1
	s_and_saveexec_b64 vcc, s[28:29]
	s_xor_b64 s[28:29], exec, vcc
	s_cbranch_execz .LBB6_5532
; %bb.5531:                             ;   in Loop: Header=BB6_5520 Depth=3
	ds_write_b32 v0, v0
	s_trap 2
	buffer_load_dword v0, off, s[0:3], s33 offset:72 ; 4-byte Folded Reload
	s_waitcnt vmcnt(0)
	v_or_b32_e32 v0, 64, v0
	buffer_store_dword v0, off, s[0:3], s33 offset:72 ; 4-byte Folded Spill
.LBB6_5532:                             ;   in Loop: Header=BB6_5520 Depth=3
	s_or_b64 exec, exec, s[28:29]
.LBB6_5533:                             ;   in Loop: Header=BB6_5520 Depth=3
	s_or_b64 exec, exec, s[30:31]
	;;#ASMSTART
	s_wakeup
	;;#ASMEND
	buffer_load_dword v0, off, s[0:3], s33 offset:72 ; 4-byte Folded Reload
                                        ; implicit-def: $vgpr8_vgpr9
	s_waitcnt vmcnt(0)
	v_and_b32_e32 v0, 0x108, v0
	v_cmp_ne_u32_e32 vcc, s81, v0
	s_and_saveexec_b64 s[28:29], vcc
	s_xor_b64 s[28:29], exec, s[28:29]
	s_cbranch_execz .LBB6_5535
; %bb.5534:                             ;   in Loop: Header=BB6_5520 Depth=3
	buffer_load_dword v0, off, s[0:3], s33 offset:84 ; 4-byte Folded Reload
	buffer_load_dword v1, off, s[0:3], s33 offset:88 ; 4-byte Folded Reload
	v_mov_b32_e32 v9, v53
	s_waitcnt vmcnt(0)
	v_and_b32_e32 v8, 7, v0
                                        ; implicit-def: $vgpr0_vgpr1
                                        ; kill: killed $vgpr0_vgpr1
.LBB6_5535:                             ;   in Loop: Header=BB6_5520 Depth=3
	s_andn2_saveexec_b64 s[28:29], s[28:29]
	s_cbranch_execz .LBB6_5537
; %bb.5536:                             ;   in Loop: Header=BB6_5520 Depth=3
	buffer_load_dword v0, off, s[0:3], s33 offset:84 ; 4-byte Folded Reload
	buffer_load_dword v1, off, s[0:3], s33 offset:88 ; 4-byte Folded Reload
	buffer_load_dword v9, off, s[0:3], s33 offset:204 ; 4-byte Folded Reload
	buffer_load_dword v10, off, s[0:3], s33 offset:208 ; 4-byte Folded Reload
	buffer_load_dword v11, off, s[0:3], s33 offset:212 ; 4-byte Folded Reload
	buffer_load_dword v12, off, s[0:3], s33 offset:216 ; 4-byte Folded Reload
	v_ashrrev_i32_e32 v50, 31, v49
	s_waitcnt vmcnt(0)
	v_and_b32_e32 v8, 7, v0
	v_mad_u64_u32 v[0:1], vcc, v8, 24, v[9:10]
	v_mov_b32_e32 v9, v53
	flat_store_dwordx2 v[0:1], v[49:50] offset:8
.LBB6_5537:                             ;   in Loop: Header=BB6_5520 Depth=3
	s_or_b64 exec, exec, s[28:29]
	buffer_load_dword v0, off, s[0:3], s33 offset:72 ; 4-byte Folded Reload
	s_mov_b64 s[28:29], -1
	s_waitcnt vmcnt(0)
	v_and_b32_e32 v0, 0x100, v0
	v_cmp_ne_u32_e32 vcc, 0, v0
                                        ; implicit-def: $vgpr0_vgpr1
	s_and_saveexec_b64 s[30:31], vcc
	s_cbranch_execz .LBB6_5541
; %bb.5538:                             ;   in Loop: Header=BB6_5520 Depth=3
	buffer_load_dword v10, off, s[0:3], s33 offset:204 ; 4-byte Folded Reload
	buffer_load_dword v11, off, s[0:3], s33 offset:208 ; 4-byte Folded Reload
	;; [unrolled: 1-line block ×4, first 2 shown]
	s_waitcnt vmcnt(0)
	v_mad_u64_u32 v[5:6], s[28:29], v8, 24, v[10:11]
	v_mov_b32_e32 v0, v6
	v_mad_u64_u32 v[0:1], s[28:29], v9, 24, v[0:1]
	v_mov_b32_e32 v6, v0
	flat_load_dword v0, v[5:6]
	s_waitcnt vmcnt(0) lgkmcnt(0)
	v_cmp_ne_u32_e32 vcc, 1, v0
	v_cmp_eq_u32_e64 s[28:29], 1, v0
                                        ; implicit-def: $vgpr0_vgpr1
	s_and_saveexec_b64 s[34:35], s[28:29]
	s_cbranch_execz .LBB6_5540
; %bb.5539:                             ;   in Loop: Header=BB6_5520 Depth=3
	flat_load_dword v0, v[5:6] offset:4 glc
	s_waitcnt vmcnt(0) lgkmcnt(0)
	v_ashrrev_i32_e32 v1, 31, v0
.LBB6_5540:                             ;   in Loop: Header=BB6_5520 Depth=3
	s_or_b64 exec, exec, s[34:35]
	s_orn2_b64 s[28:29], vcc, exec
.LBB6_5541:                             ;   in Loop: Header=BB6_5520 Depth=3
	s_or_b64 exec, exec, s[30:31]
	s_and_saveexec_b64 vcc, s[28:29]
	s_cbranch_execz .LBB6_5543
; %bb.5542:                             ;   in Loop: Header=BB6_5520 Depth=3
	buffer_load_dword v0, off, s[0:3], s33 offset:232 ; 4-byte Folded Reload
	buffer_load_dword v1, off, s[0:3], s33 offset:252 ; 4-byte Folded Reload
	s_waitcnt vmcnt(0)
	v_mul_lo_u32 v5, v9, v0
	v_mul_lo_u32 v6, v8, v1
	v_mad_u64_u32 v[0:1], s[28:29], v8, v0, 0
	v_add3_u32 v1, v1, v6, v5
.LBB6_5543:                             ;   in Loop: Header=BB6_5520 Depth=3
	s_or_b64 exec, exec, vcc
	v_cmp_eq_u32_e32 vcc, 0, v4
	v_mov_b32_e32 v4, 0xc8
	v_mov_b32_e32 v5, 0x90
	v_cndmask_b32_e32 v4, v4, v5, vcc
	buffer_load_dword v5, off, s[0:3], s33 offset:196 ; 4-byte Folded Reload
	buffer_load_dword v6, off, s[0:3], s33 offset:200 ; 4-byte Folded Reload
	s_waitcnt vmcnt(0)
	v_add_co_u32_e32 v0, vcc, v5, v0
	v_addc_co_u32_e32 v1, vcc, v6, v1, vcc
	v_add_u32_e32 v4, v0, v4
	ds_write_b64 v4, v[0:1] offset:584
	buffer_load_dword v0, off, s[0:3], s33 offset:72 ; 4-byte Folded Reload
	s_waitcnt vmcnt(0)
	v_and_b32_e32 v0, 0x2000, v0
	v_cmp_ne_u32_e32 vcc, 0, v0
	s_and_saveexec_b64 s[28:29], vcc
	s_cbranch_execz .LBB6_5545
; %bb.5544:                             ;   in Loop: Header=BB6_5520 Depth=3
	ds_read_b64 v[0:1], v0 offset:872
	s_waitcnt lgkmcnt(0)
	v_add_co_u32_e32 v0, vcc, 1, v0
	v_addc_co_u32_e32 v1, vcc, 0, v1, vcc
	ds_write_b64 v0, v[0:1] offset:872
.LBB6_5545:                             ;   in Loop: Header=BB6_5520 Depth=3
	s_or_b64 exec, exec, s[28:29]
	buffer_store_dword v2, off, s[0:3], s33 offset:84 ; 4-byte Folded Spill
	s_nop 0
	buffer_store_dword v3, off, s[0:3], s33 offset:88 ; 4-byte Folded Spill
.LBB6_5546:                             ;   in Loop: Header=BB6_5520 Depth=3
	s_or_b64 exec, exec, s[46:47]
	s_xor_b64 s[28:29], s[44:45], -1
	s_and_b64 s[28:29], exec, s[28:29]
	s_or_b64 s[42:43], s[28:29], s[42:43]
	s_and_saveexec_b64 s[28:29], s[10:11]
	s_cbranch_execz .LBB6_5565
; %bb.5547:                             ;   in Loop: Header=BB6_5520 Depth=3
	s_and_saveexec_b64 s[44:45], s[72:73]
	s_xor_b64 s[44:45], exec, s[44:45]
	s_cbranch_execz .LBB6_5562
; %bb.5548:                             ;   in Loop: Header=BB6_5520 Depth=3
	s_and_saveexec_b64 s[46:47], s[16:17]
	s_cbranch_execz .LBB6_5561
; %bb.5549:                             ;   in Loop: Header=BB6_5520 Depth=3
	s_mov_b64 s[34:35], exec
	v_mbcnt_lo_u32_b32 v0, s34, 0
	v_mbcnt_hi_u32_b32 v0, s35, v0
	v_cmp_eq_u32_e32 vcc, 0, v0
	s_waitcnt vmcnt(0) lgkmcnt(0)
	buffer_wbinvl1_vol
	s_and_saveexec_b64 s[30:31], vcc
	s_cbranch_execz .LBB6_5551
; %bb.5550:                             ;   in Loop: Header=BB6_5520 Depth=3
	s_bcnt1_i32_b64 s9, s[34:35]
	v_mov_b32_e32 v0, s9
	v_mov_b32_e32 v1, v53
	ds_add_u64 v0, v[0:1]
	s_trap 2
.LBB6_5551:                             ;   in Loop: Header=BB6_5520 Depth=3
	s_or_b64 exec, exec, s[30:31]
	s_trap 2
	ds_read_b64 v[0:1], v0
	s_waitcnt lgkmcnt(0)
	buffer_load_dword v2, off, s[0:3], s33 offset:76 ; 4-byte Folded Reload
	buffer_load_dword v3, off, s[0:3], s33 offset:80 ; 4-byte Folded Reload
	s_waitcnt vmcnt(1)
	v_add_co_u32_e32 v2, vcc, v2, v48
	s_waitcnt vmcnt(0)
	v_addc_co_u32_e32 v3, vcc, 0, v3, vcc
	buffer_store_dword v2, off, s[0:3], s33 offset:76 ; 4-byte Folded Spill
	s_nop 0
	buffer_store_dword v3, off, s[0:3], s33 offset:80 ; 4-byte Folded Spill
	v_cmp_lt_u64_e32 vcc, v[0:1], v[2:3]
	s_and_saveexec_b64 s[30:31], vcc
	s_cbranch_execz .LBB6_5560
; %bb.5552:                             ;   in Loop: Header=BB6_5520 Depth=3
	s_mov_b32 s9, 0
	s_mov_b64 s[34:35], 0
                                        ; implicit-def: $sgpr36_sgpr37
                                        ; implicit-def: $sgpr38_sgpr39
	s_branch .LBB6_5554
.LBB6_5553:                             ;   in Loop: Header=BB6_5554 Depth=4
	s_or_b64 exec, exec, s[50:51]
	s_and_b64 vcc, exec, vcc
	s_or_b64 s[34:35], vcc, s[34:35]
	s_andn2_b64 vcc, s[36:37], exec
	s_and_b64 s[36:37], s[38:39], exec
	s_or_b64 s[36:37], vcc, s[36:37]
	s_andn2_b64 exec, exec, s[34:35]
	s_cbranch_execz .LBB6_5558
.LBB6_5554:                             ;   Parent Loop BB6_47 Depth=1
                                        ;     Parent Loop BB6_269 Depth=2
                                        ;       Parent Loop BB6_5520 Depth=3
                                        ; =>      This Inner Loop Header: Depth=4
	s_add_i32 s9, s9, 1
	s_cmpk_lg_i32 s9, 0x2710
	s_cselect_b64 s[48:49], -1, 0
	s_and_b64 vcc, exec, s[48:49]
	s_cbranch_vccz .LBB6_5556
; %bb.5555:                             ;   in Loop: Header=BB6_5554 Depth=4
	s_mov_b64 vcc, -1
	s_or_b64 s[38:39], s[38:39], exec
	s_and_saveexec_b64 s[50:51], s[48:49]
	s_cbranch_execz .LBB6_5553
	s_branch .LBB6_5557
.LBB6_5556:                             ;   in Loop: Header=BB6_5554 Depth=4
	s_trap 2
	ds_read_b64 v[0:1], v0
	s_andn2_b64 s[48:49], s[48:49], exec
	s_mov_b32 s9, 0
	s_waitcnt vmcnt(0) lgkmcnt(0)
	flat_load_dword v0, v[0:1] glc
	s_waitcnt vmcnt(0) lgkmcnt(0)
	buffer_wbinvl1_vol
	v_cmp_eq_u32_e32 vcc, 0, v0
	s_and_b64 vcc, vcc, exec
	s_or_b64 s[48:49], s[48:49], vcc
	s_mov_b64 vcc, -1
	s_or_b64 s[38:39], s[38:39], exec
	s_and_saveexec_b64 s[50:51], s[48:49]
	s_cbranch_execz .LBB6_5553
.LBB6_5557:                             ;   in Loop: Header=BB6_5554 Depth=4
	s_sleep 1
	s_trap 2
	ds_read_b64 v[0:1], v0
	s_waitcnt lgkmcnt(0)
	buffer_load_dword v2, off, s[0:3], s33 offset:76 ; 4-byte Folded Reload
	buffer_load_dword v3, off, s[0:3], s33 offset:80 ; 4-byte Folded Reload
	s_andn2_b64 s[38:39], s[38:39], exec
	s_waitcnt vmcnt(0)
	v_cmp_ge_u64_e32 vcc, v[0:1], v[2:3]
	s_orn2_b64 vcc, vcc, exec
	s_branch .LBB6_5553
.LBB6_5558:                             ;   in Loop: Header=BB6_5520 Depth=3
	s_or_b64 exec, exec, s[34:35]
	s_and_saveexec_b64 vcc, s[36:37]
	s_xor_b64 vcc, exec, vcc
	s_cbranch_execz .LBB6_5560
; %bb.5559:                             ;   in Loop: Header=BB6_5520 Depth=3
	v_mov_b32_e32 v0, 1
	ds_write_b32 v0, v0
	s_trap 2
.LBB6_5560:                             ;   in Loop: Header=BB6_5520 Depth=3
	s_or_b64 exec, exec, s[30:31]
	;;#ASMSTART
	s_wakeup
	;;#ASMEND
.LBB6_5561:                             ;   in Loop: Header=BB6_5520 Depth=3
	s_or_b64 exec, exec, s[46:47]
.LBB6_5562:                             ;   in Loop: Header=BB6_5520 Depth=3
	s_andn2_saveexec_b64 s[44:45], s[44:45]
	s_cbranch_execz .LBB6_5564
; %bb.5563:                             ;   in Loop: Header=BB6_5520 Depth=3
	s_waitcnt vmcnt(0) lgkmcnt(0)
	buffer_wbinvl1_vol
	s_barrier
.LBB6_5564:                             ;   in Loop: Header=BB6_5520 Depth=3
	s_or_b64 exec, exec, s[44:45]
.LBB6_5565:                             ;   in Loop: Header=BB6_5520 Depth=3
	s_or_b64 exec, exec, s[28:29]
                                        ; implicit-def: $vgpr0
	s_and_saveexec_b64 s[28:29], s[92:93]
	s_xor_b64 s[28:29], exec, s[28:29]
	s_cbranch_execz .LBB6_5577
; %bb.5566:                             ;   in Loop: Header=BB6_5520 Depth=3
	s_and_saveexec_b64 s[44:45], s[72:73]
	s_xor_b64 s[44:45], exec, s[44:45]
	s_cbranch_execz .LBB6_5582
; %bb.5567:                             ;   in Loop: Header=BB6_5520 Depth=3
	s_and_saveexec_b64 s[46:47], s[16:17]
	s_cbranch_execz .LBB6_5581
; %bb.5568:                             ;   in Loop: Header=BB6_5520 Depth=3
	s_mov_b64 s[34:35], exec
	v_mbcnt_lo_u32_b32 v0, s34, 0
	v_mbcnt_hi_u32_b32 v0, s35, v0
	v_cmp_eq_u32_e32 vcc, 0, v0
	;;#ASMSTART
	s_waitcnt lgkmcnt(0) vmcnt(0)
	;;#ASMEND
	s_and_saveexec_b64 s[30:31], vcc
	s_cbranch_execz .LBB6_5570
; %bb.5569:                             ;   in Loop: Header=BB6_5520 Depth=3
	s_bcnt1_i32_b64 s9, s[34:35]
	v_mov_b32_e32 v0, s9
	v_mov_b32_e32 v1, v53
	s_waitcnt lgkmcnt(0)
	ds_add_u64 v0, v[0:1]
	s_trap 2
.LBB6_5570:                             ;   in Loop: Header=BB6_5520 Depth=3
	s_or_b64 exec, exec, s[30:31]
	s_trap 2
	ds_read_b64 v[0:1], v0
	s_waitcnt lgkmcnt(0)
	buffer_load_dword v2, off, s[0:3], s33 offset:76 ; 4-byte Folded Reload
	buffer_load_dword v3, off, s[0:3], s33 offset:80 ; 4-byte Folded Reload
	s_waitcnt vmcnt(1)
	v_add_co_u32_e32 v2, vcc, v2, v48
	s_waitcnt vmcnt(0)
	v_addc_co_u32_e32 v3, vcc, 0, v3, vcc
	buffer_store_dword v2, off, s[0:3], s33 offset:76 ; 4-byte Folded Spill
	s_nop 0
	buffer_store_dword v3, off, s[0:3], s33 offset:80 ; 4-byte Folded Spill
	v_cmp_lt_u64_e32 vcc, v[0:1], v[2:3]
	s_and_saveexec_b64 s[30:31], vcc
	s_cbranch_execz .LBB6_5580
; %bb.5571:                             ;   in Loop: Header=BB6_5520 Depth=3
	s_mov_b32 s9, 0
	s_mov_b64 s[34:35], 0
                                        ; implicit-def: $sgpr36_sgpr37
                                        ; implicit-def: $sgpr38_sgpr39
	s_branch .LBB6_5573
.LBB6_5572:                             ;   in Loop: Header=BB6_5573 Depth=4
	s_or_b64 exec, exec, s[50:51]
	s_and_b64 vcc, exec, vcc
	s_or_b64 s[34:35], vcc, s[34:35]
	s_andn2_b64 vcc, s[36:37], exec
	s_and_b64 s[36:37], s[38:39], exec
	s_or_b64 s[36:37], vcc, s[36:37]
	s_andn2_b64 exec, exec, s[34:35]
	s_cbranch_execz .LBB6_5578
.LBB6_5573:                             ;   Parent Loop BB6_47 Depth=1
                                        ;     Parent Loop BB6_269 Depth=2
                                        ;       Parent Loop BB6_5520 Depth=3
                                        ; =>      This Inner Loop Header: Depth=4
	s_add_i32 s9, s9, 1
	s_cmpk_lg_i32 s9, 0x2710
	s_cselect_b64 s[48:49], -1, 0
	s_and_b64 vcc, exec, s[48:49]
	s_cbranch_vccz .LBB6_5575
; %bb.5574:                             ;   in Loop: Header=BB6_5573 Depth=4
	s_mov_b64 vcc, -1
	s_or_b64 s[38:39], s[38:39], exec
	s_and_saveexec_b64 s[50:51], s[48:49]
	s_cbranch_execz .LBB6_5572
	s_branch .LBB6_5576
.LBB6_5575:                             ;   in Loop: Header=BB6_5573 Depth=4
	s_trap 2
	ds_read_b64 v[0:1], v0
	s_andn2_b64 s[48:49], s[48:49], exec
	s_mov_b32 s9, 0
	s_waitcnt vmcnt(0) lgkmcnt(0)
	flat_load_dword v0, v[0:1] glc
	s_waitcnt vmcnt(0) lgkmcnt(0)
	buffer_wbinvl1_vol
	v_cmp_eq_u32_e32 vcc, 0, v0
	s_and_b64 vcc, vcc, exec
	s_or_b64 s[48:49], s[48:49], vcc
	s_mov_b64 vcc, -1
	s_or_b64 s[38:39], s[38:39], exec
	s_and_saveexec_b64 s[50:51], s[48:49]
	s_cbranch_execz .LBB6_5572
.LBB6_5576:                             ;   in Loop: Header=BB6_5573 Depth=4
	s_sleep 1
	s_trap 2
	ds_read_b64 v[0:1], v0
	s_waitcnt lgkmcnt(0)
	buffer_load_dword v2, off, s[0:3], s33 offset:76 ; 4-byte Folded Reload
	buffer_load_dword v3, off, s[0:3], s33 offset:80 ; 4-byte Folded Reload
	s_andn2_b64 s[38:39], s[38:39], exec
	s_waitcnt vmcnt(0)
	v_cmp_ge_u64_e32 vcc, v[0:1], v[2:3]
	s_orn2_b64 vcc, vcc, exec
	s_branch .LBB6_5572
.LBB6_5577:                             ;   in Loop: Header=BB6_5520 Depth=3
	s_andn2_saveexec_b64 s[28:29], s[28:29]
	s_cbranch_execnz .LBB6_5585
	s_branch .LBB6_5588
.LBB6_5578:                             ;   in Loop: Header=BB6_5520 Depth=3
	s_or_b64 exec, exec, s[34:35]
	s_and_saveexec_b64 vcc, s[36:37]
	s_xor_b64 vcc, exec, vcc
	s_cbranch_execz .LBB6_5580
; %bb.5579:                             ;   in Loop: Header=BB6_5520 Depth=3
	v_mov_b32_e32 v0, 1
	ds_write_b32 v0, v0
	s_trap 2
.LBB6_5580:                             ;   in Loop: Header=BB6_5520 Depth=3
	s_or_b64 exec, exec, s[30:31]
	;;#ASMSTART
	s_wakeup
	;;#ASMEND
.LBB6_5581:                             ;   in Loop: Header=BB6_5520 Depth=3
	s_or_b64 exec, exec, s[46:47]
.LBB6_5582:                             ;   in Loop: Header=BB6_5520 Depth=3
	s_andn2_saveexec_b64 s[44:45], s[44:45]
	s_cbranch_execz .LBB6_5584
; %bb.5583:                             ;   in Loop: Header=BB6_5520 Depth=3
	;;#ASMSTART
	s_waitcnt lgkmcnt(0) vmcnt(0)
	;;#ASMEND
	s_waitcnt vmcnt(0) lgkmcnt(0)
	s_barrier
.LBB6_5584:                             ;   in Loop: Header=BB6_5520 Depth=3
	s_or_b64 exec, exec, s[44:45]
	buffer_load_dword v0, off, s[0:3], s33 offset:72 ; 4-byte Folded Reload
	s_waitcnt vmcnt(0)
	v_and_b32_e32 v0, 16, v0
	s_andn2_saveexec_b64 s[28:29], s[28:29]
	s_cbranch_execz .LBB6_5588
.LBB6_5585:                             ;   in Loop: Header=BB6_5520 Depth=3
	s_trap 2
	buffer_load_dword v1, off, s[0:3], s33 offset:72 ; 4-byte Folded Reload
	ds_read_b32 v0, v0
	v_cmp_lt_i32_e32 vcc, 0, v49
	s_waitcnt lgkmcnt(0)
	v_readfirstlane_b32 s9, v0
	s_cmp_eq_u32 s9, 0
	s_cselect_b64 s[44:45], -1, 0
	s_and_b64 s[44:45], vcc, s[44:45]
	s_waitcnt vmcnt(0)
	v_and_b32_e32 v0, 16, v1
	v_and_b32_e32 v1, 16, v1
	v_cmp_ne_u32_e32 vcc, 0, v1
	s_and_b64 s[46:47], vcc, s[44:45]
	s_and_saveexec_b64 s[44:45], s[46:47]
	s_cbranch_execz .LBB6_5587
; %bb.5586:                             ;   in Loop: Header=BB6_5520 Depth=3
	v_mov_b32_e32 v0, 1
	buffer_wbinvl1_vol
.LBB6_5587:                             ;   in Loop: Header=BB6_5520 Depth=3
	s_or_b64 exec, exec, s[44:45]
.LBB6_5588:                             ;   in Loop: Header=BB6_5520 Depth=3
	s_or_b64 exec, exec, s[28:29]
	v_cmp_ne_u32_e32 vcc, 0, v0
	s_xor_b64 s[28:29], s[12:13], -1
	s_and_b64 s[44:45], vcc, s[28:29]
	s_and_saveexec_b64 s[28:29], s[44:45]
	s_cbranch_execz .LBB6_5590
; %bb.5589:                             ;   in Loop: Header=BB6_5520 Depth=3
	buffer_load_dword v0, off, s[0:3], s33 offset:220 ; 4-byte Folded Reload
	buffer_load_dword v1, off, s[0:3], s33 offset:224 ; 4-byte Folded Reload
	v_mov_b32_e32 v2, 1
	s_waitcnt vmcnt(0)
	flat_store_dword v[0:1], v2
.LBB6_5590:                             ;   in Loop: Header=BB6_5520 Depth=3
	s_or_b64 exec, exec, s[28:29]
	buffer_load_dword v0, off, s[0:3], s33 offset:72 ; 4-byte Folded Reload
	s_waitcnt vmcnt(0)
	v_and_b32_e32 v0, 48, v0
	v_cmp_ne_u32_e32 vcc, 0, v0
	s_and_saveexec_b64 s[28:29], vcc
	s_cbranch_execz .LBB6_5519
; %bb.5591:                             ;   in Loop: Header=BB6_5520 Depth=3
	buffer_load_dword v2, off, s[0:3], s33 offset:84 ; 4-byte Folded Reload
	buffer_load_dword v3, off, s[0:3], s33 offset:88 ; 4-byte Folded Reload
	;; [unrolled: 1-line block ×4, first 2 shown]
	s_waitcnt vmcnt(0)
	v_add_co_u32_e32 v2, vcc, 2, v2
	v_addc_co_u32_e32 v3, vcc, 0, v3, vcc
	buffer_store_dword v2, off, s[0:3], s33 offset:84 ; 4-byte Folded Spill
	s_nop 0
	buffer_store_dword v3, off, s[0:3], s33 offset:88 ; 4-byte Folded Spill
	flat_store_dwordx2 v[0:1], v[2:3]
	s_branch .LBB6_5519
.LBB6_5592:                             ;   in Loop: Header=BB6_47 Depth=1
	buffer_load_dword v4, off, s[0:3], s33 offset:356 ; 4-byte Folded Reload
	buffer_load_dword v5, off, s[0:3], s33 offset:360 ; 4-byte Folded Reload
	s_waitcnt vmcnt(0)
	v_mul_lo_u32 v3, v4, s69
	v_mul_lo_u32 v2, v5, s68
	v_mad_u64_u32 v[0:1], s[8:9], v4, s68, 0
	v_add3_u32 v1, v1, v3, v2
	buffer_load_dword v2, off, s[0:3], s33 offset:348 ; 4-byte Folded Reload
	buffer_load_dword v3, off, s[0:3], s33 offset:352 ; 4-byte Folded Reload
	s_waitcnt vmcnt(0)
	v_sub_co_u32_e32 v2, vcc, v2, v0
	v_subb_co_u32_e32 v3, vcc, v3, v1, vcc
	v_cmp_lt_i64_e32 vcc, v[4:5], v[2:3]
	v_cndmask_b32_e32 v3, v2, v4, vcc
	v_max_i32_e32 v4, 0, v3
	buffer_store_dword v4, off, s[0:3], s33 offset:284 ; 4-byte Folded Spill
	v_add_u32_e32 v4, 31, v4
	v_lshrrev_b32_e32 v4, 1, v4
	v_and_b32_e32 v4, 0x3ffffff0, v4
	v_cmp_lt_i32_e32 vcc, 0, v3
	v_mov_b32_e32 v2, 0
	v_max_i32_e32 v4, s59, v4
	s_and_b64 s[8:9], s[94:95], vcc
	v_mov_b32_e32 v3, 0
	buffer_store_dword v4, off, s[0:3], s33 offset:96 ; 4-byte Folded Spill
	s_nop 0
	buffer_store_dword v5, off, s[0:3], s33 offset:100 ; 4-byte Folded Spill
	buffer_store_dword v3, off, s[0:3], s33 offset:180 ; 4-byte Folded Spill
	s_and_saveexec_b64 s[30:31], s[8:9]
	s_cbranch_execnz .LBB6_5593
; %bb.16601:                            ;   in Loop: Header=BB6_47 Depth=1
	s_getpc_b64 s[98:99]
.Lpost_getpc37:
	s_add_u32 s98, s98, (.LBB6_15976-.Lpost_getpc37)&4294967295
	s_addc_u32 s99, s99, (.LBB6_15976-.Lpost_getpc37)>>32
	s_setpc_b64 s[98:99]
.LBB6_5593:                             ;   in Loop: Header=BB6_47 Depth=1
	buffer_load_dword v2, off, s[0:3], s33 offset:276 ; 4-byte Folded Reload
	s_mov_b32 s9, 1
	s_mov_b64 s[36:37], -1
	s_mov_b64 s[34:35], 0
	s_waitcnt vmcnt(0)
	v_add_co_u32_e32 v0, vcc, v0, v2
	buffer_store_dword v0, off, s[0:3], s33 offset:372 ; 4-byte Folded Spill
	buffer_load_dword v0, off, s[0:3], s33 offset:280 ; 4-byte Folded Reload
	s_waitcnt vmcnt(0)
	v_addc_co_u32_e32 v0, vcc, v1, v0, vcc
	buffer_store_dword v0, off, s[0:3], s33 offset:376 ; 4-byte Folded Spill
	v_mov_b32_e32 v0, 0
	buffer_store_dword v0, off, s[0:3], s33 offset:180 ; 4-byte Folded Spill
	s_branch .LBB6_5595
.LBB6_5594:                             ;   in Loop: Header=BB6_5595 Depth=2
	s_or_b64 exec, exec, s[28:29]
	buffer_load_dword v0, off, s[0:3], s33 offset:96 ; 4-byte Folded Reload
	buffer_load_dword v1, off, s[0:3], s33 offset:100 ; 4-byte Folded Reload
	;; [unrolled: 1-line block ×3, first 2 shown]
	s_xor_b64 s[28:29], s[36:37], -1
	s_mov_b64 s[36:37], 0
	v_mov_b32_e32 v2, s9
	s_mov_b32 s9, 2
	s_waitcnt vmcnt(0)
	v_add_u32_e32 v1, v0, v1
	buffer_load_dword v0, off, s[0:3], s33 offset:284 ; 4-byte Folded Reload
	s_waitcnt vmcnt(0)
	v_cmp_ge_i32_e32 vcc, v1, v0
	s_or_b64 s[28:29], s[28:29], vcc
	s_and_b64 s[28:29], exec, s[28:29]
	s_or_b64 s[34:35], s[28:29], s[34:35]
	buffer_store_dword v1, off, s[0:3], s33 offset:180 ; 4-byte Folded Spill
	s_andn2_b64 exec, exec, s[34:35]
	s_cbranch_execnz .LBB6_5595
; %bb.16603:                            ;   in Loop: Header=BB6_47 Depth=1
	s_getpc_b64 s[98:99]
.Lpost_getpc38:
	s_add_u32 s98, s98, (.LBB6_16051-.Lpost_getpc38)&4294967295
	s_addc_u32 s99, s99, (.LBB6_16051-.Lpost_getpc38)>>32
	s_setpc_b64 s[98:99]
.LBB6_5595:                             ;   Parent Loop BB6_47 Depth=1
                                        ; =>  This Loop Header: Depth=2
                                        ;       Child Loop BB6_5603 Depth 3
                                        ;       Child Loop BB6_5631 Depth 3
	;; [unrolled: 1-line block ×9, first 2 shown]
                                        ;         Child Loop BB6_9156 Depth 4
                                        ;       Child Loop BB6_9212 Depth 3
                                        ;       Child Loop BB6_10752 Depth 3
                                        ;         Child Loop BB6_10801 Depth 4
                                        ;       Child Loop BB6_15942 Depth 3
                                        ;       Child Loop BB6_15961 Depth 3
	s_and_saveexec_b64 s[28:29], s[4:5]
	s_cbranch_execz .LBB6_5597
; %bb.5596:                             ;   in Loop: Header=BB6_5595 Depth=2
	s_trap 2
	buffer_load_dword v6, off, s[0:3], s33 offset:372 ; 4-byte Folded Reload
	buffer_load_dword v7, off, s[0:3], s33 offset:376 ; 4-byte Folded Reload
	;; [unrolled: 1-line block ×3, first 2 shown]
	ds_read2_b64 v[0:3], v0 offset1:1
	s_waitcnt vmcnt(0) lgkmcnt(0)
	v_add_co_u32_e32 v0, vcc, v0, v6
	v_addc_co_u32_e32 v1, vcc, v1, v7, vcc
	v_ashrrev_i32_e32 v4, 31, v5
	v_add_co_u32_e32 v0, vcc, v0, v5
	v_addc_co_u32_e32 v1, vcc, v1, v4, vcc
	ds_write_b64 v0, v[0:1]
	v_add_co_u32_e32 v0, vcc, v2, v6
	v_addc_co_u32_e32 v1, vcc, v3, v7, vcc
	v_add_co_u32_e32 v0, vcc, v0, v5
	v_addc_co_u32_e32 v1, vcc, v1, v4, vcc
	ds_write_b64 v0, v[0:1]
	ds_read_b64 v[0:1], v0
	s_waitcnt lgkmcnt(0)
	v_add_co_u32_e32 v2, vcc, v0, v6
	v_addc_co_u32_e32 v3, vcc, v1, v7, vcc
	v_add_co_u32_e32 v2, vcc, v2, v5
	v_addc_co_u32_e32 v3, vcc, v3, v4, vcc
	v_cmp_ne_u64_e32 vcc, 0, v[0:1]
	v_cndmask_b32_e32 v1, 0, v3, vcc
	v_cndmask_b32_e32 v0, 0, v2, vcc
	ds_write_b64 v0, v[0:1]
.LBB6_5597:                             ;   in Loop: Header=BB6_5595 Depth=2
	s_or_b64 exec, exec, s[28:29]
	buffer_load_dword v0, off, s[0:3], s33 offset:284 ; 4-byte Folded Reload
	buffer_load_dword v1, off, s[0:3], s33 offset:180 ; 4-byte Folded Reload
	s_waitcnt vmcnt(0)
	v_sub_u32_e32 v0, v0, v1
	buffer_load_dword v1, off, s[0:3], s33 offset:96 ; 4-byte Folded Reload
	buffer_load_dword v2, off, s[0:3], s33 offset:100 ; 4-byte Folded Reload
	s_waitcnt vmcnt(0)
	v_min_i32_e32 v1, v1, v0
	buffer_store_dword v1, off, s[0:3], s33 offset:96 ; 4-byte Folded Spill
	s_nop 0
	buffer_store_dword v2, off, s[0:3], s33 offset:100 ; 4-byte Folded Spill
	buffer_load_dword v0, off, s[0:3], s33 offset:72 ; 4-byte Folded Reload
	s_waitcnt vmcnt(0)
	v_and_b32_e32 v0, 12, v0
	v_cmp_ne_u32_e32 vcc, 0, v0
	s_and_saveexec_b64 s[40:41], vcc
	s_cbranch_execz .LBB6_5623
; %bb.5598:                             ;   in Loop: Header=BB6_5595 Depth=2
	buffer_load_dword v0, off, s[0:3], s33 offset:72 ; 4-byte Folded Reload
	s_waitcnt vmcnt(0)
	v_and_b32_e32 v8, 8, v0
	buffer_load_dword v0, off, s[0:3], s33 offset:56 ; 4-byte Folded Reload
	buffer_load_dword v1, off, s[0:3], s33 offset:60 ; 4-byte Folded Reload
	;; [unrolled: 1-line block ×4, first 2 shown]
	s_waitcnt vmcnt(0)
	v_add_co_u32_e32 v0, vcc, v0, v8
	v_addc_co_u32_e32 v1, vcc, 0, v1, vcc
	v_add_co_u32_e32 v2, vcc, 2, v2
	v_addc_co_u32_e32 v3, vcc, 0, v3, vcc
	v_cmp_lt_u64_e32 vcc, v[0:1], v[2:3]
	s_and_saveexec_b64 s[42:43], vcc
	s_cbranch_execz .LBB6_5610
; %bb.5599:                             ;   in Loop: Header=BB6_5595 Depth=2
	buffer_load_dword v0, off, s[0:3], s33 offset:72 ; 4-byte Folded Reload
	s_mov_b32 s8, 0
	s_mov_b64 s[44:45], 0
                                        ; implicit-def: $sgpr46_sgpr47
                                        ; implicit-def: $sgpr38_sgpr39
                                        ; implicit-def: $sgpr48_sgpr49
	s_waitcnt vmcnt(0)
	v_and_b32_e32 v0, 64, v0
	v_cmp_eq_u32_e32 vcc, 0, v0
	s_branch .LBB6_5603
.LBB6_5600:                             ;   in Loop: Header=BB6_5603 Depth=3
	buffer_load_dword v4, off, s[0:3], s33 offset:56 ; 4-byte Folded Reload
	buffer_load_dword v5, off, s[0:3], s33 offset:60 ; 4-byte Folded Reload
	s_or_b64 s[54:55], s[54:55], exec
	s_waitcnt vmcnt(1)
	v_add_co_u32_e64 v4, s[28:29], v4, v8
	s_waitcnt vmcnt(0)
	v_addc_co_u32_e64 v5, s[28:29], 0, v5, s[28:29]
	v_cmp_ge_u64_e64 s[28:29], v[4:5], v[2:3]
	s_orn2_b64 s[52:53], s[28:29], exec
.LBB6_5601:                             ;   in Loop: Header=BB6_5603 Depth=3
	s_or_b64 exec, exec, s[66:67]
	s_andn2_b64 s[28:29], s[48:49], exec
	s_and_b64 s[48:49], s[54:55], exec
	s_or_b64 s[48:49], s[28:29], s[48:49]
	s_andn2_b64 s[28:29], s[38:39], exec
	s_and_b64 s[38:39], s[52:53], exec
	s_or_b64 s[38:39], s[28:29], s[38:39]
.LBB6_5602:                             ;   in Loop: Header=BB6_5603 Depth=3
	s_or_b64 exec, exec, s[50:51]
	s_and_b64 s[28:29], exec, s[38:39]
	s_or_b64 s[44:45], s[28:29], s[44:45]
	s_andn2_b64 s[28:29], s[46:47], exec
	s_and_b64 s[46:47], s[48:49], exec
	s_or_b64 s[46:47], s[28:29], s[46:47]
	s_andn2_b64 exec, exec, s[44:45]
	s_cbranch_execz .LBB6_5607
.LBB6_5603:                             ;   Parent Loop BB6_47 Depth=1
                                        ;     Parent Loop BB6_5595 Depth=2
                                        ; =>    This Inner Loop Header: Depth=3
	s_sleep 1
	buffer_load_dword v0, off, s[0:3], s33 offset:64 ; 4-byte Folded Reload
	buffer_load_dword v1, off, s[0:3], s33 offset:68 ; 4-byte Folded Reload
	s_or_b64 s[48:49], s[48:49], exec
	s_or_b64 s[38:39], s[38:39], exec
	s_waitcnt vmcnt(0)
	flat_load_dwordx2 v[0:1], v[0:1] glc
	s_waitcnt vmcnt(0) lgkmcnt(0)
	buffer_store_dword v0, off, s[0:3], s33 offset:56 ; 4-byte Folded Spill
	s_nop 0
	buffer_store_dword v1, off, s[0:3], s33 offset:60 ; 4-byte Folded Spill
                                        ; implicit-def: $vgpr0
	s_and_saveexec_b64 s[50:51], vcc
	s_cbranch_execz .LBB6_5602
; %bb.5604:                             ;   in Loop: Header=BB6_5603 Depth=3
	s_cmpk_lt_i32 s8, 0x270f
	s_cselect_b64 s[64:65], -1, 0
	s_cmpk_gt_i32 s8, 0x270e
	s_mov_b64 s[52:53], -1
	s_cbranch_scc0 .LBB6_5606
; %bb.5605:                             ;   in Loop: Header=BB6_5603 Depth=3
	s_trap 2
	ds_read_b64 v[0:1], v0
	s_andn2_b64 s[64:65], s[64:65], exec
	s_mov_b32 s8, 0
	s_mov_b64 s[54:55], 0
	s_waitcnt vmcnt(0) lgkmcnt(0)
	flat_load_dword v0, v[0:1] glc
	s_waitcnt vmcnt(0) lgkmcnt(0)
	buffer_wbinvl1_vol
	v_cmp_eq_u32_e64 s[28:29], 0, v0
	s_and_b64 s[28:29], s[28:29], exec
	s_or_b64 s[64:65], s[64:65], s[28:29]
	s_and_saveexec_b64 s[66:67], s[64:65]
	s_cbranch_execz .LBB6_5601
	s_branch .LBB6_5600
.LBB6_5606:                             ;   in Loop: Header=BB6_5603 Depth=3
	s_add_i32 s8, s8, 1
	s_mov_b64 s[54:55], -1
                                        ; implicit-def: $vgpr0
	s_and_saveexec_b64 s[66:67], s[64:65]
	s_cbranch_execz .LBB6_5601
	s_branch .LBB6_5600
.LBB6_5607:                             ;   in Loop: Header=BB6_5595 Depth=2
	s_or_b64 exec, exec, s[44:45]
	s_xor_b64 s[28:29], s[46:47], -1
	s_and_saveexec_b64 s[44:45], s[28:29]
	s_xor_b64 s[28:29], exec, s[44:45]
	s_cbranch_execz .LBB6_5609
; %bb.5608:                             ;   in Loop: Header=BB6_5595 Depth=2
	ds_write_b32 v0, v0
	s_trap 2
	buffer_load_dword v0, off, s[0:3], s33 offset:72 ; 4-byte Folded Reload
	s_waitcnt vmcnt(0)
	v_or_b32_e32 v0, 64, v0
	buffer_store_dword v0, off, s[0:3], s33 offset:72 ; 4-byte Folded Spill
.LBB6_5609:                             ;   in Loop: Header=BB6_5595 Depth=2
	s_or_b64 exec, exec, s[28:29]
.LBB6_5610:                             ;   in Loop: Header=BB6_5595 Depth=2
	s_or_b64 exec, exec, s[42:43]
	;;#ASMSTART
	s_wakeup
	;;#ASMEND
	buffer_load_dword v0, off, s[0:3], s33 offset:72 ; 4-byte Folded Reload
                                        ; implicit-def: $vgpr4_vgpr5
	s_waitcnt vmcnt(0)
	v_and_b32_e32 v0, 0x108, v0
	v_cmp_ne_u32_e32 vcc, s81, v0
	s_and_saveexec_b64 s[28:29], vcc
	s_xor_b64 s[28:29], exec, s[28:29]
	s_cbranch_execz .LBB6_5612
; %bb.5611:                             ;   in Loop: Header=BB6_5595 Depth=2
	buffer_load_dword v0, off, s[0:3], s33 offset:84 ; 4-byte Folded Reload
	buffer_load_dword v1, off, s[0:3], s33 offset:88 ; 4-byte Folded Reload
	v_mov_b32_e32 v5, v53
	s_waitcnt vmcnt(0)
	v_and_b32_e32 v4, 7, v0
                                        ; implicit-def: $vgpr0_vgpr1
                                        ; kill: killed $vgpr0_vgpr1
.LBB6_5612:                             ;   in Loop: Header=BB6_5595 Depth=2
	s_andn2_saveexec_b64 s[28:29], s[28:29]
	s_cbranch_execz .LBB6_5614
; %bb.5613:                             ;   in Loop: Header=BB6_5595 Depth=2
	buffer_load_dword v0, off, s[0:3], s33 offset:84 ; 4-byte Folded Reload
	buffer_load_dword v1, off, s[0:3], s33 offset:88 ; 4-byte Folded Reload
	;; [unrolled: 1-line block ×8, first 2 shown]
	v_mov_b32_e32 v5, v53
	s_waitcnt vmcnt(0)
	v_and_b32_e32 v4, 7, v0
	v_mad_u64_u32 v[0:1], s[42:43], v4, 24, v[9:10]
	v_mov_b32_e32 v9, v6
	v_ashrrev_i32_e32 v10, 31, v9
	buffer_store_dword v6, off, s[0:3], s33 offset:96 ; 4-byte Folded Spill
	s_nop 0
	buffer_store_dword v7, off, s[0:3], s33 offset:100 ; 4-byte Folded Spill
	flat_store_dwordx2 v[0:1], v[9:10] offset:8
.LBB6_5614:                             ;   in Loop: Header=BB6_5595 Depth=2
	s_or_b64 exec, exec, s[28:29]
	buffer_load_dword v0, off, s[0:3], s33 offset:72 ; 4-byte Folded Reload
	s_mov_b64 s[28:29], -1
	s_waitcnt vmcnt(0)
	v_and_b32_e32 v0, 0x100, v0
	v_cmp_ne_u32_e32 vcc, 0, v0
                                        ; implicit-def: $vgpr0_vgpr1
	s_and_saveexec_b64 s[42:43], vcc
	s_cbranch_execz .LBB6_5618
; %bb.5615:                             ;   in Loop: Header=BB6_5595 Depth=2
	buffer_load_dword v9, off, s[0:3], s33 offset:204 ; 4-byte Folded Reload
	buffer_load_dword v10, off, s[0:3], s33 offset:208 ; 4-byte Folded Reload
	;; [unrolled: 1-line block ×4, first 2 shown]
	s_waitcnt vmcnt(0)
	v_mad_u64_u32 v[6:7], s[28:29], v4, 24, v[9:10]
	v_mov_b32_e32 v0, v7
	v_mad_u64_u32 v[0:1], s[28:29], v5, 24, v[0:1]
	v_mov_b32_e32 v7, v0
	flat_load_dword v0, v[6:7]
	s_waitcnt vmcnt(0) lgkmcnt(0)
	v_cmp_ne_u32_e32 vcc, 1, v0
	v_cmp_eq_u32_e64 s[28:29], 1, v0
                                        ; implicit-def: $vgpr0_vgpr1
	s_and_saveexec_b64 s[44:45], s[28:29]
	s_cbranch_execz .LBB6_5617
; %bb.5616:                             ;   in Loop: Header=BB6_5595 Depth=2
	flat_load_dword v0, v[6:7] offset:4 glc
	s_waitcnt vmcnt(0) lgkmcnt(0)
	v_ashrrev_i32_e32 v1, 31, v0
.LBB6_5617:                             ;   in Loop: Header=BB6_5595 Depth=2
	s_or_b64 exec, exec, s[44:45]
	s_orn2_b64 s[28:29], vcc, exec
.LBB6_5618:                             ;   in Loop: Header=BB6_5595 Depth=2
	s_or_b64 exec, exec, s[42:43]
	s_and_saveexec_b64 s[42:43], s[28:29]
	s_cbranch_execz .LBB6_5620
; %bb.5619:                             ;   in Loop: Header=BB6_5595 Depth=2
	buffer_load_dword v0, off, s[0:3], s33 offset:232 ; 4-byte Folded Reload
	buffer_load_dword v1, off, s[0:3], s33 offset:252 ; 4-byte Folded Reload
	s_waitcnt vmcnt(0)
	v_mul_lo_u32 v5, v5, v0
	v_mul_lo_u32 v6, v4, v1
	v_mad_u64_u32 v[0:1], s[28:29], v4, v0, 0
	v_add3_u32 v1, v1, v6, v5
.LBB6_5620:                             ;   in Loop: Header=BB6_5595 Depth=2
	s_or_b64 exec, exec, s[42:43]
	v_cmp_eq_u32_e32 vcc, 0, v8
	v_mov_b32_e32 v4, 0x90
	v_mov_b32_e32 v5, 0xd0
	v_cndmask_b32_e32 v4, v5, v4, vcc
	buffer_load_dword v5, off, s[0:3], s33 offset:196 ; 4-byte Folded Reload
	buffer_load_dword v6, off, s[0:3], s33 offset:200 ; 4-byte Folded Reload
	s_waitcnt vmcnt(0)
	v_add_co_u32_e32 v0, vcc, v5, v0
	v_addc_co_u32_e32 v1, vcc, v6, v1, vcc
	v_add_u32_e32 v4, v0, v4
	ds_write_b64 v4, v[0:1] offset:584
	buffer_load_dword v0, off, s[0:3], s33 offset:72 ; 4-byte Folded Reload
	s_waitcnt vmcnt(0)
	v_and_b32_e32 v0, 0x2000, v0
	v_cmp_ne_u32_e32 vcc, 0, v0
	s_and_saveexec_b64 s[28:29], vcc
	s_cbranch_execz .LBB6_5622
; %bb.5621:                             ;   in Loop: Header=BB6_5595 Depth=2
	ds_read_b64 v[0:1], v0 offset:872
	s_waitcnt lgkmcnt(0)
	v_add_co_u32_e32 v0, vcc, 1, v0
	v_addc_co_u32_e32 v1, vcc, 0, v1, vcc
	ds_write_b64 v0, v[0:1] offset:872
.LBB6_5622:                             ;   in Loop: Header=BB6_5595 Depth=2
	s_or_b64 exec, exec, s[28:29]
	buffer_store_dword v2, off, s[0:3], s33 offset:84 ; 4-byte Folded Spill
	s_nop 0
	buffer_store_dword v3, off, s[0:3], s33 offset:88 ; 4-byte Folded Spill
.LBB6_5623:                             ;   in Loop: Header=BB6_5595 Depth=2
	s_or_b64 exec, exec, s[40:41]
	s_and_saveexec_b64 s[28:29], s[10:11]
	s_cbranch_execz .LBB6_5642
; %bb.5624:                             ;   in Loop: Header=BB6_5595 Depth=2
	s_and_saveexec_b64 s[40:41], s[72:73]
	s_xor_b64 s[40:41], exec, s[40:41]
	s_cbranch_execz .LBB6_5639
; %bb.5625:                             ;   in Loop: Header=BB6_5595 Depth=2
	s_and_saveexec_b64 s[42:43], s[16:17]
	s_cbranch_execz .LBB6_5638
; %bb.5626:                             ;   in Loop: Header=BB6_5595 Depth=2
	s_mov_b64 s[46:47], exec
	v_mbcnt_lo_u32_b32 v0, s46, 0
	v_mbcnt_hi_u32_b32 v0, s47, v0
	v_cmp_eq_u32_e32 vcc, 0, v0
	s_waitcnt vmcnt(0) lgkmcnt(0)
	buffer_wbinvl1_vol
	s_and_saveexec_b64 s[44:45], vcc
	s_cbranch_execz .LBB6_5628
; %bb.5627:                             ;   in Loop: Header=BB6_5595 Depth=2
	s_bcnt1_i32_b64 s8, s[46:47]
	v_mov_b32_e32 v0, s8
	v_mov_b32_e32 v1, v53
	ds_add_u64 v0, v[0:1]
	s_trap 2
.LBB6_5628:                             ;   in Loop: Header=BB6_5595 Depth=2
	s_or_b64 exec, exec, s[44:45]
	s_trap 2
	ds_read_b64 v[0:1], v0
	s_waitcnt lgkmcnt(0)
	buffer_load_dword v2, off, s[0:3], s33 offset:76 ; 4-byte Folded Reload
	buffer_load_dword v3, off, s[0:3], s33 offset:80 ; 4-byte Folded Reload
	s_waitcnt vmcnt(1)
	v_add_co_u32_e32 v2, vcc, v2, v48
	s_waitcnt vmcnt(0)
	v_addc_co_u32_e32 v3, vcc, 0, v3, vcc
	buffer_store_dword v2, off, s[0:3], s33 offset:76 ; 4-byte Folded Spill
	s_nop 0
	buffer_store_dword v3, off, s[0:3], s33 offset:80 ; 4-byte Folded Spill
	v_cmp_lt_u64_e32 vcc, v[0:1], v[2:3]
	s_and_saveexec_b64 s[44:45], vcc
	s_cbranch_execz .LBB6_5637
; %bb.5629:                             ;   in Loop: Header=BB6_5595 Depth=2
	s_mov_b32 s8, 0
	s_mov_b64 s[46:47], 0
                                        ; implicit-def: $sgpr38_sgpr39
                                        ; implicit-def: $sgpr48_sgpr49
	s_branch .LBB6_5631
.LBB6_5630:                             ;   in Loop: Header=BB6_5631 Depth=3
	s_or_b64 exec, exec, s[52:53]
	s_and_b64 vcc, exec, vcc
	s_or_b64 s[46:47], vcc, s[46:47]
	s_andn2_b64 vcc, s[38:39], exec
	s_and_b64 s[38:39], s[48:49], exec
	s_or_b64 s[38:39], vcc, s[38:39]
	s_andn2_b64 exec, exec, s[46:47]
	s_cbranch_execz .LBB6_5635
.LBB6_5631:                             ;   Parent Loop BB6_47 Depth=1
                                        ;     Parent Loop BB6_5595 Depth=2
                                        ; =>    This Inner Loop Header: Depth=3
	s_add_i32 s8, s8, 1
	s_cmpk_lg_i32 s8, 0x2710
	s_cselect_b64 s[50:51], -1, 0
	s_and_b64 vcc, exec, s[50:51]
	s_cbranch_vccz .LBB6_5633
; %bb.5632:                             ;   in Loop: Header=BB6_5631 Depth=3
	s_mov_b64 vcc, -1
	s_or_b64 s[48:49], s[48:49], exec
	s_and_saveexec_b64 s[52:53], s[50:51]
	s_cbranch_execz .LBB6_5630
	s_branch .LBB6_5634
.LBB6_5633:                             ;   in Loop: Header=BB6_5631 Depth=3
	s_trap 2
	ds_read_b64 v[0:1], v0
	s_andn2_b64 s[50:51], s[50:51], exec
	s_mov_b32 s8, 0
	s_waitcnt vmcnt(0) lgkmcnt(0)
	flat_load_dword v0, v[0:1] glc
	s_waitcnt vmcnt(0) lgkmcnt(0)
	buffer_wbinvl1_vol
	v_cmp_eq_u32_e32 vcc, 0, v0
	s_and_b64 vcc, vcc, exec
	s_or_b64 s[50:51], s[50:51], vcc
	s_mov_b64 vcc, -1
	s_or_b64 s[48:49], s[48:49], exec
	s_and_saveexec_b64 s[52:53], s[50:51]
	s_cbranch_execz .LBB6_5630
.LBB6_5634:                             ;   in Loop: Header=BB6_5631 Depth=3
	s_sleep 1
	s_trap 2
	ds_read_b64 v[0:1], v0
	s_waitcnt lgkmcnt(0)
	buffer_load_dword v2, off, s[0:3], s33 offset:76 ; 4-byte Folded Reload
	buffer_load_dword v3, off, s[0:3], s33 offset:80 ; 4-byte Folded Reload
	s_andn2_b64 s[48:49], s[48:49], exec
	s_waitcnt vmcnt(0)
	v_cmp_ge_u64_e32 vcc, v[0:1], v[2:3]
	s_orn2_b64 vcc, vcc, exec
	s_branch .LBB6_5630
.LBB6_5635:                             ;   in Loop: Header=BB6_5595 Depth=2
	s_or_b64 exec, exec, s[46:47]
	s_and_saveexec_b64 s[46:47], s[38:39]
	s_xor_b64 s[46:47], exec, s[46:47]
	s_cbranch_execz .LBB6_5637
; %bb.5636:                             ;   in Loop: Header=BB6_5595 Depth=2
	v_mov_b32_e32 v0, 1
	ds_write_b32 v0, v0
	s_trap 2
.LBB6_5637:                             ;   in Loop: Header=BB6_5595 Depth=2
	s_or_b64 exec, exec, s[44:45]
	;;#ASMSTART
	s_wakeup
	;;#ASMEND
.LBB6_5638:                             ;   in Loop: Header=BB6_5595 Depth=2
	s_or_b64 exec, exec, s[42:43]
.LBB6_5639:                             ;   in Loop: Header=BB6_5595 Depth=2
	s_andn2_saveexec_b64 s[40:41], s[40:41]
	s_cbranch_execz .LBB6_5641
; %bb.5640:                             ;   in Loop: Header=BB6_5595 Depth=2
	s_waitcnt vmcnt(0) lgkmcnt(0)
	buffer_wbinvl1_vol
	s_barrier
.LBB6_5641:                             ;   in Loop: Header=BB6_5595 Depth=2
	s_or_b64 exec, exec, s[40:41]
.LBB6_5642:                             ;   in Loop: Header=BB6_5595 Depth=2
	s_or_b64 exec, exec, s[28:29]
	s_trap 2
	buffer_load_dword v1, off, s[0:3], s33 offset:72 ; 4-byte Folded Reload
	ds_read_b32 v0, v0
	s_xor_b64 s[28:29], s[6:7], -1
	s_waitcnt vmcnt(0)
	v_and_b32_e32 v1, 0x4000, v1
	v_cmp_ne_u32_e32 vcc, 0, v1
	s_and_b64 s[40:41], s[28:29], vcc
	s_and_saveexec_b64 s[28:29], s[40:41]
	s_cbranch_execz .LBB6_5661
; %bb.5643:                             ;   in Loop: Header=BB6_5595 Depth=2
	s_and_saveexec_b64 s[40:41], s[72:73]
	s_xor_b64 s[40:41], exec, s[40:41]
	s_cbranch_execz .LBB6_5658
; %bb.5644:                             ;   in Loop: Header=BB6_5595 Depth=2
	s_and_saveexec_b64 s[42:43], s[16:17]
	s_cbranch_execz .LBB6_5657
; %bb.5645:                             ;   in Loop: Header=BB6_5595 Depth=2
	s_mov_b64 s[46:47], exec
	v_mbcnt_lo_u32_b32 v1, s46, 0
	v_mbcnt_hi_u32_b32 v1, s47, v1
	v_cmp_eq_u32_e32 vcc, 0, v1
	s_waitcnt lgkmcnt(0)
	buffer_wbinvl1_vol
	s_and_saveexec_b64 s[44:45], vcc
	s_cbranch_execz .LBB6_5647
; %bb.5646:                             ;   in Loop: Header=BB6_5595 Depth=2
	s_bcnt1_i32_b64 s8, s[46:47]
	v_mov_b32_e32 v1, s8
	v_mov_b32_e32 v2, v53
	ds_add_u64 v0, v[1:2]
	s_trap 2
.LBB6_5647:                             ;   in Loop: Header=BB6_5595 Depth=2
	s_or_b64 exec, exec, s[44:45]
	s_trap 2
	ds_read_b64 v[1:2], v0
	s_waitcnt lgkmcnt(0)
	buffer_load_dword v3, off, s[0:3], s33 offset:76 ; 4-byte Folded Reload
	buffer_load_dword v4, off, s[0:3], s33 offset:80 ; 4-byte Folded Reload
	s_waitcnt vmcnt(1)
	v_add_co_u32_e32 v3, vcc, v3, v48
	s_waitcnt vmcnt(0)
	v_addc_co_u32_e32 v4, vcc, 0, v4, vcc
	buffer_store_dword v3, off, s[0:3], s33 offset:76 ; 4-byte Folded Spill
	s_nop 0
	buffer_store_dword v4, off, s[0:3], s33 offset:80 ; 4-byte Folded Spill
	v_cmp_lt_u64_e32 vcc, v[1:2], v[3:4]
	s_and_saveexec_b64 s[44:45], vcc
	s_cbranch_execz .LBB6_5656
; %bb.5648:                             ;   in Loop: Header=BB6_5595 Depth=2
	s_mov_b32 s8, 0
	s_mov_b64 s[46:47], 0
                                        ; implicit-def: $sgpr38_sgpr39
                                        ; implicit-def: $sgpr48_sgpr49
	s_branch .LBB6_5650
.LBB6_5649:                             ;   in Loop: Header=BB6_5650 Depth=3
	s_or_b64 exec, exec, s[52:53]
	s_and_b64 vcc, exec, vcc
	s_or_b64 s[46:47], vcc, s[46:47]
	s_andn2_b64 vcc, s[38:39], exec
	s_and_b64 s[38:39], s[48:49], exec
	s_or_b64 s[38:39], vcc, s[38:39]
	s_andn2_b64 exec, exec, s[46:47]
	s_cbranch_execz .LBB6_5654
.LBB6_5650:                             ;   Parent Loop BB6_47 Depth=1
                                        ;     Parent Loop BB6_5595 Depth=2
                                        ; =>    This Inner Loop Header: Depth=3
	s_add_i32 s8, s8, 1
	s_cmpk_lg_i32 s8, 0x2710
	s_cselect_b64 s[50:51], -1, 0
	s_and_b64 vcc, exec, s[50:51]
	s_cbranch_vccz .LBB6_5652
; %bb.5651:                             ;   in Loop: Header=BB6_5650 Depth=3
	s_mov_b64 vcc, -1
	s_or_b64 s[48:49], s[48:49], exec
	s_and_saveexec_b64 s[52:53], s[50:51]
	s_cbranch_execz .LBB6_5649
	s_branch .LBB6_5653
.LBB6_5652:                             ;   in Loop: Header=BB6_5650 Depth=3
	s_trap 2
	ds_read_b64 v[1:2], v0
	s_andn2_b64 s[50:51], s[50:51], exec
	s_mov_b32 s8, 0
	s_waitcnt vmcnt(0) lgkmcnt(0)
	flat_load_dword v1, v[1:2] glc
	s_waitcnt vmcnt(0) lgkmcnt(0)
	buffer_wbinvl1_vol
	v_cmp_eq_u32_e32 vcc, 0, v1
	s_and_b64 vcc, vcc, exec
	s_or_b64 s[50:51], s[50:51], vcc
	s_mov_b64 vcc, -1
	s_or_b64 s[48:49], s[48:49], exec
	s_and_saveexec_b64 s[52:53], s[50:51]
	s_cbranch_execz .LBB6_5649
.LBB6_5653:                             ;   in Loop: Header=BB6_5650 Depth=3
	s_sleep 1
	s_trap 2
	ds_read_b64 v[1:2], v0
	s_waitcnt lgkmcnt(0)
	buffer_load_dword v3, off, s[0:3], s33 offset:76 ; 4-byte Folded Reload
	buffer_load_dword v4, off, s[0:3], s33 offset:80 ; 4-byte Folded Reload
	s_andn2_b64 s[48:49], s[48:49], exec
	s_waitcnt vmcnt(0)
	v_cmp_ge_u64_e32 vcc, v[1:2], v[3:4]
	s_orn2_b64 vcc, vcc, exec
	s_branch .LBB6_5649
.LBB6_5654:                             ;   in Loop: Header=BB6_5595 Depth=2
	s_or_b64 exec, exec, s[46:47]
	s_and_saveexec_b64 s[46:47], s[38:39]
	s_xor_b64 s[46:47], exec, s[46:47]
	s_cbranch_execz .LBB6_5656
; %bb.5655:                             ;   in Loop: Header=BB6_5595 Depth=2
	v_mov_b32_e32 v1, 1
	ds_write_b32 v0, v1
	s_trap 2
.LBB6_5656:                             ;   in Loop: Header=BB6_5595 Depth=2
	s_or_b64 exec, exec, s[44:45]
	;;#ASMSTART
	s_wakeup
	;;#ASMEND
.LBB6_5657:                             ;   in Loop: Header=BB6_5595 Depth=2
	s_or_b64 exec, exec, s[42:43]
.LBB6_5658:                             ;   in Loop: Header=BB6_5595 Depth=2
	s_andn2_saveexec_b64 s[40:41], s[40:41]
	s_cbranch_execz .LBB6_5660
; %bb.5659:                             ;   in Loop: Header=BB6_5595 Depth=2
	s_waitcnt vmcnt(0) lgkmcnt(0)
	buffer_wbinvl1_vol
	s_barrier
.LBB6_5660:                             ;   in Loop: Header=BB6_5595 Depth=2
	s_or_b64 exec, exec, s[40:41]
.LBB6_5661:                             ;   in Loop: Header=BB6_5595 Depth=2
	s_or_b64 exec, exec, s[28:29]
	s_trap 2
	s_waitcnt lgkmcnt(0)
	ds_read_b64 v[5:6], v0
	s_waitcnt lgkmcnt(0)
	v_cmp_eq_u64_e32 vcc, 0, v[5:6]
	s_cbranch_vccnz .LBB6_5670
; %bb.5662:                             ;   in Loop: Header=BB6_5595 Depth=2
	s_trap 2
	ds_read_b64 v[1:2], v0
	s_waitcnt lgkmcnt(0)
	buffer_store_dword v1, off, s[0:3], s33 offset:332 ; 4-byte Folded Spill
	s_nop 0
	buffer_store_dword v2, off, s[0:3], s33 offset:336 ; 4-byte Folded Spill
	v_cmp_eq_u64_e32 vcc, 0, v[1:2]
	s_cbranch_vccnz .LBB6_5670
; %bb.5663:                             ;   in Loop: Header=BB6_5595 Depth=2
	v_cmp_eq_u32_e32 vcc, 0, v0
	buffer_load_dword v0, off, s[0:3], s33 offset:96 ; 4-byte Folded Reload
	buffer_load_dword v1, off, s[0:3], s33 offset:100 ; 4-byte Folded Reload
	s_waitcnt vmcnt(1)
	v_cndmask_b32_e32 v0, 0, v0, vcc
	buffer_store_dword v0, off, s[0:3], s33 offset:320 ; 4-byte Folded Spill
	s_trap 2
	ds_read_b64 v[60:61], v0
	buffer_store_dword v5, off, s[0:3], s33 offset:340 ; 4-byte Folded Spill
	s_nop 0
	buffer_store_dword v6, off, s[0:3], s33 offset:344 ; 4-byte Folded Spill
	s_waitcnt lgkmcnt(0)
	v_cmp_ne_u64_e32 vcc, 0, v[60:61]
	v_readfirstlane_b32 s8, v60
	s_cbranch_vccz .LBB6_5675
; %bb.5664:                             ;   in Loop: Header=BB6_5595 Depth=2
	s_mov_b64 s[40:41], -1
	s_and_saveexec_b64 s[28:29], s[22:23]
	s_cbranch_execz .LBB6_5666
; %bb.5665:                             ;   in Loop: Header=BB6_5595 Depth=2
	ds_read_b32 v0, v0 offset:720
	s_waitcnt lgkmcnt(0)
	v_and_b32_e32 v0, 15, v0
	v_cmp_eq_u32_e32 vcc, 0, v0
	s_orn2_b64 s[40:41], vcc, exec
.LBB6_5666:                             ;   in Loop: Header=BB6_5595 Depth=2
	s_or_b64 exec, exec, s[28:29]
	s_and_saveexec_b64 s[28:29], s[22:23]
	s_cbranch_execz .LBB6_5668
; %bb.5667:                             ;   in Loop: Header=BB6_5595 Depth=2
	ds_read_b32 v0, v0 offset:784
	s_waitcnt lgkmcnt(0)
	v_and_b32_e32 v0, 15, v0
	v_cmp_eq_u32_e32 vcc, 0, v0
	s_and_b64 s[42:43], s[40:41], vcc
	s_andn2_b64 s[40:41], s[40:41], exec
	s_and_b64 s[42:43], s[42:43], exec
	s_or_b64 s[40:41], s[40:41], s[42:43]
.LBB6_5668:                             ;   in Loop: Header=BB6_5595 Depth=2
	s_or_b64 exec, exec, s[28:29]
	buffer_load_dword v3, off, s[0:3], s33 offset:320 ; 4-byte Folded Reload
	buffer_load_dword v2, off, s[0:3], s33 offset:256 ; 4-byte Folded Reload
	s_xor_b64 s[40:41], s[40:41], -1
	v_cndmask_b32_e64 v0, 0, 1, s[40:41]
	s_mov_b64 s[28:29], -1
	v_mov_b32_e32 v7, 0
	v_cmp_ne_u32_e32 vcc, 0, v0
	s_cbranch_vccz .LBB6_5676
; %bb.5669:                             ;   in Loop: Header=BB6_5595 Depth=2
	s_and_saveexec_b64 s[44:45], s[28:29]
	s_cbranch_execnz .LBB6_9209
; %bb.16605:                            ;   in Loop: Header=BB6_5595 Depth=2
	s_getpc_b64 s[98:99]
.Lpost_getpc39:
	s_add_u32 s98, s98, (.LBB6_10803-.Lpost_getpc39)&4294967295
	s_addc_u32 s99, s99, (.LBB6_10803-.Lpost_getpc39)>>32
	s_setpc_b64 s[98:99]
.LBB6_5670:                             ;   in Loop: Header=BB6_5595 Depth=2
	s_mov_b64 s[28:29], 0
	s_and_saveexec_b64 s[40:41], s[10:11]
	s_cbranch_execz .LBB6_5671
; %bb.16607:                            ;   in Loop: Header=BB6_5595 Depth=2
	s_getpc_b64 s[98:99]
.Lpost_getpc40:
	s_add_u32 s98, s98, (.LBB6_15935-.Lpost_getpc40)&4294967295
	s_addc_u32 s99, s99, (.LBB6_15935-.Lpost_getpc40)>>32
	s_setpc_b64 s[98:99]
.LBB6_5671:                             ;   in Loop: Header=BB6_5595 Depth=2
	s_or_b64 exec, exec, s[40:41]
                                        ; implicit-def: $vgpr0
	s_and_saveexec_b64 s[40:41], s[24:25]
	s_xor_b64 s[40:41], exec, s[40:41]
	s_cbranch_execnz .LBB6_5672
; %bb.16609:                            ;   in Loop: Header=BB6_5595 Depth=2
	s_getpc_b64 s[98:99]
.Lpost_getpc41:
	s_add_u32 s98, s98, (.LBB6_15953-.Lpost_getpc41)&4294967295
	s_addc_u32 s99, s99, (.LBB6_15953-.Lpost_getpc41)>>32
	s_setpc_b64 s[98:99]
.LBB6_5672:                             ;   in Loop: Header=BB6_5595 Depth=2
	buffer_load_dword v1, off, s[0:3], s33 offset:72 ; 4-byte Folded Reload
	s_waitcnt vmcnt(0)
	v_and_b32_e32 v0, 16, v1
	v_and_b32_e32 v1, 16, v1
	v_cmp_ne_u32_e32 vcc, 0, v1
	s_and_b64 s[42:43], vcc, s[28:29]
	s_and_saveexec_b64 s[28:29], s[42:43]
	s_cbranch_execz .LBB6_5674
; %bb.5673:                             ;   in Loop: Header=BB6_5595 Depth=2
	v_mov_b32_e32 v0, 1
	s_waitcnt lgkmcnt(0)
	buffer_wbinvl1_vol
.LBB6_5674:                             ;   in Loop: Header=BB6_5595 Depth=2
	s_or_b64 exec, exec, s[28:29]
	s_andn2_saveexec_b64 s[28:29], s[40:41]
	s_cbranch_execnz .LBB6_16561
; %bb.16611:                            ;   in Loop: Header=BB6_5595 Depth=2
	s_getpc_b64 s[98:99]
.Lpost_getpc42:
	s_add_u32 s98, s98, (.LBB6_15972-.Lpost_getpc42)&4294967295
	s_addc_u32 s99, s99, (.LBB6_15972-.Lpost_getpc42)>>32
	s_setpc_b64 s[98:99]
.LBB6_16561:                            ;   in Loop: Header=BB6_5595 Depth=2
	s_getpc_b64 s[98:99]
.Lpost_getpc17:
	s_add_u32 s98, s98, (.LBB6_15954-.Lpost_getpc17)&4294967295
	s_addc_u32 s99, s99, (.LBB6_15954-.Lpost_getpc17)>>32
	s_setpc_b64 s[98:99]
.LBB6_5675:                             ;   in Loop: Header=BB6_5595 Depth=2
	s_cbranch_execz .LBB6_16563
; %bb.16613:                            ;   in Loop: Header=BB6_5595 Depth=2
	s_getpc_b64 s[98:99]
.Lpost_getpc43:
	s_add_u32 s98, s98, (.LBB6_10804-.Lpost_getpc43)&4294967295
	s_addc_u32 s99, s99, (.LBB6_10804-.Lpost_getpc43)>>32
	s_setpc_b64 s[98:99]
.LBB6_16563:                            ;   in Loop: Header=BB6_5595 Depth=2
	s_getpc_b64 s[98:99]
.Lpost_getpc18:
	s_add_u32 s98, s98, (.LBB6_15934-.Lpost_getpc18)&4294967295
	s_addc_u32 s99, s99, (.LBB6_15934-.Lpost_getpc18)>>32
	s_setpc_b64 s[98:99]
.LBB6_5676:                             ;   in Loop: Header=BB6_5595 Depth=2
	buffer_load_dword v1, off, s[0:3], s33 offset:320 ; 4-byte Folded Reload
	s_waitcnt vmcnt(0)
	v_ashrrev_i32_e32 v0, 31, v1
	v_lshrrev_b32_e32 v0, 20, v0
	v_add_u32_e32 v0, v1, v0
	v_ashrrev_i32_e32 v1, 12, v0
	buffer_load_dword v0, off, s[0:3], s33 offset:300 ; 4-byte Folded Reload
	s_waitcnt vmcnt(0)
	v_sub_u32_e32 v28, v1, v0
	v_cmp_lt_i32_e32 vcc, 0, v28
	s_and_saveexec_b64 s[42:43], vcc
	s_cbranch_execz .LBB6_8496
; %bb.5677:                             ;   in Loop: Header=BB6_5595 Depth=2
	buffer_store_dword v1, off, s[0:3], s33 offset:396 ; 4-byte Folded Spill
	s_trap 2
	buffer_load_dword v2, off, s[0:3], s33 offset:304 ; 4-byte Folded Reload
	ds_read_b64 v[0:1], v0
	buffer_store_dword v60, off, s[0:3], s33 offset:388 ; 4-byte Folded Spill
	s_nop 0
	buffer_store_dword v61, off, s[0:3], s33 offset:392 ; 4-byte Folded Spill
	buffer_load_dword v29, off, s[0:3], s33 offset:332 ; 4-byte Folded Reload
	buffer_load_dword v30, off, s[0:3], s33 offset:336 ; 4-byte Folded Reload
	s_bitcmp1_b32 s8, 0
	s_mov_b64 s[44:45], 0
	s_cselect_b64 s[46:47], -1, 0
	s_waitcnt vmcnt(4)
	v_add_co_u32_e32 v44, vcc, v5, v2
	v_addc_co_u32_e32 v45, vcc, 0, v6, vcc
	s_waitcnt lgkmcnt(0)
	v_add_co_u32_e32 v4, vcc, v0, v2
	v_addc_co_u32_e32 v5, vcc, 0, v1, vcc
	s_branch .LBB6_5679
.LBB6_5678:                             ;   in Loop: Header=BB6_5679 Depth=3
	s_or_b64 exec, exec, s[28:29]
	v_lshl_or_b32 v1, v35, 8, v34
	buffer_load_dword v2, off, s[0:3], s33 offset:296 ; 4-byte Folded Reload
	buffer_load_dword v11, off, s[0:3], s33 offset:308 ; 4-byte Folded Reload
	v_lshlrev_b32_e32 v8, 16, v17
	v_lshlrev_b32_e32 v10, 24, v20
	v_or3_b32 v35, v1, v8, v10
	buffer_load_dword v1, off, s[0:3], s33 offset:312 ; 4-byte Folded Reload
	v_lshlrev_b32_e32 v14, 24, v37
	v_lshlrev_b32_e32 v8, 24, v41
	;; [unrolled: 1-line block ×6, first 2 shown]
	v_lshl_or_b32 v3, v3, 8, v6
	s_waitcnt vmcnt(2)
	v_lshl_or_b32 v2, v2, 8, v36
	s_waitcnt vmcnt(1)
	v_lshlrev_b32_e32 v11, 16, v11
	v_or3_b32 v34, v2, v11, v14
	v_lshlrev_b32_e32 v2, 16, v40
	v_lshlrev_b32_e32 v14, 24, v43
	s_waitcnt vmcnt(0)
	v_lshl_or_b32 v1, v21, 8, v1
	v_or3_b32 v36, v1, v2, v8
	v_lshl_or_b32 v1, v39, 8, v38
	v_lshlrev_b32_e32 v2, 24, v18
	v_lshlrev_b32_e32 v8, 16, v58
	v_or3_b32 v37, v1, v8, v2
	buffer_load_dword v1, off, s[0:3], s33 offset:152 ; 4-byte Folded Reload
	buffer_load_dword v2, off, s[0:3], s33 offset:140 ; 4-byte Folded Reload
	;; [unrolled: 1-line block ×4, first 2 shown]
	s_waitcnt vmcnt(3)
	v_lshl_or_b32 v1, v1, 8, v26
	s_waitcnt vmcnt(1)
	v_lshl_or_b32 v2, v8, 8, v2
	buffer_load_dword v8, off, s[0:3], s33 offset:156 ; 4-byte Folded Reload
	s_waitcnt vmcnt(1)
	v_lshlrev_b32_e32 v11, 16, v11
	v_or3_b32 v38, v2, v11, v14
	buffer_load_dword v2, off, s[0:3], s33 offset:168 ; 4-byte Folded Reload
	v_lshlrev_b32_e32 v11, 24, v56
	s_waitcnt vmcnt(1)
	v_lshlrev_b32_e32 v8, 16, v8
	v_or3_b32 v39, v1, v8, v10
	buffer_load_dword v1, off, s[0:3], s33 offset:164 ; 4-byte Folded Reload
	v_lshlrev_b32_e32 v8, 24, v48
	v_lshlrev_b32_e32 v10, 16, v50
	s_waitcnt vmcnt(1)
	v_lshlrev_b32_e32 v2, 16, v2
	s_waitcnt vmcnt(0)
	v_lshl_or_b32 v1, v1, 8, v33
	v_or3_b32 v40, v1, v2, v8
	buffer_load_dword v2, off, s[0:3], s33 offset:292 ; 4-byte Folded Reload
	buffer_load_dword v8, off, s[0:3], s33 offset:176 ; 4-byte Folded Reload
	v_lshlrev_b32_e32 v1, 24, v54
	s_waitcnt vmcnt(1)
	v_lshlrev_b32_e32 v2, 16, v2
	s_waitcnt vmcnt(0)
	v_lshl_or_b32 v8, v8, 8, v24
	v_or3_b32 v41, v8, v2, v1
	v_lshl_or_b32 v1, v49, 8, v25
	v_lshlrev_b32_e32 v2, 16, v15
	v_lshlrev_b32_e32 v8, 24, v31
	v_or3_b32 v25, v1, v2, v8
	buffer_load_dword v1, off, s[0:3], s33 offset:104 ; 4-byte Folded Reload
	buffer_load_dword v2, off, s[0:3], s33 offset:128 ; 4-byte Folded Reload
	v_lshlrev_b32_e32 v8, 24, v59
	s_waitcnt vmcnt(1)
	v_lshl_or_b32 v1, v1, 8, v47
	s_waitcnt vmcnt(0)
	v_lshlrev_b32_e32 v2, 16, v2
	v_or3_b32 v24, v1, v2, v8
	buffer_load_dword v2, off, s[0:3], s33 offset:124 ; 4-byte Folded Reload
	buffer_load_dword v8, off, s[0:3], s33 offset:172 ; 4-byte Folded Reload
	v_lshl_or_b32 v1, v52, 8, v32
	s_waitcnt vmcnt(1)
	v_lshlrev_b32_e32 v2, 16, v2
	s_waitcnt vmcnt(0)
	v_lshlrev_b32_e32 v8, 24, v8
	v_or3_b32 v26, v1, v2, v8
	buffer_load_dword v1, off, s[0:3], s33 offset:136 ; 4-byte Folded Reload
	buffer_load_dword v8, off, s[0:3], s33 offset:160 ; 4-byte Folded Reload
	;; [unrolled: 1-line block ×3, first 2 shown]
	s_waitcnt vmcnt(2)
	v_lshlrev_b32_e32 v1, 24, v1
	s_waitcnt vmcnt(1)
	v_lshl_or_b32 v8, v42, 8, v8
	s_waitcnt vmcnt(0)
	v_lshlrev_b32_e32 v2, 16, v2
	v_or3_b32 v27, v8, v2, v1
	buffer_load_dword v8, off, s[0:3], s33 offset:304 ; 4-byte Folded Reload
	s_waitcnt vmcnt(0)
	v_add_co_u32_e32 v1, vcc, v8, v29
	v_addc_co_u32_e32 v2, vcc, 0, v30, vcc
	v_add_co_u32_e32 v14, vcc, v8, v60
	v_lshl_or_b32 v8, v16, 8, v57
	v_or3_b32 v9, v8, v10, v9
	v_lshl_or_b32 v8, v22, 8, v19
	v_lshlrev_b32_e32 v10, 16, v23
	v_or3_b32 v8, v8, v10, v11
	v_lshl_or_b32 v10, v13, 8, v12
	v_lshlrev_b32_e32 v11, 16, v51
	v_lshlrev_b32_e32 v12, 24, v55
	v_addc_co_u32_e32 v15, vcc, 0, v61, vcc
	v_or3_b32 v10, v10, v11, v12
	v_or3_b32 v11, v3, v7, v0
	global_store_dwordx4 v[1:2], v[24:27], off glc slc
	global_store_dwordx4 v[1:2], v[38:41], off offset:1024 glc slc
	global_store_dwordx4 v[1:2], v[34:37], off offset:2048 glc slc
	;; [unrolled: 1-line block ×3, first 2 shown]
	global_store_dwordx4 v[14:15], v[24:27], off glc slc
	global_store_dwordx4 v[14:15], v[38:41], off offset:1024 glc slc
	global_store_dwordx4 v[14:15], v[34:37], off offset:2048 glc slc
	;; [unrolled: 1-line block ×3, first 2 shown]
	buffer_load_dword v0, off, s[0:3], s33 offset:192 ; 4-byte Folded Reload
	buffer_load_dword v48, off, s[0:3], s33 offset:92 ; 4-byte Folded Reload
	s_waitcnt vmcnt(1)
	v_add_co_u32_e32 v44, vcc, v44, v0
	v_addc_co_u32_e32 v45, vcc, 0, v45, vcc
	v_add_co_u32_e32 v4, vcc, v4, v0
	v_addc_co_u32_e32 v5, vcc, 0, v5, vcc
	v_add_co_u32_e32 v29, vcc, v29, v0
	s_waitcnt vmcnt(0)
	v_sub_u32_e32 v28, v28, v48
	v_addc_co_u32_e32 v30, vcc, 0, v30, vcc
	v_cmp_gt_i32_e32 vcc, 1, v28
	s_or_b64 s[44:45], vcc, s[44:45]
	v_add_co_u32_e32 v60, vcc, v60, v0
	v_addc_co_u32_e32 v61, vcc, 0, v61, vcc
	s_andn2_b64 exec, exec, s[44:45]
	s_cbranch_execz .LBB6_8495
.LBB6_5679:                             ;   Parent Loop BB6_47 Depth=1
                                        ;     Parent Loop BB6_5595 Depth=2
                                        ; =>    This Inner Loop Header: Depth=3
	global_load_dwordx4 v[48:51], v[44:45], off glc slc
	global_load_dwordx4 v[32:35], v[44:45], off offset:1024 glc slc
	global_load_dwordx4 v[20:23], v[44:45], off offset:2048 glc slc
	;; [unrolled: 1-line block ×3, first 2 shown]
	global_load_dwordx4 v[36:39], v[4:5], off glc slc
	global_load_dwordx4 v[24:27], v[4:5], off offset:1024 glc slc
	global_load_dwordx4 v[16:19], v[4:5], off offset:2048 glc slc
	;; [unrolled: 1-line block ×3, first 2 shown]
	s_mov_b64 s[40:41], -1
	s_and_b64 vcc, exec, s[46:47]
                                        ; implicit-def: $vgpr0
	s_waitcnt vmcnt(7)
	v_cmp_ne_u16_sdwa s[28:29], v48, v53 src0_sel:BYTE_0 src1_sel:DWORD
	s_cbranch_vccz .LBB6_5693
; %bb.5680:                             ;   in Loop: Header=BB6_5679 Depth=3
	v_mov_b32_e32 v1, 0
	v_mov_b32_e32 v0, 0
	s_and_saveexec_b64 s[40:41], s[28:29]
	s_cbranch_execz .LBB6_5686
; %bb.5681:                             ;   in Loop: Header=BB6_5679 Depth=3
	v_cmp_ne_u16_sdwa vcc, v48, s82 src0_sel:BYTE_0 src1_sel:DWORD
	v_bfrev_b32_e32 v0, 1
	s_and_saveexec_b64 s[38:39], vcc
	s_cbranch_execz .LBB6_5685
; %bb.5682:                             ;   in Loop: Header=BB6_5679 Depth=3
	v_and_b32_e32 v2, 0x7f, v48
	v_cmp_ne_u32_e32 vcc, s83, v2
	v_mov_b32_e32 v0, 0x7f800001
	s_and_saveexec_b64 s[48:49], vcc
	s_cbranch_execz .LBB6_5684
; %bb.5683:                             ;   in Loop: Header=BB6_5679 Depth=3
	v_and_b32_e32 v0, 7, v48
	v_ffbh_u32_e32 v0, v0
	v_min_u32_e32 v0, 32, v0
	v_lshrrev_b32_e32 v3, 3, v2
	v_cmp_gt_u32_e32 vcc, 8, v2
	v_subrev_u32_e32 v2, 28, v0
	v_sub_u32_e32 v0, 29, v0
	v_cndmask_b32_e32 v2, 0, v2, vcc
	v_cndmask_b32_e32 v0, v3, v0, vcc
	v_lshlrev_b64 v[2:3], v2, v[48:49]
	v_lshlrev_b32_e32 v3, 24, v48
	v_lshlrev_b32_e32 v2, 20, v2
	v_bfrev_b32_e32 v6, 60
	v_and_b32_e32 v2, 0x700000, v2
	v_and_b32_e32 v3, 0x80000000, v3
	v_lshl_add_u32 v0, v0, 23, v6
	v_or3_b32 v0, v3, v0, v2
.LBB6_5684:                             ;   in Loop: Header=BB6_5679 Depth=3
	s_or_b64 exec, exec, s[48:49]
.LBB6_5685:                             ;   in Loop: Header=BB6_5679 Depth=3
	s_or_b64 exec, exec, s[38:39]
.LBB6_5686:                             ;   in Loop: Header=BB6_5679 Depth=3
	s_or_b64 exec, exec, s[40:41]
	s_waitcnt vmcnt(3)
	v_cmp_ne_u16_sdwa vcc, v36, v53 src0_sel:BYTE_0 src1_sel:DWORD
	s_and_saveexec_b64 s[40:41], vcc
	s_cbranch_execz .LBB6_5692
; %bb.5687:                             ;   in Loop: Header=BB6_5679 Depth=3
	v_cmp_ne_u16_sdwa vcc, v36, s82 src0_sel:BYTE_0 src1_sel:DWORD
	v_bfrev_b32_e32 v1, 1
	s_and_saveexec_b64 s[38:39], vcc
	s_cbranch_execz .LBB6_5691
; %bb.5688:                             ;   in Loop: Header=BB6_5679 Depth=3
	v_and_b32_e32 v2, 0x7f, v36
	v_cmp_ne_u32_e32 vcc, s83, v2
	v_mov_b32_e32 v1, 0x7f800001
	s_and_saveexec_b64 s[48:49], vcc
	s_cbranch_execz .LBB6_5690
; %bb.5689:                             ;   in Loop: Header=BB6_5679 Depth=3
	v_and_b32_e32 v1, 7, v36
	v_ffbh_u32_e32 v1, v1
	v_min_u32_e32 v1, 32, v1
	v_lshrrev_b32_e32 v3, 3, v2
	v_cmp_gt_u32_e32 vcc, 8, v2
	v_subrev_u32_e32 v2, 28, v1
	v_sub_u32_e32 v1, 29, v1
	v_cndmask_b32_e32 v3, v3, v1, vcc
	v_cndmask_b32_e32 v1, 0, v2, vcc
	v_lshlrev_b64 v[1:2], v1, v[36:37]
	v_lshlrev_b32_e32 v2, 24, v36
	v_lshlrev_b32_e32 v1, 20, v1
	v_bfrev_b32_e32 v6, 60
	v_and_b32_e32 v1, 0x700000, v1
	v_and_b32_e32 v2, 0x80000000, v2
	v_lshl_add_u32 v3, v3, 23, v6
	v_or3_b32 v1, v2, v3, v1
.LBB6_5690:                             ;   in Loop: Header=BB6_5679 Depth=3
	s_or_b64 exec, exec, s[48:49]
.LBB6_5691:                             ;   in Loop: Header=BB6_5679 Depth=3
	s_or_b64 exec, exec, s[38:39]
.LBB6_5692:                             ;   in Loop: Header=BB6_5679 Depth=3
	s_or_b64 exec, exec, s[40:41]
	v_max_f32_e32 v1, v1, v1
	v_max_f32_e32 v0, v0, v0
	;; [unrolled: 1-line block ×3, first 2 shown]
	s_mov_b64 s[40:41], 0
.LBB6_5693:                             ;   in Loop: Header=BB6_5679 Depth=3
	s_and_b64 vcc, exec, s[40:41]
	s_cbranch_vccz .LBB6_5707
; %bb.5694:                             ;   in Loop: Header=BB6_5679 Depth=3
	v_mov_b32_e32 v1, 0
	v_mov_b32_e32 v0, 0
	s_and_saveexec_b64 s[40:41], s[28:29]
	s_cbranch_execz .LBB6_5700
; %bb.5695:                             ;   in Loop: Header=BB6_5679 Depth=3
	v_cmp_ne_u16_sdwa vcc, v48, s82 src0_sel:BYTE_0 src1_sel:DWORD
	v_bfrev_b32_e32 v0, 1
	s_and_saveexec_b64 s[28:29], vcc
	s_cbranch_execz .LBB6_5699
; %bb.5696:                             ;   in Loop: Header=BB6_5679 Depth=3
	v_and_b32_e32 v2, 0x7f, v48
	v_cmp_ne_u32_e32 vcc, s83, v2
	v_mov_b32_e32 v0, 0x7f800001
	s_and_saveexec_b64 s[38:39], vcc
	s_cbranch_execz .LBB6_5698
; %bb.5697:                             ;   in Loop: Header=BB6_5679 Depth=3
	v_and_b32_e32 v0, 7, v48
	v_ffbh_u32_e32 v0, v0
	v_min_u32_e32 v0, 32, v0
	v_lshrrev_b32_e32 v3, 3, v2
	v_cmp_gt_u32_e32 vcc, 8, v2
	v_subrev_u32_e32 v2, 28, v0
	v_sub_u32_e32 v0, 29, v0
	v_cndmask_b32_e32 v2, 0, v2, vcc
	v_cndmask_b32_e32 v0, v3, v0, vcc
	v_lshlrev_b64 v[2:3], v2, v[48:49]
	v_lshlrev_b32_e32 v3, 24, v48
	v_lshlrev_b32_e32 v2, 20, v2
	v_bfrev_b32_e32 v6, 60
	v_and_b32_e32 v2, 0x700000, v2
	v_and_b32_e32 v3, 0x80000000, v3
	v_lshl_add_u32 v0, v0, 23, v6
	v_or3_b32 v0, v3, v0, v2
.LBB6_5698:                             ;   in Loop: Header=BB6_5679 Depth=3
	s_or_b64 exec, exec, s[38:39]
.LBB6_5699:                             ;   in Loop: Header=BB6_5679 Depth=3
	s_or_b64 exec, exec, s[28:29]
.LBB6_5700:                             ;   in Loop: Header=BB6_5679 Depth=3
	s_or_b64 exec, exec, s[40:41]
	s_waitcnt vmcnt(3)
	v_cmp_ne_u16_sdwa s[40:41], v36, v53 src0_sel:BYTE_0 src1_sel:DWORD
	s_and_saveexec_b64 s[28:29], s[40:41]
	s_cbranch_execz .LBB6_5706
; %bb.5701:                             ;   in Loop: Header=BB6_5679 Depth=3
	v_cmp_ne_u16_sdwa vcc, v36, s82 src0_sel:BYTE_0 src1_sel:DWORD
	v_bfrev_b32_e32 v1, 1
	s_and_saveexec_b64 s[40:41], vcc
	s_cbranch_execz .LBB6_5705
; %bb.5702:                             ;   in Loop: Header=BB6_5679 Depth=3
	v_and_b32_e32 v2, 0x7f, v36
	v_cmp_ne_u32_e32 vcc, s83, v2
	v_mov_b32_e32 v1, 0x7f800001
	s_and_saveexec_b64 s[38:39], vcc
	s_cbranch_execz .LBB6_5704
; %bb.5703:                             ;   in Loop: Header=BB6_5679 Depth=3
	v_and_b32_e32 v1, 7, v36
	v_ffbh_u32_e32 v1, v1
	v_min_u32_e32 v1, 32, v1
	v_lshrrev_b32_e32 v3, 3, v2
	v_cmp_gt_u32_e32 vcc, 8, v2
	v_subrev_u32_e32 v2, 28, v1
	v_sub_u32_e32 v1, 29, v1
	v_cndmask_b32_e32 v3, v3, v1, vcc
	v_cndmask_b32_e32 v1, 0, v2, vcc
	v_lshlrev_b64 v[1:2], v1, v[36:37]
	v_lshlrev_b32_e32 v2, 24, v36
	v_lshlrev_b32_e32 v1, 20, v1
	v_bfrev_b32_e32 v6, 60
	v_and_b32_e32 v1, 0x700000, v1
	v_and_b32_e32 v2, 0x80000000, v2
	v_lshl_add_u32 v3, v3, 23, v6
	v_or3_b32 v1, v2, v3, v1
.LBB6_5704:                             ;   in Loop: Header=BB6_5679 Depth=3
	s_or_b64 exec, exec, s[38:39]
.LBB6_5705:                             ;   in Loop: Header=BB6_5679 Depth=3
	s_or_b64 exec, exec, s[40:41]
.LBB6_5706:                             ;   in Loop: Header=BB6_5679 Depth=3
	s_or_b64 exec, exec, s[28:29]
	v_max_f32_e32 v1, v1, v1
	v_max_f32_e32 v0, v0, v0
	v_min_f32_e32 v0, v0, v1
.LBB6_5707:                             ;   in Loop: Header=BB6_5679 Depth=3
	v_and_b32_e32 v52, 0x7f800000, v0
	v_cmp_ne_u64_e32 vcc, s[76:77], v[52:53]
                                        ; implicit-def: $vgpr47
	s_and_saveexec_b64 s[28:29], vcc
	s_xor_b64 s[40:41], exec, s[28:29]
	s_cbranch_execz .LBB6_5721
; %bb.5708:                             ;   in Loop: Header=BB6_5679 Depth=3
	v_and_b32_e32 v52, 0x7fffffff, v0
	v_cmp_gt_u64_e32 vcc, s[78:79], v[52:53]
	v_and_b32_sdwa v3, v0, s82 dst_sel:DWORD dst_unused:UNUSED_PAD src0_sel:BYTE_3 src1_sel:DWORD
                                        ; implicit-def: $vgpr47
	s_and_saveexec_b64 s[28:29], vcc
	s_xor_b64 s[38:39], exec, s[28:29]
	s_cbranch_execz .LBB6_5718
; %bb.5709:                             ;   in Loop: Header=BB6_5679 Depth=3
	v_mov_b32_e32 v47, 0
	v_cmp_ne_u32_e32 vcc, 0, v0
	s_and_saveexec_b64 s[48:49], vcc
	s_cbranch_execz .LBB6_5717
; %bb.5710:                             ;   in Loop: Header=BB6_5679 Depth=3
	v_bfe_u32 v6, v0, 23, 8
	v_and_b32_e32 v1, 0x7fffff, v0
	v_cmp_gt_u32_e64 s[28:29], s85, v6
	v_sub_u32_e32 v0, 0x79, v6
	v_cmp_eq_u32_e32 vcc, 0, v6
	v_cndmask_b32_e64 v0, 0, v0, s[28:29]
	v_mov_b32_e32 v7, 0x78
	v_cndmask_b32_e32 v7, v0, v7, vcc
	v_or_b32_e32 v2, 0x800000, v1
	v_add_u32_e32 v0, 20, v7
	v_cndmask_b32_e32 v52, v2, v1, vcc
	v_lshlrev_b64 v[0:1], v0, -1
	v_add_u32_e32 v2, 19, v7
	v_lshlrev_b64 v[54:55], v2, 1
	v_bfi_b32 v1, v1, 0, 0
	v_bfi_b32 v0, v0, 0, v52
	v_cmp_eq_u64_e64 s[28:29], v[0:1], v[54:55]
	v_lshrrev_b64 v[0:1], v7, v[52:53]
	v_mov_b32_e32 v2, v1
	v_mov_b32_e32 v1, v0
	s_and_saveexec_b64 s[50:51], s[28:29]
; %bb.5711:                             ;   in Loop: Header=BB6_5679 Depth=3
	v_bfe_u32 v1, v0, 20, 1
	v_add_co_u32_e64 v1, s[28:29], v0, v1
	v_add_co_u32_e64 v1, s[28:29], -1, v1
; %bb.5712:                             ;   in Loop: Header=BB6_5679 Depth=3
	s_or_b64 exec, exec, s[50:51]
	v_add_u32_e32 v2, 0xffffff81, v6
	v_mov_b32_e32 v6, 0xffffff82
	v_cndmask_b32_e32 v2, v2, v6, vcc
	v_lshrrev_b32_e32 v6, 23, v0
	v_add3_u32 v7, v7, v2, v6
	v_add_u32_e32 v6, 6, v7
	v_and_b32_e32 v1, 0xfffff, v1
	v_add_u32_e32 v52, v1, v0
	v_cmp_ne_u32_e32 vcc, 0, v6
                                        ; implicit-def: $vgpr0_vgpr1
                                        ; implicit-def: $vgpr2
	s_and_saveexec_b64 s[28:29], vcc
	s_xor_b64 s[28:29], exec, s[28:29]
; %bb.5713:                             ;   in Loop: Header=BB6_5679 Depth=3
	v_cmp_lt_u64_e32 vcc, s[88:89], v[52:53]
	v_add_u32_e32 v0, 7, v7
	v_cndmask_b32_e32 v2, v6, v0, vcc
	v_cndmask_b32_e64 v0, 0, 1, vcc
	v_lshrrev_b64 v[0:1], v0, v[52:53]
; %bb.5714:                             ;   in Loop: Header=BB6_5679 Depth=3
	s_andn2_saveexec_b64 s[28:29], s[28:29]
; %bb.5715:                             ;   in Loop: Header=BB6_5679 Depth=3
	v_mov_b32_e32 v0, v52
	v_bfe_u32 v2, v52, 23, 1
	v_mov_b32_e32 v1, v53
; %bb.5716:                             ;   in Loop: Header=BB6_5679 Depth=3
	s_or_b64 exec, exec, s[28:29]
	v_lshrrev_b64 v[0:1], 20, v[0:1]
	v_cmp_gt_i32_e32 vcc, 16, v2
	v_cndmask_b32_e32 v1, 0, v1, vcc
	v_cndmask_b32_e32 v0, 7, v0, vcc
	v_cmp_eq_u64_e64 s[28:29], 0, v[0:1]
	v_min_i32_e32 v1, 15, v2
	v_lshlrev_b32_e32 v1, 3, v1
	v_cmp_eq_u32_e32 vcc, 0, v2
	v_and_b32_e32 v1, 0xf8, v1
	v_and_or_b32 v0, v0, 7, v1
	s_and_b64 s[28:29], vcc, s[28:29]
	v_cndmask_b32_e64 v0, v0, 0, s[28:29]
	v_or_b32_e32 v47, v0, v3
.LBB6_5717:                             ;   in Loop: Header=BB6_5679 Depth=3
	s_or_b64 exec, exec, s[48:49]
                                        ; implicit-def: $vgpr3
.LBB6_5718:                             ;   in Loop: Header=BB6_5679 Depth=3
	s_andn2_saveexec_b64 s[28:29], s[38:39]
; %bb.5719:                             ;   in Loop: Header=BB6_5679 Depth=3
	v_or_b32_e32 v47, 0x7e, v3
; %bb.5720:                             ;   in Loop: Header=BB6_5679 Depth=3
	s_or_b64 exec, exec, s[28:29]
                                        ; implicit-def: $vgpr0
.LBB6_5721:                             ;   in Loop: Header=BB6_5679 Depth=3
	s_andn2_saveexec_b64 s[28:29], s[40:41]
; %bb.5722:                             ;   in Loop: Header=BB6_5679 Depth=3
	v_or_b32_sdwa v47, v0, s83 dst_sel:DWORD dst_unused:UNUSED_PAD src0_sel:BYTE_3 src1_sel:DWORD
; %bb.5723:                             ;   in Loop: Header=BB6_5679 Depth=3
	s_or_b64 exec, exec, s[28:29]
	v_lshrrev_b16_e32 v2, 8, v48
	s_waitcnt vmcnt(3)
	v_lshrrev_b16_e32 v0, 8, v36
	v_cmp_ne_u16_e64 s[28:29], 0, v2
	s_mov_b64 s[40:41], -1
	s_and_b64 vcc, exec, s[46:47]
                                        ; implicit-def: $vgpr1
	s_cbranch_vccz .LBB6_5737
; %bb.5724:                             ;   in Loop: Header=BB6_5679 Depth=3
	v_mov_b32_e32 v3, 0
	v_mov_b32_e32 v1, 0
	s_and_saveexec_b64 s[40:41], s[28:29]
	s_cbranch_execz .LBB6_5730
; %bb.5725:                             ;   in Loop: Header=BB6_5679 Depth=3
	v_cmp_ne_u16_e32 vcc, s82, v2
	v_bfrev_b32_e32 v1, 1
	s_and_saveexec_b64 s[38:39], vcc
	s_cbranch_execz .LBB6_5729
; %bb.5726:                             ;   in Loop: Header=BB6_5679 Depth=3
	v_and_b32_e32 v6, 0x7f, v2
	v_cmp_ne_u32_e32 vcc, s83, v6
	v_mov_b32_e32 v1, 0x7f800001
	s_and_saveexec_b64 s[48:49], vcc
	s_cbranch_execz .LBB6_5728
; %bb.5727:                             ;   in Loop: Header=BB6_5679 Depth=3
	v_and_b32_e32 v1, 7, v2
	v_lshrrev_b32_e32 v31, 3, v6
	v_cmp_gt_u32_e32 vcc, 8, v6
	v_ffbh_u32_e32 v6, v1
	v_min_u32_e32 v52, 32, v6
	v_subrev_u32_e32 v6, 28, v52
	v_lshlrev_b64 v[6:7], v6, v[2:3]
	v_sub_u32_e32 v7, 29, v52
	v_and_b32_e32 v6, 7, v6
	v_cndmask_b32_e32 v7, v31, v7, vcc
	v_cndmask_b32_e32 v1, v1, v6, vcc
	v_lshlrev_b32_e32 v6, 16, v48
	v_bfrev_b32_e32 v31, 60
	v_lshlrev_b32_e32 v1, 20, v1
	v_and_b32_e32 v6, 0x80000000, v6
	v_lshl_add_u32 v7, v7, 23, v31
	v_or3_b32 v1, v6, v7, v1
.LBB6_5728:                             ;   in Loop: Header=BB6_5679 Depth=3
	s_or_b64 exec, exec, s[48:49]
.LBB6_5729:                             ;   in Loop: Header=BB6_5679 Depth=3
	s_or_b64 exec, exec, s[38:39]
.LBB6_5730:                             ;   in Loop: Header=BB6_5679 Depth=3
	s_or_b64 exec, exec, s[40:41]
	v_cmp_ne_u16_e32 vcc, 0, v0
	s_and_saveexec_b64 s[40:41], vcc
	s_cbranch_execz .LBB6_5736
; %bb.5731:                             ;   in Loop: Header=BB6_5679 Depth=3
	v_cmp_ne_u16_e32 vcc, s82, v0
	v_bfrev_b32_e32 v3, 1
	s_and_saveexec_b64 s[38:39], vcc
	s_cbranch_execz .LBB6_5735
; %bb.5732:                             ;   in Loop: Header=BB6_5679 Depth=3
	v_and_b32_e32 v6, 0x7f, v0
	v_cmp_ne_u32_e32 vcc, s83, v6
	v_mov_b32_e32 v3, 0x7f800001
	s_and_saveexec_b64 s[48:49], vcc
	s_cbranch_execz .LBB6_5734
; %bb.5733:                             ;   in Loop: Header=BB6_5679 Depth=3
	v_and_b32_e32 v3, 7, v0
	v_lshrrev_b32_e32 v31, 3, v6
	v_cmp_gt_u32_e32 vcc, 8, v6
	v_ffbh_u32_e32 v6, v3
	v_min_u32_e32 v52, 32, v6
	v_subrev_u32_e32 v6, 28, v52
	v_lshlrev_b64 v[6:7], v6, v[0:1]
	v_sub_u32_e32 v7, 29, v52
	v_and_b32_e32 v6, 7, v6
	v_cndmask_b32_e32 v7, v31, v7, vcc
	v_cndmask_b32_e32 v3, v3, v6, vcc
	v_lshlrev_b32_e32 v6, 16, v36
	v_bfrev_b32_e32 v31, 60
	v_lshlrev_b32_e32 v3, 20, v3
	v_and_b32_e32 v6, 0x80000000, v6
	v_lshl_add_u32 v7, v7, 23, v31
	v_or3_b32 v3, v6, v7, v3
.LBB6_5734:                             ;   in Loop: Header=BB6_5679 Depth=3
	s_or_b64 exec, exec, s[48:49]
.LBB6_5735:                             ;   in Loop: Header=BB6_5679 Depth=3
	s_or_b64 exec, exec, s[38:39]
.LBB6_5736:                             ;   in Loop: Header=BB6_5679 Depth=3
	s_or_b64 exec, exec, s[40:41]
	v_max_f32_e32 v3, v3, v3
	v_max_f32_e32 v1, v1, v1
	;; [unrolled: 1-line block ×3, first 2 shown]
	s_mov_b64 s[40:41], 0
.LBB6_5737:                             ;   in Loop: Header=BB6_5679 Depth=3
	s_and_b64 vcc, exec, s[40:41]
	s_cbranch_vccz .LBB6_5751
; %bb.5738:                             ;   in Loop: Header=BB6_5679 Depth=3
	v_mov_b32_e32 v3, 0
	v_mov_b32_e32 v1, 0
	s_and_saveexec_b64 s[40:41], s[28:29]
	s_cbranch_execz .LBB6_5744
; %bb.5739:                             ;   in Loop: Header=BB6_5679 Depth=3
	v_cmp_ne_u16_e32 vcc, s82, v2
	v_bfrev_b32_e32 v1, 1
	s_and_saveexec_b64 s[28:29], vcc
	s_cbranch_execz .LBB6_5743
; %bb.5740:                             ;   in Loop: Header=BB6_5679 Depth=3
	v_and_b32_e32 v6, 0x7f, v2
	v_cmp_ne_u32_e32 vcc, s83, v6
	v_mov_b32_e32 v1, 0x7f800001
	s_and_saveexec_b64 s[38:39], vcc
	s_cbranch_execz .LBB6_5742
; %bb.5741:                             ;   in Loop: Header=BB6_5679 Depth=3
	v_and_b32_e32 v7, 7, v2
	v_ffbh_u32_e32 v1, v7
	v_lshrrev_b32_e32 v31, 3, v6
	v_cmp_gt_u32_e32 vcc, 8, v6
	v_min_u32_e32 v6, 32, v1
	v_subrev_u32_e32 v1, 28, v6
	v_lshlrev_b64 v[1:2], v1, v[2:3]
	v_sub_u32_e32 v2, 29, v6
	v_and_b32_e32 v1, 7, v1
	v_cndmask_b32_e32 v2, v31, v2, vcc
	v_cndmask_b32_e32 v1, v7, v1, vcc
	v_lshlrev_b32_e32 v6, 16, v48
	v_bfrev_b32_e32 v7, 60
	v_lshlrev_b32_e32 v1, 20, v1
	v_and_b32_e32 v6, 0x80000000, v6
	v_lshl_add_u32 v2, v2, 23, v7
	v_or3_b32 v1, v6, v2, v1
.LBB6_5742:                             ;   in Loop: Header=BB6_5679 Depth=3
	s_or_b64 exec, exec, s[38:39]
.LBB6_5743:                             ;   in Loop: Header=BB6_5679 Depth=3
	s_or_b64 exec, exec, s[28:29]
.LBB6_5744:                             ;   in Loop: Header=BB6_5679 Depth=3
	s_or_b64 exec, exec, s[40:41]
	v_cmp_ne_u16_e32 vcc, 0, v0
	s_and_saveexec_b64 s[28:29], vcc
	s_cbranch_execz .LBB6_5750
; %bb.5745:                             ;   in Loop: Header=BB6_5679 Depth=3
	v_cmp_ne_u16_e32 vcc, s82, v0
	v_bfrev_b32_e32 v3, 1
	s_and_saveexec_b64 s[40:41], vcc
	s_cbranch_execz .LBB6_5749
; %bb.5746:                             ;   in Loop: Header=BB6_5679 Depth=3
	v_and_b32_e32 v2, 0x7f, v0
	v_cmp_ne_u32_e32 vcc, s83, v2
	v_mov_b32_e32 v3, 0x7f800001
	s_and_saveexec_b64 s[38:39], vcc
	s_cbranch_execz .LBB6_5748
; %bb.5747:                             ;   in Loop: Header=BB6_5679 Depth=3
	v_and_b32_e32 v6, 7, v0
	v_lshrrev_b32_e32 v7, 3, v2
	v_cmp_gt_u32_e32 vcc, 8, v2
	v_ffbh_u32_e32 v2, v6
	v_min_u32_e32 v31, 32, v2
	v_subrev_u32_e32 v2, 28, v31
	v_lshlrev_b64 v[2:3], v2, v[0:1]
	v_sub_u32_e32 v0, 29, v31
	v_and_b32_e32 v2, 7, v2
	v_cndmask_b32_e32 v0, v7, v0, vcc
	v_cndmask_b32_e32 v2, v6, v2, vcc
	v_lshlrev_b32_e32 v3, 16, v36
	v_bfrev_b32_e32 v6, 60
	v_lshlrev_b32_e32 v2, 20, v2
	v_and_b32_e32 v3, 0x80000000, v3
	v_lshl_add_u32 v0, v0, 23, v6
	v_or3_b32 v3, v3, v0, v2
.LBB6_5748:                             ;   in Loop: Header=BB6_5679 Depth=3
	s_or_b64 exec, exec, s[38:39]
.LBB6_5749:                             ;   in Loop: Header=BB6_5679 Depth=3
	s_or_b64 exec, exec, s[40:41]
.LBB6_5750:                             ;   in Loop: Header=BB6_5679 Depth=3
	s_or_b64 exec, exec, s[28:29]
	v_max_f32_e32 v0, v3, v3
	v_max_f32_e32 v1, v1, v1
	v_min_f32_e32 v1, v1, v0
.LBB6_5751:                             ;   in Loop: Header=BB6_5679 Depth=3
	v_and_b32_e32 v52, 0x7f800000, v1
	v_cmp_ne_u64_e32 vcc, s[76:77], v[52:53]
                                        ; implicit-def: $vgpr42
	s_and_saveexec_b64 s[28:29], vcc
	s_xor_b64 s[40:41], exec, s[28:29]
	s_cbranch_execz .LBB6_5765
; %bb.5752:                             ;   in Loop: Header=BB6_5679 Depth=3
	v_and_b32_e32 v52, 0x7fffffff, v1
	v_cmp_gt_u64_e32 vcc, s[78:79], v[52:53]
	v_and_b32_sdwa v3, v1, s82 dst_sel:DWORD dst_unused:UNUSED_PAD src0_sel:BYTE_3 src1_sel:DWORD
                                        ; implicit-def: $vgpr42
	s_and_saveexec_b64 s[28:29], vcc
	s_xor_b64 s[38:39], exec, s[28:29]
	s_cbranch_execz .LBB6_5762
; %bb.5753:                             ;   in Loop: Header=BB6_5679 Depth=3
	v_mov_b32_e32 v42, 0
	v_cmp_ne_u32_e32 vcc, 0, v1
	s_and_saveexec_b64 s[48:49], vcc
	s_cbranch_execz .LBB6_5761
; %bb.5754:                             ;   in Loop: Header=BB6_5679 Depth=3
	v_bfe_u32 v6, v1, 23, 8
	v_and_b32_e32 v0, 0x7fffff, v1
	v_cmp_gt_u32_e64 s[28:29], s85, v6
	v_sub_u32_e32 v1, 0x79, v6
	v_cmp_eq_u32_e32 vcc, 0, v6
	v_cndmask_b32_e64 v1, 0, v1, s[28:29]
	v_mov_b32_e32 v7, 0x78
	v_or_b32_e32 v2, 0x800000, v0
	v_cndmask_b32_e32 v7, v1, v7, vcc
	v_cndmask_b32_e32 v52, v2, v0, vcc
	v_add_u32_e32 v0, 20, v7
	v_lshlrev_b64 v[0:1], v0, -1
	v_add_u32_e32 v2, 19, v7
	v_lshlrev_b64 v[54:55], v2, 1
	v_bfi_b32 v1, v1, 0, 0
	v_bfi_b32 v0, v0, 0, v52
	v_cmp_eq_u64_e64 s[28:29], v[0:1], v[54:55]
	v_lshrrev_b64 v[0:1], v7, v[52:53]
	v_mov_b32_e32 v2, v1
	v_mov_b32_e32 v1, v0
	s_and_saveexec_b64 s[50:51], s[28:29]
; %bb.5755:                             ;   in Loop: Header=BB6_5679 Depth=3
	v_bfe_u32 v1, v0, 20, 1
	v_add_co_u32_e64 v1, s[28:29], v0, v1
	v_add_co_u32_e64 v1, s[28:29], -1, v1
; %bb.5756:                             ;   in Loop: Header=BB6_5679 Depth=3
	s_or_b64 exec, exec, s[50:51]
	v_add_u32_e32 v2, 0xffffff81, v6
	v_mov_b32_e32 v6, 0xffffff82
	v_cndmask_b32_e32 v2, v2, v6, vcc
	v_lshrrev_b32_e32 v6, 23, v0
	v_add3_u32 v7, v7, v2, v6
	v_add_u32_e32 v6, 6, v7
	v_and_b32_e32 v1, 0xfffff, v1
	v_add_u32_e32 v52, v1, v0
	v_cmp_ne_u32_e32 vcc, 0, v6
                                        ; implicit-def: $vgpr0_vgpr1
                                        ; implicit-def: $vgpr2
	s_and_saveexec_b64 s[28:29], vcc
	s_xor_b64 s[28:29], exec, s[28:29]
; %bb.5757:                             ;   in Loop: Header=BB6_5679 Depth=3
	v_cmp_lt_u64_e32 vcc, s[88:89], v[52:53]
	v_add_u32_e32 v0, 7, v7
	v_cndmask_b32_e32 v2, v6, v0, vcc
	v_cndmask_b32_e64 v0, 0, 1, vcc
	v_lshrrev_b64 v[0:1], v0, v[52:53]
; %bb.5758:                             ;   in Loop: Header=BB6_5679 Depth=3
	s_andn2_saveexec_b64 s[28:29], s[28:29]
; %bb.5759:                             ;   in Loop: Header=BB6_5679 Depth=3
	v_mov_b32_e32 v0, v52
	v_bfe_u32 v2, v52, 23, 1
	v_mov_b32_e32 v1, v53
; %bb.5760:                             ;   in Loop: Header=BB6_5679 Depth=3
	s_or_b64 exec, exec, s[28:29]
	v_lshrrev_b64 v[0:1], 20, v[0:1]
	v_cmp_gt_i32_e32 vcc, 16, v2
	v_cndmask_b32_e32 v1, 0, v1, vcc
	v_cndmask_b32_e32 v0, 7, v0, vcc
	v_cmp_eq_u64_e64 s[28:29], 0, v[0:1]
	v_min_i32_e32 v1, 15, v2
	v_lshlrev_b32_e32 v1, 3, v1
	v_cmp_eq_u32_e32 vcc, 0, v2
	v_and_b32_e32 v1, 0xf8, v1
	v_and_or_b32 v0, v0, 7, v1
	s_and_b64 s[28:29], vcc, s[28:29]
	v_cndmask_b32_e64 v0, v0, 0, s[28:29]
	v_or_b32_e32 v42, v0, v3
.LBB6_5761:                             ;   in Loop: Header=BB6_5679 Depth=3
	s_or_b64 exec, exec, s[48:49]
                                        ; implicit-def: $vgpr3
.LBB6_5762:                             ;   in Loop: Header=BB6_5679 Depth=3
	s_andn2_saveexec_b64 s[28:29], s[38:39]
; %bb.5763:                             ;   in Loop: Header=BB6_5679 Depth=3
	v_or_b32_e32 v42, 0x7e, v3
; %bb.5764:                             ;   in Loop: Header=BB6_5679 Depth=3
	s_or_b64 exec, exec, s[28:29]
                                        ; implicit-def: $vgpr1
.LBB6_5765:                             ;   in Loop: Header=BB6_5679 Depth=3
	s_andn2_saveexec_b64 s[28:29], s[40:41]
; %bb.5766:                             ;   in Loop: Header=BB6_5679 Depth=3
	v_or_b32_sdwa v42, v1, s83 dst_sel:DWORD dst_unused:UNUSED_PAD src0_sel:BYTE_3 src1_sel:DWORD
; %bb.5767:                             ;   in Loop: Header=BB6_5679 Depth=3
	s_or_b64 exec, exec, s[28:29]
	v_lshrrev_b32_e32 v2, 16, v48
	v_lshrrev_b32_e32 v0, 16, v36
	v_cmp_ne_u16_sdwa s[28:29], v2, v53 src0_sel:BYTE_0 src1_sel:DWORD
	s_mov_b64 s[40:41], -1
	s_and_b64 vcc, exec, s[46:47]
                                        ; implicit-def: $vgpr1
	s_cbranch_vccz .LBB6_5781
; %bb.5768:                             ;   in Loop: Header=BB6_5679 Depth=3
	v_mov_b32_e32 v3, 0
	v_mov_b32_e32 v1, 0
	s_and_saveexec_b64 s[40:41], s[28:29]
	s_cbranch_execz .LBB6_5774
; %bb.5769:                             ;   in Loop: Header=BB6_5679 Depth=3
	v_cmp_ne_u16_sdwa vcc, v2, s82 src0_sel:BYTE_0 src1_sel:DWORD
	v_bfrev_b32_e32 v1, 1
	s_and_saveexec_b64 s[38:39], vcc
	s_cbranch_execz .LBB6_5773
; %bb.5770:                             ;   in Loop: Header=BB6_5679 Depth=3
	v_bfe_u32 v6, v48, 16, 7
	v_cmp_ne_u32_e32 vcc, s83, v6
	v_mov_b32_e32 v1, 0x7f800001
	s_and_saveexec_b64 s[48:49], vcc
	s_cbranch_execz .LBB6_5772
; %bb.5771:                             ;   in Loop: Header=BB6_5679 Depth=3
	v_and_b32_e32 v1, 7, v2
	v_lshrrev_b32_e32 v31, 3, v6
	v_cmp_gt_u32_e32 vcc, 8, v6
	v_ffbh_u32_e32 v6, v1
	v_min_u32_e32 v52, 32, v6
	v_subrev_u32_e32 v6, 28, v52
	v_lshlrev_b64 v[6:7], v6, v[2:3]
	v_sub_u32_e32 v7, 29, v52
	v_and_b32_e32 v6, 7, v6
	v_cndmask_b32_e32 v7, v31, v7, vcc
	v_cndmask_b32_e32 v1, v1, v6, vcc
	v_lshlrev_b32_e32 v6, 24, v2
	v_bfrev_b32_e32 v31, 60
	v_lshlrev_b32_e32 v1, 20, v1
	v_and_b32_e32 v6, 0x80000000, v6
	v_lshl_add_u32 v7, v7, 23, v31
	v_or3_b32 v1, v6, v7, v1
.LBB6_5772:                             ;   in Loop: Header=BB6_5679 Depth=3
	s_or_b64 exec, exec, s[48:49]
.LBB6_5773:                             ;   in Loop: Header=BB6_5679 Depth=3
	s_or_b64 exec, exec, s[38:39]
.LBB6_5774:                             ;   in Loop: Header=BB6_5679 Depth=3
	s_or_b64 exec, exec, s[40:41]
	v_cmp_ne_u16_sdwa vcc, v0, v53 src0_sel:BYTE_0 src1_sel:DWORD
	s_and_saveexec_b64 s[40:41], vcc
	s_cbranch_execz .LBB6_5780
; %bb.5775:                             ;   in Loop: Header=BB6_5679 Depth=3
	v_cmp_ne_u16_sdwa vcc, v0, s82 src0_sel:BYTE_0 src1_sel:DWORD
	v_bfrev_b32_e32 v3, 1
	s_and_saveexec_b64 s[38:39], vcc
	s_cbranch_execz .LBB6_5779
; %bb.5776:                             ;   in Loop: Header=BB6_5679 Depth=3
	v_bfe_u32 v6, v36, 16, 7
	v_cmp_ne_u32_e32 vcc, s83, v6
	v_mov_b32_e32 v3, 0x7f800001
	s_and_saveexec_b64 s[48:49], vcc
	s_cbranch_execz .LBB6_5778
; %bb.5777:                             ;   in Loop: Header=BB6_5679 Depth=3
	v_and_b32_e32 v3, 7, v0
	v_lshrrev_b32_e32 v31, 3, v6
	v_cmp_gt_u32_e32 vcc, 8, v6
	v_ffbh_u32_e32 v6, v3
	v_min_u32_e32 v52, 32, v6
	v_subrev_u32_e32 v6, 28, v52
	v_lshlrev_b64 v[6:7], v6, v[0:1]
	v_sub_u32_e32 v7, 29, v52
	v_and_b32_e32 v6, 7, v6
	v_cndmask_b32_e32 v7, v31, v7, vcc
	v_cndmask_b32_e32 v3, v3, v6, vcc
	v_lshlrev_b32_e32 v6, 24, v0
	v_bfrev_b32_e32 v31, 60
	v_lshlrev_b32_e32 v3, 20, v3
	v_and_b32_e32 v6, 0x80000000, v6
	v_lshl_add_u32 v7, v7, 23, v31
	v_or3_b32 v3, v6, v7, v3
.LBB6_5778:                             ;   in Loop: Header=BB6_5679 Depth=3
	s_or_b64 exec, exec, s[48:49]
.LBB6_5779:                             ;   in Loop: Header=BB6_5679 Depth=3
	s_or_b64 exec, exec, s[38:39]
.LBB6_5780:                             ;   in Loop: Header=BB6_5679 Depth=3
	s_or_b64 exec, exec, s[40:41]
	v_max_f32_e32 v3, v3, v3
	v_max_f32_e32 v1, v1, v1
	;; [unrolled: 1-line block ×3, first 2 shown]
	s_mov_b64 s[40:41], 0
.LBB6_5781:                             ;   in Loop: Header=BB6_5679 Depth=3
	s_and_b64 vcc, exec, s[40:41]
	s_cbranch_vccz .LBB6_5795
; %bb.5782:                             ;   in Loop: Header=BB6_5679 Depth=3
	v_mov_b32_e32 v3, 0
	v_mov_b32_e32 v1, 0
	s_and_saveexec_b64 s[40:41], s[28:29]
	s_cbranch_execz .LBB6_5788
; %bb.5783:                             ;   in Loop: Header=BB6_5679 Depth=3
	v_cmp_ne_u16_sdwa vcc, v2, s82 src0_sel:BYTE_0 src1_sel:DWORD
	v_bfrev_b32_e32 v1, 1
	s_and_saveexec_b64 s[28:29], vcc
	s_cbranch_execz .LBB6_5787
; %bb.5784:                             ;   in Loop: Header=BB6_5679 Depth=3
	v_bfe_u32 v6, v48, 16, 7
	v_cmp_ne_u32_e32 vcc, s83, v6
	v_mov_b32_e32 v1, 0x7f800001
	s_and_saveexec_b64 s[38:39], vcc
	s_cbranch_execz .LBB6_5786
; %bb.5785:                             ;   in Loop: Header=BB6_5679 Depth=3
	v_and_b32_e32 v1, 7, v2
	v_lshrrev_b32_e32 v31, 3, v6
	v_cmp_gt_u32_e32 vcc, 8, v6
	v_ffbh_u32_e32 v6, v1
	v_min_u32_e32 v52, 32, v6
	v_subrev_u32_e32 v6, 28, v52
	v_lshlrev_b64 v[6:7], v6, v[2:3]
	v_sub_u32_e32 v7, 29, v52
	v_and_b32_e32 v6, 7, v6
	v_cndmask_b32_e32 v7, v31, v7, vcc
	v_cndmask_b32_e32 v1, v1, v6, vcc
	v_lshlrev_b32_e32 v2, 24, v2
	v_bfrev_b32_e32 v6, 60
	v_lshlrev_b32_e32 v1, 20, v1
	v_and_b32_e32 v2, 0x80000000, v2
	v_lshl_add_u32 v6, v7, 23, v6
	v_or3_b32 v1, v2, v6, v1
.LBB6_5786:                             ;   in Loop: Header=BB6_5679 Depth=3
	s_or_b64 exec, exec, s[38:39]
.LBB6_5787:                             ;   in Loop: Header=BB6_5679 Depth=3
	s_or_b64 exec, exec, s[28:29]
.LBB6_5788:                             ;   in Loop: Header=BB6_5679 Depth=3
	s_or_b64 exec, exec, s[40:41]
	v_cmp_ne_u16_sdwa s[40:41], v0, v53 src0_sel:BYTE_0 src1_sel:DWORD
	s_and_saveexec_b64 s[28:29], s[40:41]
	s_cbranch_execz .LBB6_5794
; %bb.5789:                             ;   in Loop: Header=BB6_5679 Depth=3
	v_cmp_ne_u16_sdwa vcc, v0, s82 src0_sel:BYTE_0 src1_sel:DWORD
	v_bfrev_b32_e32 v3, 1
	s_and_saveexec_b64 s[40:41], vcc
	s_cbranch_execz .LBB6_5793
; %bb.5790:                             ;   in Loop: Header=BB6_5679 Depth=3
	v_bfe_u32 v2, v36, 16, 7
	v_cmp_ne_u32_e32 vcc, s83, v2
	v_mov_b32_e32 v3, 0x7f800001
	s_and_saveexec_b64 s[38:39], vcc
	s_cbranch_execz .LBB6_5792
; %bb.5791:                             ;   in Loop: Header=BB6_5679 Depth=3
	v_and_b32_e32 v6, 7, v0
	v_lshrrev_b32_e32 v7, 3, v2
	v_cmp_gt_u32_e32 vcc, 8, v2
	v_ffbh_u32_e32 v2, v6
	v_min_u32_e32 v31, 32, v2
	v_subrev_u32_e32 v2, 28, v31
	v_lshlrev_b64 v[2:3], v2, v[0:1]
	v_sub_u32_e32 v3, 29, v31
	v_and_b32_e32 v2, 7, v2
	v_cndmask_b32_e32 v3, v7, v3, vcc
	v_cndmask_b32_e32 v2, v6, v2, vcc
	v_lshlrev_b32_e32 v0, 24, v0
	v_bfrev_b32_e32 v6, 60
	v_lshlrev_b32_e32 v2, 20, v2
	v_and_b32_e32 v0, 0x80000000, v0
	v_lshl_add_u32 v3, v3, 23, v6
	v_or3_b32 v3, v0, v3, v2
.LBB6_5792:                             ;   in Loop: Header=BB6_5679 Depth=3
	s_or_b64 exec, exec, s[38:39]
.LBB6_5793:                             ;   in Loop: Header=BB6_5679 Depth=3
	s_or_b64 exec, exec, s[40:41]
.LBB6_5794:                             ;   in Loop: Header=BB6_5679 Depth=3
	s_or_b64 exec, exec, s[28:29]
	v_max_f32_e32 v0, v3, v3
	v_max_f32_e32 v1, v1, v1
	v_min_f32_e32 v1, v1, v0
.LBB6_5795:                             ;   in Loop: Header=BB6_5679 Depth=3
	v_and_b32_e32 v52, 0x7f800000, v1
	v_cmp_ne_u64_e32 vcc, s[76:77], v[52:53]
                                        ; implicit-def: $vgpr43
	s_and_saveexec_b64 s[28:29], vcc
	s_xor_b64 s[40:41], exec, s[28:29]
	s_cbranch_execz .LBB6_5809
; %bb.5796:                             ;   in Loop: Header=BB6_5679 Depth=3
	v_and_b32_e32 v52, 0x7fffffff, v1
	v_cmp_gt_u64_e32 vcc, s[78:79], v[52:53]
	v_and_b32_sdwa v3, v1, s82 dst_sel:DWORD dst_unused:UNUSED_PAD src0_sel:BYTE_3 src1_sel:DWORD
                                        ; implicit-def: $vgpr43
	s_and_saveexec_b64 s[28:29], vcc
	s_xor_b64 s[38:39], exec, s[28:29]
	s_cbranch_execz .LBB6_5806
; %bb.5797:                             ;   in Loop: Header=BB6_5679 Depth=3
	v_mov_b32_e32 v43, 0
	v_cmp_ne_u32_e32 vcc, 0, v1
	s_and_saveexec_b64 s[48:49], vcc
	s_cbranch_execz .LBB6_5805
; %bb.5798:                             ;   in Loop: Header=BB6_5679 Depth=3
	v_bfe_u32 v6, v1, 23, 8
	v_and_b32_e32 v0, 0x7fffff, v1
	v_cmp_gt_u32_e64 s[28:29], s85, v6
	v_sub_u32_e32 v1, 0x79, v6
	v_cmp_eq_u32_e32 vcc, 0, v6
	v_cndmask_b32_e64 v1, 0, v1, s[28:29]
	v_mov_b32_e32 v7, 0x78
	v_or_b32_e32 v2, 0x800000, v0
	v_cndmask_b32_e32 v7, v1, v7, vcc
	v_cndmask_b32_e32 v52, v2, v0, vcc
	v_add_u32_e32 v0, 20, v7
	v_lshlrev_b64 v[0:1], v0, -1
	v_add_u32_e32 v2, 19, v7
	v_lshlrev_b64 v[54:55], v2, 1
	v_bfi_b32 v1, v1, 0, 0
	v_bfi_b32 v0, v0, 0, v52
	v_cmp_eq_u64_e64 s[28:29], v[0:1], v[54:55]
	v_lshrrev_b64 v[0:1], v7, v[52:53]
	v_mov_b32_e32 v2, v1
	v_mov_b32_e32 v1, v0
	s_and_saveexec_b64 s[50:51], s[28:29]
; %bb.5799:                             ;   in Loop: Header=BB6_5679 Depth=3
	v_bfe_u32 v1, v0, 20, 1
	v_add_co_u32_e64 v1, s[28:29], v0, v1
	v_add_co_u32_e64 v1, s[28:29], -1, v1
; %bb.5800:                             ;   in Loop: Header=BB6_5679 Depth=3
	s_or_b64 exec, exec, s[50:51]
	v_add_u32_e32 v2, 0xffffff81, v6
	v_mov_b32_e32 v6, 0xffffff82
	v_cndmask_b32_e32 v2, v2, v6, vcc
	v_lshrrev_b32_e32 v6, 23, v0
	v_add3_u32 v7, v7, v2, v6
	v_add_u32_e32 v6, 6, v7
	v_and_b32_e32 v1, 0xfffff, v1
	v_add_u32_e32 v52, v1, v0
	v_cmp_ne_u32_e32 vcc, 0, v6
                                        ; implicit-def: $vgpr0_vgpr1
                                        ; implicit-def: $vgpr2
	s_and_saveexec_b64 s[28:29], vcc
	s_xor_b64 s[28:29], exec, s[28:29]
; %bb.5801:                             ;   in Loop: Header=BB6_5679 Depth=3
	v_cmp_lt_u64_e32 vcc, s[88:89], v[52:53]
	v_add_u32_e32 v0, 7, v7
	v_cndmask_b32_e32 v2, v6, v0, vcc
	v_cndmask_b32_e64 v0, 0, 1, vcc
	v_lshrrev_b64 v[0:1], v0, v[52:53]
; %bb.5802:                             ;   in Loop: Header=BB6_5679 Depth=3
	s_andn2_saveexec_b64 s[28:29], s[28:29]
; %bb.5803:                             ;   in Loop: Header=BB6_5679 Depth=3
	v_mov_b32_e32 v0, v52
	v_bfe_u32 v2, v52, 23, 1
	v_mov_b32_e32 v1, v53
; %bb.5804:                             ;   in Loop: Header=BB6_5679 Depth=3
	s_or_b64 exec, exec, s[28:29]
	v_lshrrev_b64 v[0:1], 20, v[0:1]
	v_cmp_gt_i32_e32 vcc, 16, v2
	v_cndmask_b32_e32 v1, 0, v1, vcc
	v_cndmask_b32_e32 v0, 7, v0, vcc
	v_cmp_eq_u64_e64 s[28:29], 0, v[0:1]
	v_min_i32_e32 v1, 15, v2
	v_lshlrev_b32_e32 v1, 3, v1
	v_cmp_eq_u32_e32 vcc, 0, v2
	v_and_b32_e32 v1, 0xf8, v1
	v_and_or_b32 v0, v0, 7, v1
	s_and_b64 s[28:29], vcc, s[28:29]
	v_cndmask_b32_e64 v0, v0, 0, s[28:29]
	v_or_b32_e32 v43, v0, v3
.LBB6_5805:                             ;   in Loop: Header=BB6_5679 Depth=3
	s_or_b64 exec, exec, s[48:49]
                                        ; implicit-def: $vgpr3
.LBB6_5806:                             ;   in Loop: Header=BB6_5679 Depth=3
	s_andn2_saveexec_b64 s[28:29], s[38:39]
; %bb.5807:                             ;   in Loop: Header=BB6_5679 Depth=3
	v_or_b32_e32 v43, 0x7e, v3
; %bb.5808:                             ;   in Loop: Header=BB6_5679 Depth=3
	s_or_b64 exec, exec, s[28:29]
                                        ; implicit-def: $vgpr1
.LBB6_5809:                             ;   in Loop: Header=BB6_5679 Depth=3
	s_andn2_saveexec_b64 s[28:29], s[40:41]
; %bb.5810:                             ;   in Loop: Header=BB6_5679 Depth=3
	v_or_b32_sdwa v43, v1, s83 dst_sel:DWORD dst_unused:UNUSED_PAD src0_sel:BYTE_3 src1_sel:DWORD
; %bb.5811:                             ;   in Loop: Header=BB6_5679 Depth=3
	s_or_b64 exec, exec, s[28:29]
	v_lshrrev_b32_e32 v2, 24, v48
	v_lshrrev_b32_e32 v0, 24, v36
	v_cmp_lt_u32_e64 s[28:29], s63, v48
	s_mov_b64 s[40:41], -1
	s_and_b64 vcc, exec, s[46:47]
                                        ; implicit-def: $vgpr1
	s_cbranch_vccz .LBB6_5825
; %bb.5812:                             ;   in Loop: Header=BB6_5679 Depth=3
	v_mov_b32_e32 v3, 0
	v_mov_b32_e32 v1, 0
	s_and_saveexec_b64 s[40:41], s[28:29]
	s_cbranch_execz .LBB6_5818
; %bb.5813:                             ;   in Loop: Header=BB6_5679 Depth=3
	v_cmp_ne_u32_e32 vcc, s82, v2
	v_bfrev_b32_e32 v1, 1
	s_and_saveexec_b64 s[38:39], vcc
	s_cbranch_execz .LBB6_5817
; %bb.5814:                             ;   in Loop: Header=BB6_5679 Depth=3
	v_bfe_u32 v6, v48, 24, 7
	v_cmp_ne_u32_e32 vcc, s83, v6
	v_mov_b32_e32 v1, 0x7f800001
	s_and_saveexec_b64 s[48:49], vcc
	s_cbranch_execz .LBB6_5816
; %bb.5815:                             ;   in Loop: Header=BB6_5679 Depth=3
	v_and_b32_e32 v1, 7, v2
	v_lshrrev_b32_e32 v31, 3, v6
	v_cmp_gt_u32_e32 vcc, 8, v6
	v_ffbh_u32_e32 v6, v1
	v_min_u32_e32 v52, 32, v6
	v_subrev_u32_e32 v6, 28, v52
	v_lshlrev_b64 v[6:7], v6, v[2:3]
	v_sub_u32_e32 v7, 29, v52
	v_and_b32_e32 v6, 7, v6
	v_cndmask_b32_e32 v7, v31, v7, vcc
	v_cndmask_b32_e32 v1, v1, v6, vcc
	v_lshlrev_b32_e32 v6, 24, v2
	v_bfrev_b32_e32 v31, 60
	v_lshlrev_b32_e32 v1, 20, v1
	v_and_b32_e32 v6, 0x80000000, v6
	v_lshl_add_u32 v7, v7, 23, v31
	v_or3_b32 v1, v6, v7, v1
.LBB6_5816:                             ;   in Loop: Header=BB6_5679 Depth=3
	s_or_b64 exec, exec, s[48:49]
.LBB6_5817:                             ;   in Loop: Header=BB6_5679 Depth=3
	s_or_b64 exec, exec, s[38:39]
.LBB6_5818:                             ;   in Loop: Header=BB6_5679 Depth=3
	s_or_b64 exec, exec, s[40:41]
	v_cmp_lt_u32_e32 vcc, s63, v36
	s_and_saveexec_b64 s[40:41], vcc
	s_cbranch_execz .LBB6_5824
; %bb.5819:                             ;   in Loop: Header=BB6_5679 Depth=3
	v_cmp_ne_u32_e32 vcc, s82, v0
	v_bfrev_b32_e32 v3, 1
	s_and_saveexec_b64 s[38:39], vcc
	s_cbranch_execz .LBB6_5823
; %bb.5820:                             ;   in Loop: Header=BB6_5679 Depth=3
	v_bfe_u32 v6, v36, 24, 7
	v_cmp_ne_u32_e32 vcc, s83, v6
	v_mov_b32_e32 v3, 0x7f800001
	s_and_saveexec_b64 s[48:49], vcc
	s_cbranch_execz .LBB6_5822
; %bb.5821:                             ;   in Loop: Header=BB6_5679 Depth=3
	v_and_b32_e32 v3, 7, v0
	v_lshrrev_b32_e32 v31, 3, v6
	v_cmp_gt_u32_e32 vcc, 8, v6
	v_ffbh_u32_e32 v6, v3
	v_min_u32_e32 v52, 32, v6
	v_subrev_u32_e32 v6, 28, v52
	v_lshlrev_b64 v[6:7], v6, v[0:1]
	v_sub_u32_e32 v7, 29, v52
	v_and_b32_e32 v6, 7, v6
	v_cndmask_b32_e32 v7, v31, v7, vcc
	v_cndmask_b32_e32 v3, v3, v6, vcc
	v_lshlrev_b32_e32 v6, 24, v0
	v_bfrev_b32_e32 v31, 60
	v_lshlrev_b32_e32 v3, 20, v3
	v_and_b32_e32 v6, 0x80000000, v6
	v_lshl_add_u32 v7, v7, 23, v31
	v_or3_b32 v3, v6, v7, v3
.LBB6_5822:                             ;   in Loop: Header=BB6_5679 Depth=3
	s_or_b64 exec, exec, s[48:49]
.LBB6_5823:                             ;   in Loop: Header=BB6_5679 Depth=3
	s_or_b64 exec, exec, s[38:39]
.LBB6_5824:                             ;   in Loop: Header=BB6_5679 Depth=3
	s_or_b64 exec, exec, s[40:41]
	v_max_f32_e32 v3, v3, v3
	v_max_f32_e32 v1, v1, v1
	;; [unrolled: 1-line block ×3, first 2 shown]
	s_mov_b64 s[40:41], 0
.LBB6_5825:                             ;   in Loop: Header=BB6_5679 Depth=3
	s_and_b64 vcc, exec, s[40:41]
	s_cbranch_vccz .LBB6_5839
; %bb.5826:                             ;   in Loop: Header=BB6_5679 Depth=3
	v_mov_b32_e32 v3, 0
	v_mov_b32_e32 v1, 0
	s_and_saveexec_b64 s[40:41], s[28:29]
	s_cbranch_execz .LBB6_5832
; %bb.5827:                             ;   in Loop: Header=BB6_5679 Depth=3
	v_cmp_ne_u32_e32 vcc, s82, v2
	v_bfrev_b32_e32 v1, 1
	s_and_saveexec_b64 s[28:29], vcc
	s_cbranch_execz .LBB6_5831
; %bb.5828:                             ;   in Loop: Header=BB6_5679 Depth=3
	v_bfe_u32 v6, v48, 24, 7
	v_cmp_ne_u32_e32 vcc, s83, v6
	v_mov_b32_e32 v1, 0x7f800001
	s_and_saveexec_b64 s[38:39], vcc
	s_cbranch_execz .LBB6_5830
; %bb.5829:                             ;   in Loop: Header=BB6_5679 Depth=3
	v_and_b32_e32 v1, 7, v2
	v_lshrrev_b32_e32 v31, 3, v6
	v_cmp_gt_u32_e32 vcc, 8, v6
	v_ffbh_u32_e32 v6, v1
	v_min_u32_e32 v52, 32, v6
	v_subrev_u32_e32 v6, 28, v52
	v_lshlrev_b64 v[6:7], v6, v[2:3]
	v_sub_u32_e32 v7, 29, v52
	v_and_b32_e32 v6, 7, v6
	v_cndmask_b32_e32 v7, v31, v7, vcc
	v_cndmask_b32_e32 v1, v1, v6, vcc
	v_lshlrev_b32_e32 v2, 24, v2
	v_bfrev_b32_e32 v6, 60
	v_lshlrev_b32_e32 v1, 20, v1
	v_and_b32_e32 v2, 0x80000000, v2
	v_lshl_add_u32 v6, v7, 23, v6
	v_or3_b32 v1, v2, v6, v1
.LBB6_5830:                             ;   in Loop: Header=BB6_5679 Depth=3
	s_or_b64 exec, exec, s[38:39]
.LBB6_5831:                             ;   in Loop: Header=BB6_5679 Depth=3
	s_or_b64 exec, exec, s[28:29]
.LBB6_5832:                             ;   in Loop: Header=BB6_5679 Depth=3
	s_or_b64 exec, exec, s[40:41]
	v_cmp_lt_u32_e32 vcc, s63, v36
	s_and_saveexec_b64 s[28:29], vcc
	s_cbranch_execz .LBB6_5838
; %bb.5833:                             ;   in Loop: Header=BB6_5679 Depth=3
	v_cmp_ne_u32_e32 vcc, s82, v0
	v_bfrev_b32_e32 v3, 1
	s_and_saveexec_b64 s[40:41], vcc
	s_cbranch_execz .LBB6_5837
; %bb.5834:                             ;   in Loop: Header=BB6_5679 Depth=3
	v_bfe_u32 v2, v36, 24, 7
	v_cmp_ne_u32_e32 vcc, s83, v2
	v_mov_b32_e32 v3, 0x7f800001
	s_and_saveexec_b64 s[38:39], vcc
	s_cbranch_execz .LBB6_5836
; %bb.5835:                             ;   in Loop: Header=BB6_5679 Depth=3
	v_and_b32_e32 v6, 7, v0
	v_lshrrev_b32_e32 v7, 3, v2
	v_cmp_gt_u32_e32 vcc, 8, v2
	v_ffbh_u32_e32 v2, v6
	v_min_u32_e32 v31, 32, v2
	v_subrev_u32_e32 v2, 28, v31
	v_lshlrev_b64 v[2:3], v2, v[0:1]
	v_sub_u32_e32 v3, 29, v31
	v_and_b32_e32 v2, 7, v2
	v_cndmask_b32_e32 v3, v7, v3, vcc
	v_cndmask_b32_e32 v2, v6, v2, vcc
	v_lshlrev_b32_e32 v0, 24, v0
	v_bfrev_b32_e32 v6, 60
	v_lshlrev_b32_e32 v2, 20, v2
	v_and_b32_e32 v0, 0x80000000, v0
	v_lshl_add_u32 v3, v3, 23, v6
	v_or3_b32 v3, v0, v3, v2
.LBB6_5836:                             ;   in Loop: Header=BB6_5679 Depth=3
	s_or_b64 exec, exec, s[38:39]
.LBB6_5837:                             ;   in Loop: Header=BB6_5679 Depth=3
	s_or_b64 exec, exec, s[40:41]
.LBB6_5838:                             ;   in Loop: Header=BB6_5679 Depth=3
	s_or_b64 exec, exec, s[28:29]
	v_max_f32_e32 v0, v3, v3
	v_max_f32_e32 v1, v1, v1
	v_min_f32_e32 v1, v1, v0
.LBB6_5839:                             ;   in Loop: Header=BB6_5679 Depth=3
	v_and_b32_e32 v52, 0x7f800000, v1
	v_cmp_ne_u64_e32 vcc, s[76:77], v[52:53]
                                        ; implicit-def: $vgpr59
	s_and_saveexec_b64 s[28:29], vcc
	s_xor_b64 s[40:41], exec, s[28:29]
	s_cbranch_execz .LBB6_5853
; %bb.5840:                             ;   in Loop: Header=BB6_5679 Depth=3
	v_and_b32_e32 v52, 0x7fffffff, v1
	v_cmp_gt_u64_e32 vcc, s[78:79], v[52:53]
	v_and_b32_sdwa v3, v1, s82 dst_sel:DWORD dst_unused:UNUSED_PAD src0_sel:BYTE_3 src1_sel:DWORD
                                        ; implicit-def: $vgpr59
	s_and_saveexec_b64 s[28:29], vcc
	s_xor_b64 s[38:39], exec, s[28:29]
	s_cbranch_execz .LBB6_5850
; %bb.5841:                             ;   in Loop: Header=BB6_5679 Depth=3
	v_mov_b32_e32 v59, 0
	v_cmp_ne_u32_e32 vcc, 0, v1
	s_and_saveexec_b64 s[48:49], vcc
	s_cbranch_execz .LBB6_5849
; %bb.5842:                             ;   in Loop: Header=BB6_5679 Depth=3
	v_bfe_u32 v6, v1, 23, 8
	v_and_b32_e32 v0, 0x7fffff, v1
	v_cmp_gt_u32_e64 s[28:29], s85, v6
	v_sub_u32_e32 v1, 0x79, v6
	v_cmp_eq_u32_e32 vcc, 0, v6
	v_cndmask_b32_e64 v1, 0, v1, s[28:29]
	v_mov_b32_e32 v7, 0x78
	v_or_b32_e32 v2, 0x800000, v0
	v_cndmask_b32_e32 v7, v1, v7, vcc
	v_cndmask_b32_e32 v52, v2, v0, vcc
	v_add_u32_e32 v0, 20, v7
	v_lshlrev_b64 v[0:1], v0, -1
	v_add_u32_e32 v2, 19, v7
	v_lshlrev_b64 v[54:55], v2, 1
	v_bfi_b32 v1, v1, 0, 0
	v_bfi_b32 v0, v0, 0, v52
	v_cmp_eq_u64_e64 s[28:29], v[0:1], v[54:55]
	v_lshrrev_b64 v[0:1], v7, v[52:53]
	v_mov_b32_e32 v2, v1
	v_mov_b32_e32 v1, v0
	s_and_saveexec_b64 s[50:51], s[28:29]
; %bb.5843:                             ;   in Loop: Header=BB6_5679 Depth=3
	v_bfe_u32 v1, v0, 20, 1
	v_add_co_u32_e64 v1, s[28:29], v0, v1
	v_add_co_u32_e64 v1, s[28:29], -1, v1
; %bb.5844:                             ;   in Loop: Header=BB6_5679 Depth=3
	s_or_b64 exec, exec, s[50:51]
	v_add_u32_e32 v2, 0xffffff81, v6
	v_mov_b32_e32 v6, 0xffffff82
	v_cndmask_b32_e32 v2, v2, v6, vcc
	v_lshrrev_b32_e32 v6, 23, v0
	v_add3_u32 v7, v7, v2, v6
	v_add_u32_e32 v6, 6, v7
	v_and_b32_e32 v1, 0xfffff, v1
	v_add_u32_e32 v52, v1, v0
	v_cmp_ne_u32_e32 vcc, 0, v6
                                        ; implicit-def: $vgpr0_vgpr1
                                        ; implicit-def: $vgpr2
	s_and_saveexec_b64 s[28:29], vcc
	s_xor_b64 s[28:29], exec, s[28:29]
; %bb.5845:                             ;   in Loop: Header=BB6_5679 Depth=3
	v_cmp_lt_u64_e32 vcc, s[88:89], v[52:53]
	v_add_u32_e32 v0, 7, v7
	v_cndmask_b32_e32 v2, v6, v0, vcc
	v_cndmask_b32_e64 v0, 0, 1, vcc
	v_lshrrev_b64 v[0:1], v0, v[52:53]
; %bb.5846:                             ;   in Loop: Header=BB6_5679 Depth=3
	s_andn2_saveexec_b64 s[28:29], s[28:29]
; %bb.5847:                             ;   in Loop: Header=BB6_5679 Depth=3
	v_mov_b32_e32 v0, v52
	v_bfe_u32 v2, v52, 23, 1
	v_mov_b32_e32 v1, v53
; %bb.5848:                             ;   in Loop: Header=BB6_5679 Depth=3
	s_or_b64 exec, exec, s[28:29]
	v_lshrrev_b64 v[0:1], 20, v[0:1]
	v_cmp_gt_i32_e32 vcc, 16, v2
	v_cndmask_b32_e32 v1, 0, v1, vcc
	v_cndmask_b32_e32 v0, 7, v0, vcc
	v_cmp_eq_u64_e64 s[28:29], 0, v[0:1]
	v_min_i32_e32 v1, 15, v2
	v_lshlrev_b32_e32 v1, 3, v1
	v_cmp_eq_u32_e32 vcc, 0, v2
	v_and_b32_e32 v1, 0xf8, v1
	v_and_or_b32 v0, v0, 7, v1
	s_and_b64 s[28:29], vcc, s[28:29]
	v_cndmask_b32_e64 v0, v0, 0, s[28:29]
	v_or_b32_e32 v59, v0, v3
.LBB6_5849:                             ;   in Loop: Header=BB6_5679 Depth=3
	s_or_b64 exec, exec, s[48:49]
                                        ; implicit-def: $vgpr3
.LBB6_5850:                             ;   in Loop: Header=BB6_5679 Depth=3
	s_andn2_saveexec_b64 s[28:29], s[38:39]
; %bb.5851:                             ;   in Loop: Header=BB6_5679 Depth=3
	v_or_b32_e32 v59, 0x7e, v3
; %bb.5852:                             ;   in Loop: Header=BB6_5679 Depth=3
	s_or_b64 exec, exec, s[28:29]
                                        ; implicit-def: $vgpr1
.LBB6_5853:                             ;   in Loop: Header=BB6_5679 Depth=3
	s_andn2_saveexec_b64 s[28:29], s[40:41]
; %bb.5854:                             ;   in Loop: Header=BB6_5679 Depth=3
	v_or_b32_sdwa v59, v1, s83 dst_sel:DWORD dst_unused:UNUSED_PAD src0_sel:BYTE_3 src1_sel:DWORD
; %bb.5855:                             ;   in Loop: Header=BB6_5679 Depth=3
	s_or_b64 exec, exec, s[28:29]
	v_mov_b32_e32 v52, v49
	v_mov_b32_e32 v2, v37
	;; [unrolled: 1-line block ×3, first 2 shown]
	v_cmp_ne_u16_sdwa s[28:29], v49, v53 src0_sel:BYTE_0 src1_sel:DWORD
	s_mov_b64 s[40:41], -1
	s_and_b64 vcc, exec, s[46:47]
                                        ; implicit-def: $vgpr0
	s_cbranch_vccz .LBB6_5869
; %bb.5856:                             ;   in Loop: Header=BB6_5679 Depth=3
	v_mov_b32_e32 v1, 0
	v_mov_b32_e32 v0, 0
	s_and_saveexec_b64 s[40:41], s[28:29]
	s_cbranch_execz .LBB6_5862
; %bb.5857:                             ;   in Loop: Header=BB6_5679 Depth=3
	v_cmp_ne_u16_sdwa vcc, v49, s82 src0_sel:BYTE_0 src1_sel:DWORD
	v_bfrev_b32_e32 v0, 1
	s_and_saveexec_b64 s[38:39], vcc
	s_cbranch_execz .LBB6_5861
; %bb.5858:                             ;   in Loop: Header=BB6_5679 Depth=3
	v_and_b32_e32 v6, 0x7f, v49
	v_cmp_ne_u32_e32 vcc, s83, v6
	v_mov_b32_e32 v0, 0x7f800001
	s_and_saveexec_b64 s[48:49], vcc
	s_cbranch_execz .LBB6_5860
; %bb.5859:                             ;   in Loop: Header=BB6_5679 Depth=3
	v_and_b32_e32 v0, 7, v49
	v_ffbh_u32_e32 v0, v0
	v_min_u32_e32 v0, 32, v0
	v_lshrrev_b32_e32 v7, 3, v6
	v_cmp_gt_u32_e32 vcc, 8, v6
	v_subrev_u32_e32 v6, 28, v0
	v_sub_u32_e32 v0, 29, v0
	v_cndmask_b32_e32 v6, 0, v6, vcc
	v_cndmask_b32_e32 v0, v7, v0, vcc
	v_lshlrev_b64 v[6:7], v6, v[52:53]
	v_lshlrev_b32_e32 v7, 24, v52
	v_lshlrev_b32_e32 v6, 20, v6
	v_bfrev_b32_e32 v31, 60
	v_and_b32_e32 v6, 0x700000, v6
	v_and_b32_e32 v7, 0x80000000, v7
	v_lshl_add_u32 v0, v0, 23, v31
	v_or3_b32 v0, v7, v0, v6
.LBB6_5860:                             ;   in Loop: Header=BB6_5679 Depth=3
	s_or_b64 exec, exec, s[48:49]
.LBB6_5861:                             ;   in Loop: Header=BB6_5679 Depth=3
	s_or_b64 exec, exec, s[38:39]
.LBB6_5862:                             ;   in Loop: Header=BB6_5679 Depth=3
	s_or_b64 exec, exec, s[40:41]
	v_cmp_ne_u16_sdwa vcc, v37, v53 src0_sel:BYTE_0 src1_sel:DWORD
	s_and_saveexec_b64 s[40:41], vcc
	s_cbranch_execz .LBB6_5868
; %bb.5863:                             ;   in Loop: Header=BB6_5679 Depth=3
	v_cmp_ne_u16_sdwa vcc, v37, s82 src0_sel:BYTE_0 src1_sel:DWORD
	v_bfrev_b32_e32 v1, 1
	s_and_saveexec_b64 s[38:39], vcc
	s_cbranch_execz .LBB6_5867
; %bb.5864:                             ;   in Loop: Header=BB6_5679 Depth=3
	v_and_b32_e32 v6, 0x7f, v37
	v_cmp_ne_u32_e32 vcc, s83, v6
	v_mov_b32_e32 v1, 0x7f800001
	s_and_saveexec_b64 s[48:49], vcc
	s_cbranch_execz .LBB6_5866
; %bb.5865:                             ;   in Loop: Header=BB6_5679 Depth=3
	v_and_b32_e32 v1, 7, v37
	v_ffbh_u32_e32 v1, v1
	v_min_u32_e32 v1, 32, v1
	v_lshrrev_b32_e32 v7, 3, v6
	v_cmp_gt_u32_e32 vcc, 8, v6
	v_subrev_u32_e32 v6, 28, v1
	v_sub_u32_e32 v1, 29, v1
	v_cndmask_b32_e32 v6, 0, v6, vcc
	v_cndmask_b32_e32 v1, v7, v1, vcc
	v_lshlrev_b64 v[6:7], v6, v[2:3]
	v_lshlrev_b32_e32 v7, 24, v2
	v_lshlrev_b32_e32 v6, 20, v6
	v_bfrev_b32_e32 v31, 60
	v_and_b32_e32 v6, 0x700000, v6
	v_and_b32_e32 v7, 0x80000000, v7
	v_lshl_add_u32 v1, v1, 23, v31
	v_or3_b32 v1, v7, v1, v6
.LBB6_5866:                             ;   in Loop: Header=BB6_5679 Depth=3
	s_or_b64 exec, exec, s[48:49]
.LBB6_5867:                             ;   in Loop: Header=BB6_5679 Depth=3
	s_or_b64 exec, exec, s[38:39]
.LBB6_5868:                             ;   in Loop: Header=BB6_5679 Depth=3
	s_or_b64 exec, exec, s[40:41]
	v_max_f32_e32 v1, v1, v1
	v_max_f32_e32 v0, v0, v0
	;; [unrolled: 1-line block ×3, first 2 shown]
	s_mov_b64 s[40:41], 0
.LBB6_5869:                             ;   in Loop: Header=BB6_5679 Depth=3
	s_and_b64 vcc, exec, s[40:41]
	s_cbranch_vccz .LBB6_5883
; %bb.5870:                             ;   in Loop: Header=BB6_5679 Depth=3
	v_mov_b32_e32 v1, 0
	v_mov_b32_e32 v0, 0
	s_and_saveexec_b64 s[40:41], s[28:29]
	s_cbranch_execz .LBB6_5876
; %bb.5871:                             ;   in Loop: Header=BB6_5679 Depth=3
	v_cmp_ne_u16_sdwa vcc, v49, s82 src0_sel:BYTE_0 src1_sel:DWORD
	v_bfrev_b32_e32 v0, 1
	s_and_saveexec_b64 s[28:29], vcc
	s_cbranch_execz .LBB6_5875
; %bb.5872:                             ;   in Loop: Header=BB6_5679 Depth=3
	v_and_b32_e32 v6, 0x7f, v49
	v_cmp_ne_u32_e32 vcc, s83, v6
	v_mov_b32_e32 v0, 0x7f800001
	s_and_saveexec_b64 s[38:39], vcc
	s_cbranch_execz .LBB6_5874
; %bb.5873:                             ;   in Loop: Header=BB6_5679 Depth=3
	v_and_b32_e32 v0, 7, v49
	v_ffbh_u32_e32 v0, v0
	v_min_u32_e32 v0, 32, v0
	v_lshrrev_b32_e32 v7, 3, v6
	v_cmp_gt_u32_e32 vcc, 8, v6
	v_subrev_u32_e32 v6, 28, v0
	v_sub_u32_e32 v0, 29, v0
	v_cndmask_b32_e32 v6, 0, v6, vcc
	v_cndmask_b32_e32 v0, v7, v0, vcc
	v_lshlrev_b64 v[6:7], v6, v[52:53]
	v_lshlrev_b32_e32 v7, 24, v52
	v_lshlrev_b32_e32 v6, 20, v6
	v_bfrev_b32_e32 v31, 60
	v_and_b32_e32 v6, 0x700000, v6
	v_and_b32_e32 v7, 0x80000000, v7
	v_lshl_add_u32 v0, v0, 23, v31
	v_or3_b32 v0, v7, v0, v6
.LBB6_5874:                             ;   in Loop: Header=BB6_5679 Depth=3
	s_or_b64 exec, exec, s[38:39]
.LBB6_5875:                             ;   in Loop: Header=BB6_5679 Depth=3
	s_or_b64 exec, exec, s[28:29]
.LBB6_5876:                             ;   in Loop: Header=BB6_5679 Depth=3
	s_or_b64 exec, exec, s[40:41]
	v_cmp_ne_u16_sdwa s[40:41], v37, v53 src0_sel:BYTE_0 src1_sel:DWORD
	s_and_saveexec_b64 s[28:29], s[40:41]
	s_cbranch_execz .LBB6_5882
; %bb.5877:                             ;   in Loop: Header=BB6_5679 Depth=3
	v_cmp_ne_u16_sdwa vcc, v37, s82 src0_sel:BYTE_0 src1_sel:DWORD
	v_bfrev_b32_e32 v1, 1
	s_and_saveexec_b64 s[40:41], vcc
	s_cbranch_execz .LBB6_5881
; %bb.5878:                             ;   in Loop: Header=BB6_5679 Depth=3
	v_and_b32_e32 v6, 0x7f, v37
	v_cmp_ne_u32_e32 vcc, s83, v6
	v_mov_b32_e32 v1, 0x7f800001
	s_and_saveexec_b64 s[38:39], vcc
	s_cbranch_execz .LBB6_5880
; %bb.5879:                             ;   in Loop: Header=BB6_5679 Depth=3
	v_and_b32_e32 v1, 7, v37
	v_ffbh_u32_e32 v1, v1
	v_min_u32_e32 v1, 32, v1
	v_lshrrev_b32_e32 v7, 3, v6
	v_cmp_gt_u32_e32 vcc, 8, v6
	v_subrev_u32_e32 v6, 28, v1
	v_sub_u32_e32 v1, 29, v1
	v_cndmask_b32_e32 v6, 0, v6, vcc
	v_cndmask_b32_e32 v1, v7, v1, vcc
	v_lshlrev_b64 v[6:7], v6, v[2:3]
	v_bfrev_b32_e32 v7, 60
	v_lshlrev_b32_e32 v3, 20, v6
	v_lshlrev_b32_e32 v6, 24, v2
	v_and_b32_e32 v3, 0x700000, v3
	v_and_b32_e32 v6, 0x80000000, v6
	v_lshl_add_u32 v1, v1, 23, v7
	v_or3_b32 v1, v6, v1, v3
.LBB6_5880:                             ;   in Loop: Header=BB6_5679 Depth=3
	s_or_b64 exec, exec, s[38:39]
.LBB6_5881:                             ;   in Loop: Header=BB6_5679 Depth=3
	s_or_b64 exec, exec, s[40:41]
.LBB6_5882:                             ;   in Loop: Header=BB6_5679 Depth=3
	s_or_b64 exec, exec, s[28:29]
	v_max_f32_e32 v1, v1, v1
	v_max_f32_e32 v0, v0, v0
	v_min_f32_e32 v0, v0, v1
.LBB6_5883:                             ;   in Loop: Header=BB6_5679 Depth=3
	v_and_b32_e32 v6, 0x7f800000, v0
	v_mov_b32_e32 v7, v53
	v_cmp_ne_u64_e32 vcc, s[76:77], v[6:7]
                                        ; implicit-def: $vgpr40
	s_and_saveexec_b64 s[28:29], vcc
	s_xor_b64 s[40:41], exec, s[28:29]
	s_cbranch_execz .LBB6_5897
; %bb.5884:                             ;   in Loop: Header=BB6_5679 Depth=3
	v_and_b32_e32 v6, 0x7fffffff, v0
	v_mov_b32_e32 v7, v53
	v_cmp_gt_u64_e32 vcc, s[78:79], v[6:7]
	v_and_b32_sdwa v3, v0, s82 dst_sel:DWORD dst_unused:UNUSED_PAD src0_sel:BYTE_3 src1_sel:DWORD
                                        ; implicit-def: $vgpr40
	s_and_saveexec_b64 s[28:29], vcc
	s_xor_b64 s[38:39], exec, s[28:29]
	s_cbranch_execz .LBB6_5894
; %bb.5885:                             ;   in Loop: Header=BB6_5679 Depth=3
	v_mov_b32_e32 v40, 0
	v_cmp_ne_u32_e32 vcc, 0, v0
	s_and_saveexec_b64 s[48:49], vcc
	s_cbranch_execz .LBB6_5893
; %bb.5886:                             ;   in Loop: Header=BB6_5679 Depth=3
	v_bfe_u32 v31, v0, 23, 8
	v_and_b32_e32 v1, 0x7fffff, v0
	v_cmp_gt_u32_e64 s[28:29], s85, v31
	v_sub_u32_e32 v0, 0x79, v31
	v_cmp_eq_u32_e32 vcc, 0, v31
	v_cndmask_b32_e64 v0, 0, v0, s[28:29]
	v_mov_b32_e32 v7, 0x78
	v_or_b32_e32 v6, 0x800000, v1
	v_cndmask_b32_e32 v54, v0, v7, vcc
	v_cndmask_b32_e32 v0, v6, v1, vcc
	v_add_u32_e32 v6, 20, v54
	v_lshlrev_b64 v[6:7], v6, -1
	v_mov_b32_e32 v1, v53
	v_add_u32_e32 v55, 19, v54
	v_bfi_b32 v6, v6, 0, v0
	v_lshlrev_b64 v[40:41], v55, 1
	v_lshrrev_b64 v[0:1], v54, v[0:1]
	v_bfi_b32 v7, v7, 0, 0
	v_cmp_eq_u64_e64 s[28:29], v[6:7], v[40:41]
	v_mov_b32_e32 v7, v1
	v_mov_b32_e32 v6, v0
	s_and_saveexec_b64 s[50:51], s[28:29]
; %bb.5887:                             ;   in Loop: Header=BB6_5679 Depth=3
	v_bfe_u32 v1, v0, 20, 1
	v_add_co_u32_e64 v1, s[28:29], v0, v1
	v_add_co_u32_e64 v6, s[28:29], -1, v1
; %bb.5888:                             ;   in Loop: Header=BB6_5679 Depth=3
	s_or_b64 exec, exec, s[50:51]
	v_add_u32_e32 v1, 0xffffff81, v31
	v_mov_b32_e32 v7, 0xffffff82
	v_cndmask_b32_e32 v1, v1, v7, vcc
	v_lshrrev_b32_e32 v7, 23, v0
	v_add3_u32 v31, v54, v1, v7
	v_add_u32_e32 v7, 6, v31
	v_and_b32_e32 v1, 0xfffff, v6
	v_add_u32_e32 v0, v1, v0
	v_mov_b32_e32 v1, v53
	v_cmp_ne_u32_e32 vcc, 0, v7
                                        ; implicit-def: $vgpr6
	s_and_saveexec_b64 s[28:29], vcc
	s_xor_b64 s[28:29], exec, s[28:29]
; %bb.5889:                             ;   in Loop: Header=BB6_5679 Depth=3
	v_cmp_lt_u64_e32 vcc, s[88:89], v[0:1]
	v_add_u32_e32 v6, 7, v31
	v_cndmask_b32_e32 v6, v7, v6, vcc
	v_cndmask_b32_e64 v7, 0, 1, vcc
	v_lshrrev_b64 v[0:1], v7, v[0:1]
; %bb.5890:                             ;   in Loop: Header=BB6_5679 Depth=3
	s_andn2_saveexec_b64 s[28:29], s[28:29]
; %bb.5891:                             ;   in Loop: Header=BB6_5679 Depth=3
	v_bfe_u32 v6, v0, 23, 1
; %bb.5892:                             ;   in Loop: Header=BB6_5679 Depth=3
	s_or_b64 exec, exec, s[28:29]
	v_lshrrev_b64 v[0:1], 20, v[0:1]
	v_cmp_gt_i32_e32 vcc, 16, v6
	v_cndmask_b32_e32 v1, 0, v1, vcc
	v_cndmask_b32_e32 v0, 7, v0, vcc
	v_cmp_eq_u64_e64 s[28:29], 0, v[0:1]
	v_min_i32_e32 v1, 15, v6
	v_lshlrev_b32_e32 v1, 3, v1
	v_cmp_eq_u32_e32 vcc, 0, v6
	v_and_b32_e32 v1, 0xf8, v1
	v_and_or_b32 v0, v0, 7, v1
	s_and_b64 s[28:29], vcc, s[28:29]
	v_cndmask_b32_e64 v0, v0, 0, s[28:29]
	v_or_b32_e32 v40, v0, v3
.LBB6_5893:                             ;   in Loop: Header=BB6_5679 Depth=3
	s_or_b64 exec, exec, s[48:49]
                                        ; implicit-def: $vgpr3
.LBB6_5894:                             ;   in Loop: Header=BB6_5679 Depth=3
	s_andn2_saveexec_b64 s[28:29], s[38:39]
; %bb.5895:                             ;   in Loop: Header=BB6_5679 Depth=3
	v_or_b32_e32 v40, 0x7e, v3
; %bb.5896:                             ;   in Loop: Header=BB6_5679 Depth=3
	s_or_b64 exec, exec, s[28:29]
                                        ; implicit-def: $vgpr0
.LBB6_5897:                             ;   in Loop: Header=BB6_5679 Depth=3
	s_andn2_saveexec_b64 s[28:29], s[40:41]
; %bb.5898:                             ;   in Loop: Header=BB6_5679 Depth=3
	v_or_b32_sdwa v40, v0, s83 dst_sel:DWORD dst_unused:UNUSED_PAD src0_sel:BYTE_3 src1_sel:DWORD
; %bb.5899:                             ;   in Loop: Header=BB6_5679 Depth=3
	s_or_b64 exec, exec, s[28:29]
	v_lshrrev_b16_e32 v31, 8, v52
	v_lshrrev_b16_e32 v3, 8, v2
	v_cmp_ne_u16_e64 s[28:29], 0, v31
	s_mov_b64 s[40:41], -1
	s_and_b64 vcc, exec, s[46:47]
                                        ; implicit-def: $vgpr0
	s_cbranch_vccz .LBB6_5913
; %bb.5900:                             ;   in Loop: Header=BB6_5679 Depth=3
	v_mov_b32_e32 v1, 0
	v_mov_b32_e32 v0, 0
	s_and_saveexec_b64 s[40:41], s[28:29]
	s_cbranch_execz .LBB6_5906
; %bb.5901:                             ;   in Loop: Header=BB6_5679 Depth=3
	v_cmp_ne_u16_e32 vcc, s82, v31
	v_bfrev_b32_e32 v0, 1
	s_and_saveexec_b64 s[38:39], vcc
	s_cbranch_execz .LBB6_5905
; %bb.5902:                             ;   in Loop: Header=BB6_5679 Depth=3
	v_and_b32_e32 v6, 0x7f, v31
	v_cmp_ne_u32_e32 vcc, s83, v6
	v_mov_b32_e32 v0, 0x7f800001
	s_and_saveexec_b64 s[48:49], vcc
	s_cbranch_execz .LBB6_5904
; %bb.5903:                             ;   in Loop: Header=BB6_5679 Depth=3
	v_and_b32_e32 v0, 7, v31
	v_lshrrev_b32_e32 v54, 3, v6
	v_cmp_gt_u32_e32 vcc, 8, v6
	v_ffbh_u32_e32 v6, v0
	v_min_u32_e32 v55, 32, v6
	v_subrev_u32_e32 v6, 28, v55
	v_lshlrev_b64 v[6:7], v6, v[31:32]
	v_sub_u32_e32 v7, 29, v55
	v_and_b32_e32 v6, 7, v6
	v_cndmask_b32_e32 v7, v54, v7, vcc
	v_cndmask_b32_e32 v0, v0, v6, vcc
	v_lshlrev_b32_e32 v6, 16, v52
	v_bfrev_b32_e32 v54, 60
	v_lshlrev_b32_e32 v0, 20, v0
	v_and_b32_e32 v6, 0x80000000, v6
	v_lshl_add_u32 v7, v7, 23, v54
	v_or3_b32 v0, v6, v7, v0
.LBB6_5904:                             ;   in Loop: Header=BB6_5679 Depth=3
	s_or_b64 exec, exec, s[48:49]
.LBB6_5905:                             ;   in Loop: Header=BB6_5679 Depth=3
	s_or_b64 exec, exec, s[38:39]
.LBB6_5906:                             ;   in Loop: Header=BB6_5679 Depth=3
	s_or_b64 exec, exec, s[40:41]
	v_cmp_ne_u16_e32 vcc, 0, v3
	s_and_saveexec_b64 s[40:41], vcc
	s_cbranch_execz .LBB6_5912
; %bb.5907:                             ;   in Loop: Header=BB6_5679 Depth=3
	v_cmp_ne_u16_e32 vcc, s82, v3
	v_bfrev_b32_e32 v1, 1
	s_and_saveexec_b64 s[38:39], vcc
	s_cbranch_execz .LBB6_5911
; %bb.5908:                             ;   in Loop: Header=BB6_5679 Depth=3
	v_and_b32_e32 v6, 0x7f, v3
	v_cmp_ne_u32_e32 vcc, s83, v6
	v_mov_b32_e32 v1, 0x7f800001
	s_and_saveexec_b64 s[48:49], vcc
	s_cbranch_execz .LBB6_5910
; %bb.5909:                             ;   in Loop: Header=BB6_5679 Depth=3
	v_and_b32_e32 v1, 7, v3
	v_lshrrev_b32_e32 v54, 3, v6
	v_cmp_gt_u32_e32 vcc, 8, v6
	v_ffbh_u32_e32 v6, v1
	v_min_u32_e32 v55, 32, v6
	v_subrev_u32_e32 v6, 28, v55
	v_lshlrev_b64 v[6:7], v6, v[3:4]
	v_sub_u32_e32 v7, 29, v55
	v_and_b32_e32 v6, 7, v6
	v_cndmask_b32_e32 v7, v54, v7, vcc
	v_cndmask_b32_e32 v1, v1, v6, vcc
	v_lshlrev_b32_e32 v6, 16, v2
	v_bfrev_b32_e32 v54, 60
	v_lshlrev_b32_e32 v1, 20, v1
	v_and_b32_e32 v6, 0x80000000, v6
	v_lshl_add_u32 v7, v7, 23, v54
	v_or3_b32 v1, v6, v7, v1
.LBB6_5910:                             ;   in Loop: Header=BB6_5679 Depth=3
	s_or_b64 exec, exec, s[48:49]
.LBB6_5911:                             ;   in Loop: Header=BB6_5679 Depth=3
	s_or_b64 exec, exec, s[38:39]
.LBB6_5912:                             ;   in Loop: Header=BB6_5679 Depth=3
	s_or_b64 exec, exec, s[40:41]
	v_max_f32_e32 v1, v1, v1
	v_max_f32_e32 v0, v0, v0
	;; [unrolled: 1-line block ×3, first 2 shown]
	s_mov_b64 s[40:41], 0
.LBB6_5913:                             ;   in Loop: Header=BB6_5679 Depth=3
	s_and_b64 vcc, exec, s[40:41]
	s_cbranch_vccz .LBB6_5927
; %bb.5914:                             ;   in Loop: Header=BB6_5679 Depth=3
	v_mov_b32_e32 v1, 0
	v_mov_b32_e32 v0, 0
	s_and_saveexec_b64 s[40:41], s[28:29]
	s_cbranch_execz .LBB6_5920
; %bb.5915:                             ;   in Loop: Header=BB6_5679 Depth=3
	v_cmp_ne_u16_e32 vcc, s82, v31
	v_bfrev_b32_e32 v0, 1
	s_and_saveexec_b64 s[28:29], vcc
	s_cbranch_execz .LBB6_5919
; %bb.5916:                             ;   in Loop: Header=BB6_5679 Depth=3
	v_and_b32_e32 v6, 0x7f, v31
	v_cmp_ne_u32_e32 vcc, s83, v6
	v_mov_b32_e32 v0, 0x7f800001
	s_and_saveexec_b64 s[38:39], vcc
	s_cbranch_execz .LBB6_5918
; %bb.5917:                             ;   in Loop: Header=BB6_5679 Depth=3
	v_and_b32_e32 v0, 7, v31
	v_lshrrev_b32_e32 v54, 3, v6
	v_cmp_gt_u32_e32 vcc, 8, v6
	v_ffbh_u32_e32 v6, v0
	v_min_u32_e32 v55, 32, v6
	v_subrev_u32_e32 v6, 28, v55
	v_lshlrev_b64 v[6:7], v6, v[31:32]
	v_sub_u32_e32 v7, 29, v55
	v_and_b32_e32 v6, 7, v6
	v_cndmask_b32_e32 v7, v54, v7, vcc
	v_cndmask_b32_e32 v0, v0, v6, vcc
	v_lshlrev_b32_e32 v6, 16, v52
	v_bfrev_b32_e32 v31, 60
	v_lshlrev_b32_e32 v0, 20, v0
	v_and_b32_e32 v6, 0x80000000, v6
	v_lshl_add_u32 v7, v7, 23, v31
	v_or3_b32 v0, v6, v7, v0
.LBB6_5918:                             ;   in Loop: Header=BB6_5679 Depth=3
	s_or_b64 exec, exec, s[38:39]
.LBB6_5919:                             ;   in Loop: Header=BB6_5679 Depth=3
	s_or_b64 exec, exec, s[28:29]
.LBB6_5920:                             ;   in Loop: Header=BB6_5679 Depth=3
	s_or_b64 exec, exec, s[40:41]
	v_cmp_ne_u16_e32 vcc, 0, v3
	s_and_saveexec_b64 s[28:29], vcc
	s_cbranch_execz .LBB6_5926
; %bb.5921:                             ;   in Loop: Header=BB6_5679 Depth=3
	v_cmp_ne_u16_e32 vcc, s82, v3
	v_bfrev_b32_e32 v1, 1
	s_and_saveexec_b64 s[40:41], vcc
	s_cbranch_execz .LBB6_5925
; %bb.5922:                             ;   in Loop: Header=BB6_5679 Depth=3
	v_and_b32_e32 v6, 0x7f, v3
	v_cmp_ne_u32_e32 vcc, s83, v6
	v_mov_b32_e32 v1, 0x7f800001
	s_and_saveexec_b64 s[38:39], vcc
	s_cbranch_execz .LBB6_5924
; %bb.5923:                             ;   in Loop: Header=BB6_5679 Depth=3
	v_and_b32_e32 v1, 7, v3
	v_lshrrev_b32_e32 v31, 3, v6
	v_cmp_gt_u32_e32 vcc, 8, v6
	v_ffbh_u32_e32 v6, v1
	v_min_u32_e32 v52, 32, v6
	v_subrev_u32_e32 v6, 28, v52
	v_lshlrev_b64 v[6:7], v6, v[3:4]
	v_sub_u32_e32 v3, 29, v52
	v_and_b32_e32 v6, 7, v6
	v_cndmask_b32_e32 v3, v31, v3, vcc
	v_cndmask_b32_e32 v1, v1, v6, vcc
	v_lshlrev_b32_e32 v2, 16, v2
	v_bfrev_b32_e32 v6, 60
	v_lshlrev_b32_e32 v1, 20, v1
	v_and_b32_e32 v2, 0x80000000, v2
	v_lshl_add_u32 v3, v3, 23, v6
	v_or3_b32 v1, v2, v3, v1
.LBB6_5924:                             ;   in Loop: Header=BB6_5679 Depth=3
	s_or_b64 exec, exec, s[38:39]
.LBB6_5925:                             ;   in Loop: Header=BB6_5679 Depth=3
	s_or_b64 exec, exec, s[40:41]
.LBB6_5926:                             ;   in Loop: Header=BB6_5679 Depth=3
	s_or_b64 exec, exec, s[28:29]
	v_max_f32_e32 v1, v1, v1
	v_max_f32_e32 v0, v0, v0
	v_min_f32_e32 v0, v0, v1
.LBB6_5927:                             ;   in Loop: Header=BB6_5679 Depth=3
	v_and_b32_e32 v52, 0x7f800000, v0
	v_cmp_ne_u64_e32 vcc, s[76:77], v[52:53]
                                        ; implicit-def: $vgpr41
	s_and_saveexec_b64 s[28:29], vcc
	s_xor_b64 s[40:41], exec, s[28:29]
	s_cbranch_execz .LBB6_5941
; %bb.5928:                             ;   in Loop: Header=BB6_5679 Depth=3
	v_and_b32_e32 v52, 0x7fffffff, v0
	v_cmp_gt_u64_e32 vcc, s[78:79], v[52:53]
	v_and_b32_sdwa v3, v0, s82 dst_sel:DWORD dst_unused:UNUSED_PAD src0_sel:BYTE_3 src1_sel:DWORD
                                        ; implicit-def: $vgpr41
	s_and_saveexec_b64 s[28:29], vcc
	s_xor_b64 s[38:39], exec, s[28:29]
	s_cbranch_execz .LBB6_5938
; %bb.5929:                             ;   in Loop: Header=BB6_5679 Depth=3
	v_mov_b32_e32 v41, 0
	v_cmp_ne_u32_e32 vcc, 0, v0
	s_and_saveexec_b64 s[48:49], vcc
	s_cbranch_execz .LBB6_5937
; %bb.5930:                             ;   in Loop: Header=BB6_5679 Depth=3
	v_bfe_u32 v6, v0, 23, 8
	v_and_b32_e32 v1, 0x7fffff, v0
	v_cmp_gt_u32_e64 s[28:29], s85, v6
	v_sub_u32_e32 v0, 0x79, v6
	v_cmp_eq_u32_e32 vcc, 0, v6
	v_cndmask_b32_e64 v0, 0, v0, s[28:29]
	v_mov_b32_e32 v7, 0x78
	v_cndmask_b32_e32 v7, v0, v7, vcc
	v_or_b32_e32 v2, 0x800000, v1
	v_add_u32_e32 v0, 20, v7
	v_cndmask_b32_e32 v52, v2, v1, vcc
	v_lshlrev_b64 v[0:1], v0, -1
	v_add_u32_e32 v2, 19, v7
	v_lshlrev_b64 v[54:55], v2, 1
	v_bfi_b32 v1, v1, 0, 0
	v_bfi_b32 v0, v0, 0, v52
	v_cmp_eq_u64_e64 s[28:29], v[0:1], v[54:55]
	v_lshrrev_b64 v[0:1], v7, v[52:53]
	v_mov_b32_e32 v2, v1
	v_mov_b32_e32 v1, v0
	s_and_saveexec_b64 s[50:51], s[28:29]
; %bb.5931:                             ;   in Loop: Header=BB6_5679 Depth=3
	v_bfe_u32 v1, v0, 20, 1
	v_add_co_u32_e64 v1, s[28:29], v0, v1
	v_add_co_u32_e64 v1, s[28:29], -1, v1
; %bb.5932:                             ;   in Loop: Header=BB6_5679 Depth=3
	s_or_b64 exec, exec, s[50:51]
	v_add_u32_e32 v2, 0xffffff81, v6
	v_mov_b32_e32 v6, 0xffffff82
	v_cndmask_b32_e32 v2, v2, v6, vcc
	v_lshrrev_b32_e32 v6, 23, v0
	v_add3_u32 v7, v7, v2, v6
	v_add_u32_e32 v6, 6, v7
	v_and_b32_e32 v1, 0xfffff, v1
	v_add_u32_e32 v52, v1, v0
	v_cmp_ne_u32_e32 vcc, 0, v6
                                        ; implicit-def: $vgpr0_vgpr1
                                        ; implicit-def: $vgpr2
	s_and_saveexec_b64 s[28:29], vcc
	s_xor_b64 s[28:29], exec, s[28:29]
; %bb.5933:                             ;   in Loop: Header=BB6_5679 Depth=3
	v_cmp_lt_u64_e32 vcc, s[88:89], v[52:53]
	v_add_u32_e32 v0, 7, v7
	v_cndmask_b32_e32 v2, v6, v0, vcc
	v_cndmask_b32_e64 v0, 0, 1, vcc
	v_lshrrev_b64 v[0:1], v0, v[52:53]
; %bb.5934:                             ;   in Loop: Header=BB6_5679 Depth=3
	s_andn2_saveexec_b64 s[28:29], s[28:29]
; %bb.5935:                             ;   in Loop: Header=BB6_5679 Depth=3
	v_mov_b32_e32 v0, v52
	v_bfe_u32 v2, v52, 23, 1
	v_mov_b32_e32 v1, v53
; %bb.5936:                             ;   in Loop: Header=BB6_5679 Depth=3
	s_or_b64 exec, exec, s[28:29]
	v_lshrrev_b64 v[0:1], 20, v[0:1]
	v_cmp_gt_i32_e32 vcc, 16, v2
	v_cndmask_b32_e32 v1, 0, v1, vcc
	v_cndmask_b32_e32 v0, 7, v0, vcc
	v_cmp_eq_u64_e64 s[28:29], 0, v[0:1]
	v_min_i32_e32 v1, 15, v2
	v_lshlrev_b32_e32 v1, 3, v1
	v_cmp_eq_u32_e32 vcc, 0, v2
	v_and_b32_e32 v1, 0xf8, v1
	v_and_or_b32 v0, v0, 7, v1
	s_and_b64 s[28:29], vcc, s[28:29]
	v_cndmask_b32_e64 v0, v0, 0, s[28:29]
	v_or_b32_e32 v41, v0, v3
.LBB6_5937:                             ;   in Loop: Header=BB6_5679 Depth=3
	s_or_b64 exec, exec, s[48:49]
                                        ; implicit-def: $vgpr3
.LBB6_5938:                             ;   in Loop: Header=BB6_5679 Depth=3
	s_andn2_saveexec_b64 s[28:29], s[38:39]
; %bb.5939:                             ;   in Loop: Header=BB6_5679 Depth=3
	v_or_b32_e32 v41, 0x7e, v3
; %bb.5940:                             ;   in Loop: Header=BB6_5679 Depth=3
	s_or_b64 exec, exec, s[28:29]
                                        ; implicit-def: $vgpr0
.LBB6_5941:                             ;   in Loop: Header=BB6_5679 Depth=3
	s_andn2_saveexec_b64 s[28:29], s[40:41]
; %bb.5942:                             ;   in Loop: Header=BB6_5679 Depth=3
	v_or_b32_sdwa v41, v0, s83 dst_sel:DWORD dst_unused:UNUSED_PAD src0_sel:BYTE_3 src1_sel:DWORD
; %bb.5943:                             ;   in Loop: Header=BB6_5679 Depth=3
	s_or_b64 exec, exec, s[28:29]
	v_lshrrev_b32_e32 v2, 16, v49
	v_lshrrev_b32_e32 v0, 16, v37
	v_cmp_ne_u16_sdwa s[28:29], v2, v53 src0_sel:BYTE_0 src1_sel:DWORD
	s_mov_b64 s[40:41], -1
	s_and_b64 vcc, exec, s[46:47]
                                        ; implicit-def: $vgpr1
	s_cbranch_vccz .LBB6_5957
; %bb.5944:                             ;   in Loop: Header=BB6_5679 Depth=3
	v_mov_b32_e32 v3, 0
	v_mov_b32_e32 v1, 0
	s_and_saveexec_b64 s[40:41], s[28:29]
	s_cbranch_execz .LBB6_5950
; %bb.5945:                             ;   in Loop: Header=BB6_5679 Depth=3
	v_cmp_ne_u16_sdwa vcc, v2, s82 src0_sel:BYTE_0 src1_sel:DWORD
	v_bfrev_b32_e32 v1, 1
	s_and_saveexec_b64 s[38:39], vcc
	s_cbranch_execz .LBB6_5949
; %bb.5946:                             ;   in Loop: Header=BB6_5679 Depth=3
	v_bfe_u32 v6, v49, 16, 7
	v_cmp_ne_u32_e32 vcc, s83, v6
	v_mov_b32_e32 v1, 0x7f800001
	s_and_saveexec_b64 s[48:49], vcc
	s_cbranch_execz .LBB6_5948
; %bb.5947:                             ;   in Loop: Header=BB6_5679 Depth=3
	v_and_b32_e32 v1, 7, v2
	v_lshrrev_b32_e32 v31, 3, v6
	v_cmp_gt_u32_e32 vcc, 8, v6
	v_ffbh_u32_e32 v6, v1
	v_min_u32_e32 v52, 32, v6
	v_subrev_u32_e32 v6, 28, v52
	v_lshlrev_b64 v[6:7], v6, v[2:3]
	v_sub_u32_e32 v7, 29, v52
	v_and_b32_e32 v6, 7, v6
	v_cndmask_b32_e32 v7, v31, v7, vcc
	v_cndmask_b32_e32 v1, v1, v6, vcc
	v_lshlrev_b32_e32 v6, 24, v2
	v_bfrev_b32_e32 v31, 60
	v_lshlrev_b32_e32 v1, 20, v1
	v_and_b32_e32 v6, 0x80000000, v6
	v_lshl_add_u32 v7, v7, 23, v31
	v_or3_b32 v1, v6, v7, v1
.LBB6_5948:                             ;   in Loop: Header=BB6_5679 Depth=3
	s_or_b64 exec, exec, s[48:49]
.LBB6_5949:                             ;   in Loop: Header=BB6_5679 Depth=3
	s_or_b64 exec, exec, s[38:39]
.LBB6_5950:                             ;   in Loop: Header=BB6_5679 Depth=3
	s_or_b64 exec, exec, s[40:41]
	v_cmp_ne_u16_sdwa vcc, v0, v53 src0_sel:BYTE_0 src1_sel:DWORD
	s_and_saveexec_b64 s[40:41], vcc
	s_cbranch_execz .LBB6_5956
; %bb.5951:                             ;   in Loop: Header=BB6_5679 Depth=3
	v_cmp_ne_u16_sdwa vcc, v0, s82 src0_sel:BYTE_0 src1_sel:DWORD
	v_bfrev_b32_e32 v3, 1
	s_and_saveexec_b64 s[38:39], vcc
	s_cbranch_execz .LBB6_5955
; %bb.5952:                             ;   in Loop: Header=BB6_5679 Depth=3
	v_bfe_u32 v6, v37, 16, 7
	v_cmp_ne_u32_e32 vcc, s83, v6
	v_mov_b32_e32 v3, 0x7f800001
	s_and_saveexec_b64 s[48:49], vcc
	s_cbranch_execz .LBB6_5954
; %bb.5953:                             ;   in Loop: Header=BB6_5679 Depth=3
	v_and_b32_e32 v3, 7, v0
	v_lshrrev_b32_e32 v31, 3, v6
	v_cmp_gt_u32_e32 vcc, 8, v6
	v_ffbh_u32_e32 v6, v3
	v_min_u32_e32 v52, 32, v6
	v_subrev_u32_e32 v6, 28, v52
	v_lshlrev_b64 v[6:7], v6, v[0:1]
	v_sub_u32_e32 v7, 29, v52
	v_and_b32_e32 v6, 7, v6
	v_cndmask_b32_e32 v7, v31, v7, vcc
	v_cndmask_b32_e32 v3, v3, v6, vcc
	v_lshlrev_b32_e32 v6, 24, v0
	v_bfrev_b32_e32 v31, 60
	v_lshlrev_b32_e32 v3, 20, v3
	v_and_b32_e32 v6, 0x80000000, v6
	v_lshl_add_u32 v7, v7, 23, v31
	v_or3_b32 v3, v6, v7, v3
.LBB6_5954:                             ;   in Loop: Header=BB6_5679 Depth=3
	s_or_b64 exec, exec, s[48:49]
.LBB6_5955:                             ;   in Loop: Header=BB6_5679 Depth=3
	s_or_b64 exec, exec, s[38:39]
.LBB6_5956:                             ;   in Loop: Header=BB6_5679 Depth=3
	s_or_b64 exec, exec, s[40:41]
	v_max_f32_e32 v3, v3, v3
	v_max_f32_e32 v1, v1, v1
	v_max_f32_e32 v1, v1, v3
	s_mov_b64 s[40:41], 0
.LBB6_5957:                             ;   in Loop: Header=BB6_5679 Depth=3
	s_and_b64 vcc, exec, s[40:41]
	s_cbranch_vccz .LBB6_5971
; %bb.5958:                             ;   in Loop: Header=BB6_5679 Depth=3
	v_mov_b32_e32 v3, 0
	v_mov_b32_e32 v1, 0
	s_and_saveexec_b64 s[40:41], s[28:29]
	s_cbranch_execz .LBB6_5964
; %bb.5959:                             ;   in Loop: Header=BB6_5679 Depth=3
	v_cmp_ne_u16_sdwa vcc, v2, s82 src0_sel:BYTE_0 src1_sel:DWORD
	v_bfrev_b32_e32 v1, 1
	s_and_saveexec_b64 s[28:29], vcc
	s_cbranch_execz .LBB6_5963
; %bb.5960:                             ;   in Loop: Header=BB6_5679 Depth=3
	v_bfe_u32 v6, v49, 16, 7
	v_cmp_ne_u32_e32 vcc, s83, v6
	v_mov_b32_e32 v1, 0x7f800001
	s_and_saveexec_b64 s[38:39], vcc
	s_cbranch_execz .LBB6_5962
; %bb.5961:                             ;   in Loop: Header=BB6_5679 Depth=3
	v_and_b32_e32 v1, 7, v2
	v_lshrrev_b32_e32 v31, 3, v6
	v_cmp_gt_u32_e32 vcc, 8, v6
	v_ffbh_u32_e32 v6, v1
	v_min_u32_e32 v52, 32, v6
	v_subrev_u32_e32 v6, 28, v52
	v_lshlrev_b64 v[6:7], v6, v[2:3]
	v_sub_u32_e32 v7, 29, v52
	v_and_b32_e32 v6, 7, v6
	v_cndmask_b32_e32 v7, v31, v7, vcc
	v_cndmask_b32_e32 v1, v1, v6, vcc
	v_lshlrev_b32_e32 v2, 24, v2
	v_bfrev_b32_e32 v6, 60
	v_lshlrev_b32_e32 v1, 20, v1
	v_and_b32_e32 v2, 0x80000000, v2
	v_lshl_add_u32 v6, v7, 23, v6
	v_or3_b32 v1, v2, v6, v1
.LBB6_5962:                             ;   in Loop: Header=BB6_5679 Depth=3
	s_or_b64 exec, exec, s[38:39]
.LBB6_5963:                             ;   in Loop: Header=BB6_5679 Depth=3
	s_or_b64 exec, exec, s[28:29]
.LBB6_5964:                             ;   in Loop: Header=BB6_5679 Depth=3
	s_or_b64 exec, exec, s[40:41]
	v_cmp_ne_u16_sdwa s[40:41], v0, v53 src0_sel:BYTE_0 src1_sel:DWORD
	s_and_saveexec_b64 s[28:29], s[40:41]
	s_cbranch_execz .LBB6_5970
; %bb.5965:                             ;   in Loop: Header=BB6_5679 Depth=3
	v_cmp_ne_u16_sdwa vcc, v0, s82 src0_sel:BYTE_0 src1_sel:DWORD
	v_bfrev_b32_e32 v3, 1
	s_and_saveexec_b64 s[40:41], vcc
	s_cbranch_execz .LBB6_5969
; %bb.5966:                             ;   in Loop: Header=BB6_5679 Depth=3
	v_bfe_u32 v2, v37, 16, 7
	v_cmp_ne_u32_e32 vcc, s83, v2
	v_mov_b32_e32 v3, 0x7f800001
	s_and_saveexec_b64 s[38:39], vcc
	s_cbranch_execz .LBB6_5968
; %bb.5967:                             ;   in Loop: Header=BB6_5679 Depth=3
	v_and_b32_e32 v6, 7, v0
	v_lshrrev_b32_e32 v7, 3, v2
	v_cmp_gt_u32_e32 vcc, 8, v2
	v_ffbh_u32_e32 v2, v6
	v_min_u32_e32 v31, 32, v2
	v_subrev_u32_e32 v2, 28, v31
	v_lshlrev_b64 v[2:3], v2, v[0:1]
	v_sub_u32_e32 v3, 29, v31
	v_and_b32_e32 v2, 7, v2
	v_cndmask_b32_e32 v3, v7, v3, vcc
	v_cndmask_b32_e32 v2, v6, v2, vcc
	v_lshlrev_b32_e32 v0, 24, v0
	v_bfrev_b32_e32 v6, 60
	v_lshlrev_b32_e32 v2, 20, v2
	v_and_b32_e32 v0, 0x80000000, v0
	v_lshl_add_u32 v3, v3, 23, v6
	v_or3_b32 v3, v0, v3, v2
.LBB6_5968:                             ;   in Loop: Header=BB6_5679 Depth=3
	s_or_b64 exec, exec, s[38:39]
.LBB6_5969:                             ;   in Loop: Header=BB6_5679 Depth=3
	s_or_b64 exec, exec, s[40:41]
.LBB6_5970:                             ;   in Loop: Header=BB6_5679 Depth=3
	s_or_b64 exec, exec, s[28:29]
	v_max_f32_e32 v0, v3, v3
	v_max_f32_e32 v1, v1, v1
	v_min_f32_e32 v1, v1, v0
.LBB6_5971:                             ;   in Loop: Header=BB6_5679 Depth=3
	v_and_b32_e32 v52, 0x7f800000, v1
	v_cmp_ne_u64_e32 vcc, s[76:77], v[52:53]
                                        ; implicit-def: $vgpr52
	s_and_saveexec_b64 s[28:29], vcc
	s_xor_b64 s[40:41], exec, s[28:29]
	s_cbranch_execz .LBB6_5985
; %bb.5972:                             ;   in Loop: Header=BB6_5679 Depth=3
	v_and_b32_e32 v52, 0x7fffffff, v1
	v_cmp_gt_u64_e32 vcc, s[78:79], v[52:53]
	v_and_b32_sdwa v3, v1, s82 dst_sel:DWORD dst_unused:UNUSED_PAD src0_sel:BYTE_3 src1_sel:DWORD
                                        ; implicit-def: $vgpr52
	s_and_saveexec_b64 s[28:29], vcc
	s_xor_b64 s[38:39], exec, s[28:29]
	s_cbranch_execz .LBB6_5982
; %bb.5973:                             ;   in Loop: Header=BB6_5679 Depth=3
	v_mov_b32_e32 v52, 0
	v_cmp_ne_u32_e32 vcc, 0, v1
	s_and_saveexec_b64 s[48:49], vcc
	s_cbranch_execz .LBB6_5981
; %bb.5974:                             ;   in Loop: Header=BB6_5679 Depth=3
	v_bfe_u32 v6, v1, 23, 8
	v_and_b32_e32 v0, 0x7fffff, v1
	v_cmp_gt_u32_e64 s[28:29], s85, v6
	v_sub_u32_e32 v1, 0x79, v6
	v_cmp_eq_u32_e32 vcc, 0, v6
	v_cndmask_b32_e64 v1, 0, v1, s[28:29]
	v_mov_b32_e32 v7, 0x78
	v_or_b32_e32 v2, 0x800000, v0
	v_cndmask_b32_e32 v7, v1, v7, vcc
	v_cndmask_b32_e32 v52, v2, v0, vcc
	v_add_u32_e32 v0, 20, v7
	v_lshlrev_b64 v[0:1], v0, -1
	v_add_u32_e32 v2, 19, v7
	v_lshlrev_b64 v[54:55], v2, 1
	v_bfi_b32 v1, v1, 0, 0
	v_bfi_b32 v0, v0, 0, v52
	v_cmp_eq_u64_e64 s[28:29], v[0:1], v[54:55]
	v_lshrrev_b64 v[0:1], v7, v[52:53]
	v_mov_b32_e32 v2, v1
	v_mov_b32_e32 v1, v0
	s_and_saveexec_b64 s[50:51], s[28:29]
; %bb.5975:                             ;   in Loop: Header=BB6_5679 Depth=3
	v_bfe_u32 v1, v0, 20, 1
	v_add_co_u32_e64 v1, s[28:29], v0, v1
	v_add_co_u32_e64 v1, s[28:29], -1, v1
; %bb.5976:                             ;   in Loop: Header=BB6_5679 Depth=3
	s_or_b64 exec, exec, s[50:51]
	v_add_u32_e32 v2, 0xffffff81, v6
	v_mov_b32_e32 v6, 0xffffff82
	v_cndmask_b32_e32 v2, v2, v6, vcc
	v_lshrrev_b32_e32 v6, 23, v0
	v_add3_u32 v7, v7, v2, v6
	v_add_u32_e32 v6, 6, v7
	v_and_b32_e32 v1, 0xfffff, v1
	v_add_u32_e32 v52, v1, v0
	v_cmp_ne_u32_e32 vcc, 0, v6
                                        ; implicit-def: $vgpr0_vgpr1
                                        ; implicit-def: $vgpr2
	s_and_saveexec_b64 s[28:29], vcc
	s_xor_b64 s[28:29], exec, s[28:29]
; %bb.5977:                             ;   in Loop: Header=BB6_5679 Depth=3
	v_cmp_lt_u64_e32 vcc, s[88:89], v[52:53]
	v_add_u32_e32 v0, 7, v7
	v_cndmask_b32_e32 v2, v6, v0, vcc
	v_cndmask_b32_e64 v0, 0, 1, vcc
	v_lshrrev_b64 v[0:1], v0, v[52:53]
; %bb.5978:                             ;   in Loop: Header=BB6_5679 Depth=3
	s_andn2_saveexec_b64 s[28:29], s[28:29]
; %bb.5979:                             ;   in Loop: Header=BB6_5679 Depth=3
	v_mov_b32_e32 v0, v52
	v_bfe_u32 v2, v52, 23, 1
	v_mov_b32_e32 v1, v53
; %bb.5980:                             ;   in Loop: Header=BB6_5679 Depth=3
	s_or_b64 exec, exec, s[28:29]
	v_lshrrev_b64 v[0:1], 20, v[0:1]
	v_cmp_gt_i32_e32 vcc, 16, v2
	v_cndmask_b32_e32 v1, 0, v1, vcc
	v_cndmask_b32_e32 v0, 7, v0, vcc
	v_cmp_eq_u64_e64 s[28:29], 0, v[0:1]
	v_min_i32_e32 v1, 15, v2
	v_lshlrev_b32_e32 v1, 3, v1
	v_cmp_eq_u32_e32 vcc, 0, v2
	v_and_b32_e32 v1, 0xf8, v1
	v_and_or_b32 v0, v0, 7, v1
	s_and_b64 s[28:29], vcc, s[28:29]
	v_cndmask_b32_e64 v0, v0, 0, s[28:29]
	v_or_b32_e32 v52, v0, v3
.LBB6_5981:                             ;   in Loop: Header=BB6_5679 Depth=3
	s_or_b64 exec, exec, s[48:49]
                                        ; implicit-def: $vgpr3
.LBB6_5982:                             ;   in Loop: Header=BB6_5679 Depth=3
	s_andn2_saveexec_b64 s[28:29], s[38:39]
; %bb.5983:                             ;   in Loop: Header=BB6_5679 Depth=3
	v_or_b32_e32 v52, 0x7e, v3
; %bb.5984:                             ;   in Loop: Header=BB6_5679 Depth=3
	s_or_b64 exec, exec, s[28:29]
                                        ; implicit-def: $vgpr1
.LBB6_5985:                             ;   in Loop: Header=BB6_5679 Depth=3
	s_andn2_saveexec_b64 s[28:29], s[40:41]
; %bb.5986:                             ;   in Loop: Header=BB6_5679 Depth=3
	v_or_b32_sdwa v52, v1, s83 dst_sel:DWORD dst_unused:UNUSED_PAD src0_sel:BYTE_3 src1_sel:DWORD
; %bb.5987:                             ;   in Loop: Header=BB6_5679 Depth=3
	s_or_b64 exec, exec, s[28:29]
	v_cmp_lt_u64_e64 s[28:29], s[62:63], v[48:49]
	v_lshrrev_b32_e32 v2, 24, v49
	v_lshrrev_b32_e32 v0, 24, v37
	s_mov_b64 s[40:41], -1
	s_and_b64 vcc, exec, s[46:47]
                                        ; implicit-def: $vgpr1
	s_cbranch_vccz .LBB6_6001
; %bb.5988:                             ;   in Loop: Header=BB6_5679 Depth=3
	v_mov_b32_e32 v3, 0
	v_mov_b32_e32 v1, 0
	s_and_saveexec_b64 s[40:41], s[28:29]
	s_cbranch_execz .LBB6_5994
; %bb.5989:                             ;   in Loop: Header=BB6_5679 Depth=3
	v_cmp_ne_u32_e32 vcc, s82, v2
	v_bfrev_b32_e32 v1, 1
	s_and_saveexec_b64 s[38:39], vcc
	s_cbranch_execz .LBB6_5993
; %bb.5990:                             ;   in Loop: Header=BB6_5679 Depth=3
	v_bfe_u32 v6, v49, 24, 7
	v_cmp_ne_u32_e32 vcc, s83, v6
	v_mov_b32_e32 v1, 0x7f800001
	s_and_saveexec_b64 s[48:49], vcc
	s_cbranch_execz .LBB6_5992
; %bb.5991:                             ;   in Loop: Header=BB6_5679 Depth=3
	v_and_b32_e32 v1, 7, v2
	v_lshrrev_b32_e32 v31, 3, v6
	v_cmp_gt_u32_e32 vcc, 8, v6
	v_ffbh_u32_e32 v6, v1
	v_min_u32_e32 v48, 32, v6
	v_subrev_u32_e32 v6, 28, v48
	v_lshlrev_b64 v[6:7], v6, v[2:3]
	v_sub_u32_e32 v7, 29, v48
	v_and_b32_e32 v6, 7, v6
	v_cndmask_b32_e32 v7, v31, v7, vcc
	v_cndmask_b32_e32 v1, v1, v6, vcc
	v_lshlrev_b32_e32 v6, 24, v2
	v_bfrev_b32_e32 v31, 60
	v_lshlrev_b32_e32 v1, 20, v1
	v_and_b32_e32 v6, 0x80000000, v6
	v_lshl_add_u32 v7, v7, 23, v31
	v_or3_b32 v1, v6, v7, v1
.LBB6_5992:                             ;   in Loop: Header=BB6_5679 Depth=3
	s_or_b64 exec, exec, s[48:49]
.LBB6_5993:                             ;   in Loop: Header=BB6_5679 Depth=3
	s_or_b64 exec, exec, s[38:39]
.LBB6_5994:                             ;   in Loop: Header=BB6_5679 Depth=3
	s_or_b64 exec, exec, s[40:41]
	v_cmp_lt_u64_e32 vcc, s[62:63], v[36:37]
	s_and_saveexec_b64 s[40:41], vcc
	s_cbranch_execz .LBB6_6000
; %bb.5995:                             ;   in Loop: Header=BB6_5679 Depth=3
	v_cmp_ne_u32_e32 vcc, s82, v0
	v_bfrev_b32_e32 v3, 1
	s_and_saveexec_b64 s[38:39], vcc
	s_cbranch_execz .LBB6_5999
; %bb.5996:                             ;   in Loop: Header=BB6_5679 Depth=3
	v_bfe_u32 v6, v37, 24, 7
	v_cmp_ne_u32_e32 vcc, s83, v6
	v_mov_b32_e32 v3, 0x7f800001
	s_and_saveexec_b64 s[48:49], vcc
	s_cbranch_execz .LBB6_5998
; %bb.5997:                             ;   in Loop: Header=BB6_5679 Depth=3
	v_and_b32_e32 v3, 7, v0
	v_lshrrev_b32_e32 v31, 3, v6
	v_cmp_gt_u32_e32 vcc, 8, v6
	v_ffbh_u32_e32 v6, v3
	v_min_u32_e32 v48, 32, v6
	v_subrev_u32_e32 v6, 28, v48
	v_lshlrev_b64 v[6:7], v6, v[0:1]
	v_sub_u32_e32 v7, 29, v48
	v_and_b32_e32 v6, 7, v6
	v_cndmask_b32_e32 v7, v31, v7, vcc
	v_cndmask_b32_e32 v3, v3, v6, vcc
	v_lshlrev_b32_e32 v6, 24, v0
	v_bfrev_b32_e32 v31, 60
	v_lshlrev_b32_e32 v3, 20, v3
	v_and_b32_e32 v6, 0x80000000, v6
	v_lshl_add_u32 v7, v7, 23, v31
	v_or3_b32 v3, v6, v7, v3
.LBB6_5998:                             ;   in Loop: Header=BB6_5679 Depth=3
	s_or_b64 exec, exec, s[48:49]
.LBB6_5999:                             ;   in Loop: Header=BB6_5679 Depth=3
	s_or_b64 exec, exec, s[38:39]
.LBB6_6000:                             ;   in Loop: Header=BB6_5679 Depth=3
	s_or_b64 exec, exec, s[40:41]
	v_max_f32_e32 v3, v3, v3
	v_max_f32_e32 v1, v1, v1
	;; [unrolled: 1-line block ×3, first 2 shown]
	s_mov_b64 s[40:41], 0
.LBB6_6001:                             ;   in Loop: Header=BB6_5679 Depth=3
	s_and_b64 vcc, exec, s[40:41]
	s_cbranch_vccz .LBB6_6015
; %bb.6002:                             ;   in Loop: Header=BB6_5679 Depth=3
	v_mov_b32_e32 v3, 0
	v_mov_b32_e32 v1, 0
	s_and_saveexec_b64 s[40:41], s[28:29]
	s_cbranch_execz .LBB6_6008
; %bb.6003:                             ;   in Loop: Header=BB6_5679 Depth=3
	v_cmp_ne_u32_e32 vcc, s82, v2
	v_bfrev_b32_e32 v1, 1
	s_and_saveexec_b64 s[28:29], vcc
	s_cbranch_execz .LBB6_6007
; %bb.6004:                             ;   in Loop: Header=BB6_5679 Depth=3
	v_bfe_u32 v6, v49, 24, 7
	v_cmp_ne_u32_e32 vcc, s83, v6
	v_mov_b32_e32 v1, 0x7f800001
	s_and_saveexec_b64 s[38:39], vcc
	s_cbranch_execz .LBB6_6006
; %bb.6005:                             ;   in Loop: Header=BB6_5679 Depth=3
	v_and_b32_e32 v1, 7, v2
	v_lshrrev_b32_e32 v31, 3, v6
	v_cmp_gt_u32_e32 vcc, 8, v6
	v_ffbh_u32_e32 v6, v1
	v_min_u32_e32 v48, 32, v6
	v_subrev_u32_e32 v6, 28, v48
	v_lshlrev_b64 v[6:7], v6, v[2:3]
	v_sub_u32_e32 v7, 29, v48
	v_and_b32_e32 v6, 7, v6
	v_cndmask_b32_e32 v7, v31, v7, vcc
	v_cndmask_b32_e32 v1, v1, v6, vcc
	v_lshlrev_b32_e32 v2, 24, v2
	v_bfrev_b32_e32 v6, 60
	v_lshlrev_b32_e32 v1, 20, v1
	v_and_b32_e32 v2, 0x80000000, v2
	v_lshl_add_u32 v6, v7, 23, v6
	v_or3_b32 v1, v2, v6, v1
.LBB6_6006:                             ;   in Loop: Header=BB6_5679 Depth=3
	s_or_b64 exec, exec, s[38:39]
.LBB6_6007:                             ;   in Loop: Header=BB6_5679 Depth=3
	s_or_b64 exec, exec, s[28:29]
.LBB6_6008:                             ;   in Loop: Header=BB6_5679 Depth=3
	s_or_b64 exec, exec, s[40:41]
	v_cmp_lt_u64_e32 vcc, s[62:63], v[36:37]
	s_and_saveexec_b64 s[28:29], vcc
	s_cbranch_execz .LBB6_6014
; %bb.6009:                             ;   in Loop: Header=BB6_5679 Depth=3
	v_cmp_ne_u32_e32 vcc, s82, v0
	v_bfrev_b32_e32 v3, 1
	s_and_saveexec_b64 s[40:41], vcc
	s_cbranch_execz .LBB6_6013
; %bb.6010:                             ;   in Loop: Header=BB6_5679 Depth=3
	v_bfe_u32 v2, v37, 24, 7
	v_cmp_ne_u32_e32 vcc, s83, v2
	v_mov_b32_e32 v3, 0x7f800001
	s_and_saveexec_b64 s[38:39], vcc
	s_cbranch_execz .LBB6_6012
; %bb.6011:                             ;   in Loop: Header=BB6_5679 Depth=3
	v_and_b32_e32 v6, 7, v0
	v_lshrrev_b32_e32 v7, 3, v2
	v_cmp_gt_u32_e32 vcc, 8, v2
	v_ffbh_u32_e32 v2, v6
	v_min_u32_e32 v31, 32, v2
	v_subrev_u32_e32 v2, 28, v31
	v_lshlrev_b64 v[2:3], v2, v[0:1]
	v_sub_u32_e32 v3, 29, v31
	v_and_b32_e32 v2, 7, v2
	v_cndmask_b32_e32 v3, v7, v3, vcc
	v_cndmask_b32_e32 v2, v6, v2, vcc
	v_lshlrev_b32_e32 v0, 24, v0
	v_bfrev_b32_e32 v6, 60
	v_lshlrev_b32_e32 v2, 20, v2
	v_and_b32_e32 v0, 0x80000000, v0
	v_lshl_add_u32 v3, v3, 23, v6
	v_or3_b32 v3, v0, v3, v2
.LBB6_6012:                             ;   in Loop: Header=BB6_5679 Depth=3
	s_or_b64 exec, exec, s[38:39]
.LBB6_6013:                             ;   in Loop: Header=BB6_5679 Depth=3
	s_or_b64 exec, exec, s[40:41]
.LBB6_6014:                             ;   in Loop: Header=BB6_5679 Depth=3
	s_or_b64 exec, exec, s[28:29]
	v_max_f32_e32 v0, v3, v3
	v_max_f32_e32 v1, v1, v1
	v_min_f32_e32 v1, v1, v0
.LBB6_6015:                             ;   in Loop: Header=BB6_5679 Depth=3
	buffer_store_dword v52, off, s[0:3], s33 offset:108 ; 4-byte Folded Spill
	v_and_b32_e32 v52, 0x7f800000, v1
	v_cmp_ne_u64_e32 vcc, s[76:77], v[52:53]
                                        ; implicit-def: $vgpr7
	s_and_saveexec_b64 s[28:29], vcc
	s_xor_b64 s[40:41], exec, s[28:29]
	s_cbranch_execz .LBB6_6029
; %bb.6016:                             ;   in Loop: Header=BB6_5679 Depth=3
	v_and_b32_e32 v52, 0x7fffffff, v1
	v_cmp_gt_u64_e32 vcc, s[78:79], v[52:53]
	v_and_b32_sdwa v3, v1, s82 dst_sel:DWORD dst_unused:UNUSED_PAD src0_sel:BYTE_3 src1_sel:DWORD
                                        ; implicit-def: $vgpr7
	s_and_saveexec_b64 s[28:29], vcc
	s_xor_b64 s[38:39], exec, s[28:29]
	s_cbranch_execz .LBB6_6026
; %bb.6017:                             ;   in Loop: Header=BB6_5679 Depth=3
	v_mov_b32_e32 v7, 0
	v_cmp_ne_u32_e32 vcc, 0, v1
	s_and_saveexec_b64 s[48:49], vcc
	s_cbranch_execz .LBB6_6025
; %bb.6018:                             ;   in Loop: Header=BB6_5679 Depth=3
	v_bfe_u32 v6, v1, 23, 8
	v_and_b32_e32 v0, 0x7fffff, v1
	v_cmp_gt_u32_e64 s[28:29], s85, v6
	v_sub_u32_e32 v1, 0x79, v6
	v_cmp_eq_u32_e32 vcc, 0, v6
	v_cndmask_b32_e64 v1, 0, v1, s[28:29]
	v_mov_b32_e32 v7, 0x78
	v_or_b32_e32 v2, 0x800000, v0
	v_cndmask_b32_e32 v7, v1, v7, vcc
	v_cndmask_b32_e32 v52, v2, v0, vcc
	v_add_u32_e32 v0, 20, v7
	v_lshlrev_b64 v[0:1], v0, -1
	v_add_u32_e32 v2, 19, v7
	v_lshlrev_b64 v[36:37], v2, 1
	v_bfi_b32 v1, v1, 0, 0
	v_bfi_b32 v0, v0, 0, v52
	v_cmp_eq_u64_e64 s[28:29], v[0:1], v[36:37]
	v_lshrrev_b64 v[0:1], v7, v[52:53]
	v_mov_b32_e32 v2, v1
	v_mov_b32_e32 v1, v0
	s_and_saveexec_b64 s[50:51], s[28:29]
; %bb.6019:                             ;   in Loop: Header=BB6_5679 Depth=3
	v_bfe_u32 v1, v0, 20, 1
	v_add_co_u32_e64 v1, s[28:29], v0, v1
	v_add_co_u32_e64 v1, s[28:29], -1, v1
; %bb.6020:                             ;   in Loop: Header=BB6_5679 Depth=3
	s_or_b64 exec, exec, s[50:51]
	v_add_u32_e32 v2, 0xffffff81, v6
	v_mov_b32_e32 v6, 0xffffff82
	v_cndmask_b32_e32 v2, v2, v6, vcc
	v_lshrrev_b32_e32 v6, 23, v0
	v_add3_u32 v7, v7, v2, v6
	v_add_u32_e32 v6, 6, v7
	v_and_b32_e32 v1, 0xfffff, v1
	v_add_u32_e32 v52, v1, v0
	v_cmp_ne_u32_e32 vcc, 0, v6
                                        ; implicit-def: $vgpr0_vgpr1
                                        ; implicit-def: $vgpr2
	s_and_saveexec_b64 s[28:29], vcc
	s_xor_b64 s[28:29], exec, s[28:29]
; %bb.6021:                             ;   in Loop: Header=BB6_5679 Depth=3
	v_cmp_lt_u64_e32 vcc, s[88:89], v[52:53]
	v_add_u32_e32 v0, 7, v7
	v_cndmask_b32_e32 v2, v6, v0, vcc
	v_cndmask_b32_e64 v0, 0, 1, vcc
	v_lshrrev_b64 v[0:1], v0, v[52:53]
; %bb.6022:                             ;   in Loop: Header=BB6_5679 Depth=3
	s_andn2_saveexec_b64 s[28:29], s[28:29]
; %bb.6023:                             ;   in Loop: Header=BB6_5679 Depth=3
	v_mov_b32_e32 v0, v52
	v_bfe_u32 v2, v52, 23, 1
	v_mov_b32_e32 v1, v53
; %bb.6024:                             ;   in Loop: Header=BB6_5679 Depth=3
	s_or_b64 exec, exec, s[28:29]
	v_lshrrev_b64 v[0:1], 20, v[0:1]
	v_cmp_gt_i32_e32 vcc, 16, v2
	v_cndmask_b32_e32 v1, 0, v1, vcc
	v_cndmask_b32_e32 v0, 7, v0, vcc
	v_cmp_eq_u64_e64 s[28:29], 0, v[0:1]
	v_min_i32_e32 v1, 15, v2
	v_lshlrev_b32_e32 v1, 3, v1
	v_cmp_eq_u32_e32 vcc, 0, v2
	v_and_b32_e32 v1, 0xf8, v1
	v_and_or_b32 v0, v0, 7, v1
	s_and_b64 s[28:29], vcc, s[28:29]
	v_cndmask_b32_e64 v0, v0, 0, s[28:29]
	v_or_b32_e32 v7, v0, v3
.LBB6_6025:                             ;   in Loop: Header=BB6_5679 Depth=3
	s_or_b64 exec, exec, s[48:49]
                                        ; implicit-def: $vgpr3
.LBB6_6026:                             ;   in Loop: Header=BB6_5679 Depth=3
	s_andn2_saveexec_b64 s[28:29], s[38:39]
; %bb.6027:                             ;   in Loop: Header=BB6_5679 Depth=3
	v_or_b32_e32 v7, 0x7e, v3
; %bb.6028:                             ;   in Loop: Header=BB6_5679 Depth=3
	s_or_b64 exec, exec, s[28:29]
                                        ; implicit-def: $vgpr1
.LBB6_6029:                             ;   in Loop: Header=BB6_5679 Depth=3
	s_andn2_saveexec_b64 s[28:29], s[40:41]
; %bb.6030:                             ;   in Loop: Header=BB6_5679 Depth=3
	v_or_b32_sdwa v7, v1, s83 dst_sel:DWORD dst_unused:UNUSED_PAD src0_sel:BYTE_3 src1_sel:DWORD
; %bb.6031:                             ;   in Loop: Header=BB6_5679 Depth=3
	s_or_b64 exec, exec, s[28:29]
	v_cmp_ne_u16_sdwa s[28:29], v50, v53 src0_sel:BYTE_0 src1_sel:DWORD
	s_mov_b64 s[40:41], -1
	s_and_b64 vcc, exec, s[46:47]
                                        ; implicit-def: $vgpr0
	s_cbranch_vccz .LBB6_6045
; %bb.6032:                             ;   in Loop: Header=BB6_5679 Depth=3
	v_mov_b32_e32 v1, 0
	v_mov_b32_e32 v0, 0
	s_and_saveexec_b64 s[40:41], s[28:29]
	s_cbranch_execz .LBB6_6038
; %bb.6033:                             ;   in Loop: Header=BB6_5679 Depth=3
	v_cmp_ne_u16_sdwa vcc, v50, s82 src0_sel:BYTE_0 src1_sel:DWORD
	v_bfrev_b32_e32 v0, 1
	s_and_saveexec_b64 s[38:39], vcc
	s_cbranch_execz .LBB6_6037
; %bb.6034:                             ;   in Loop: Header=BB6_5679 Depth=3
	v_and_b32_e32 v2, 0x7f, v50
	v_cmp_ne_u32_e32 vcc, s83, v2
	v_mov_b32_e32 v0, 0x7f800001
	s_and_saveexec_b64 s[48:49], vcc
	s_cbranch_execz .LBB6_6036
; %bb.6035:                             ;   in Loop: Header=BB6_5679 Depth=3
	v_and_b32_e32 v0, 7, v50
	v_ffbh_u32_e32 v0, v0
	v_min_u32_e32 v0, 32, v0
	v_lshrrev_b32_e32 v3, 3, v2
	v_cmp_gt_u32_e32 vcc, 8, v2
	v_subrev_u32_e32 v2, 28, v0
	v_sub_u32_e32 v0, 29, v0
	v_cndmask_b32_e32 v2, 0, v2, vcc
	v_cndmask_b32_e32 v0, v3, v0, vcc
	v_lshlrev_b64 v[2:3], v2, v[50:51]
	v_lshlrev_b32_e32 v3, 24, v50
	v_lshlrev_b32_e32 v2, 20, v2
	v_bfrev_b32_e32 v6, 60
	v_and_b32_e32 v2, 0x700000, v2
	v_and_b32_e32 v3, 0x80000000, v3
	v_lshl_add_u32 v0, v0, 23, v6
	v_or3_b32 v0, v3, v0, v2
.LBB6_6036:                             ;   in Loop: Header=BB6_5679 Depth=3
	s_or_b64 exec, exec, s[48:49]
.LBB6_6037:                             ;   in Loop: Header=BB6_5679 Depth=3
	s_or_b64 exec, exec, s[38:39]
.LBB6_6038:                             ;   in Loop: Header=BB6_5679 Depth=3
	s_or_b64 exec, exec, s[40:41]
	v_cmp_ne_u16_sdwa vcc, v38, v53 src0_sel:BYTE_0 src1_sel:DWORD
	s_and_saveexec_b64 s[40:41], vcc
	s_cbranch_execz .LBB6_6044
; %bb.6039:                             ;   in Loop: Header=BB6_5679 Depth=3
	v_cmp_ne_u16_sdwa vcc, v38, s82 src0_sel:BYTE_0 src1_sel:DWORD
	v_bfrev_b32_e32 v1, 1
	s_and_saveexec_b64 s[38:39], vcc
	s_cbranch_execz .LBB6_6043
; %bb.6040:                             ;   in Loop: Header=BB6_5679 Depth=3
	v_and_b32_e32 v2, 0x7f, v38
	v_cmp_ne_u32_e32 vcc, s83, v2
	v_mov_b32_e32 v1, 0x7f800001
	s_and_saveexec_b64 s[48:49], vcc
	s_cbranch_execz .LBB6_6042
; %bb.6041:                             ;   in Loop: Header=BB6_5679 Depth=3
	v_and_b32_e32 v1, 7, v38
	v_ffbh_u32_e32 v1, v1
	v_min_u32_e32 v1, 32, v1
	v_lshrrev_b32_e32 v3, 3, v2
	v_cmp_gt_u32_e32 vcc, 8, v2
	v_subrev_u32_e32 v2, 28, v1
	v_sub_u32_e32 v1, 29, v1
	v_cndmask_b32_e32 v3, v3, v1, vcc
	v_cndmask_b32_e32 v1, 0, v2, vcc
	v_lshlrev_b64 v[1:2], v1, v[38:39]
	v_lshlrev_b32_e32 v2, 24, v38
	v_lshlrev_b32_e32 v1, 20, v1
	v_bfrev_b32_e32 v6, 60
	v_and_b32_e32 v1, 0x700000, v1
	v_and_b32_e32 v2, 0x80000000, v2
	v_lshl_add_u32 v3, v3, 23, v6
	v_or3_b32 v1, v2, v3, v1
.LBB6_6042:                             ;   in Loop: Header=BB6_5679 Depth=3
	s_or_b64 exec, exec, s[48:49]
.LBB6_6043:                             ;   in Loop: Header=BB6_5679 Depth=3
	s_or_b64 exec, exec, s[38:39]
.LBB6_6044:                             ;   in Loop: Header=BB6_5679 Depth=3
	s_or_b64 exec, exec, s[40:41]
	v_max_f32_e32 v1, v1, v1
	v_max_f32_e32 v0, v0, v0
	;; [unrolled: 1-line block ×3, first 2 shown]
	s_mov_b64 s[40:41], 0
.LBB6_6045:                             ;   in Loop: Header=BB6_5679 Depth=3
	s_and_b64 vcc, exec, s[40:41]
	s_cbranch_vccz .LBB6_6059
; %bb.6046:                             ;   in Loop: Header=BB6_5679 Depth=3
	v_mov_b32_e32 v1, 0
	v_mov_b32_e32 v0, 0
	s_and_saveexec_b64 s[40:41], s[28:29]
	s_cbranch_execz .LBB6_6052
; %bb.6047:                             ;   in Loop: Header=BB6_5679 Depth=3
	v_cmp_ne_u16_sdwa vcc, v50, s82 src0_sel:BYTE_0 src1_sel:DWORD
	v_bfrev_b32_e32 v0, 1
	s_and_saveexec_b64 s[28:29], vcc
	s_cbranch_execz .LBB6_6051
; %bb.6048:                             ;   in Loop: Header=BB6_5679 Depth=3
	v_and_b32_e32 v2, 0x7f, v50
	v_cmp_ne_u32_e32 vcc, s83, v2
	v_mov_b32_e32 v0, 0x7f800001
	s_and_saveexec_b64 s[38:39], vcc
	s_cbranch_execz .LBB6_6050
; %bb.6049:                             ;   in Loop: Header=BB6_5679 Depth=3
	v_and_b32_e32 v0, 7, v50
	v_ffbh_u32_e32 v0, v0
	v_min_u32_e32 v0, 32, v0
	v_lshrrev_b32_e32 v3, 3, v2
	v_cmp_gt_u32_e32 vcc, 8, v2
	v_subrev_u32_e32 v2, 28, v0
	v_sub_u32_e32 v0, 29, v0
	v_cndmask_b32_e32 v2, 0, v2, vcc
	v_cndmask_b32_e32 v0, v3, v0, vcc
	v_lshlrev_b64 v[2:3], v2, v[50:51]
	v_lshlrev_b32_e32 v3, 24, v50
	v_lshlrev_b32_e32 v2, 20, v2
	v_bfrev_b32_e32 v6, 60
	v_and_b32_e32 v2, 0x700000, v2
	v_and_b32_e32 v3, 0x80000000, v3
	v_lshl_add_u32 v0, v0, 23, v6
	v_or3_b32 v0, v3, v0, v2
.LBB6_6050:                             ;   in Loop: Header=BB6_5679 Depth=3
	s_or_b64 exec, exec, s[38:39]
.LBB6_6051:                             ;   in Loop: Header=BB6_5679 Depth=3
	s_or_b64 exec, exec, s[28:29]
.LBB6_6052:                             ;   in Loop: Header=BB6_5679 Depth=3
	s_or_b64 exec, exec, s[40:41]
	v_cmp_ne_u16_sdwa s[40:41], v38, v53 src0_sel:BYTE_0 src1_sel:DWORD
	s_and_saveexec_b64 s[28:29], s[40:41]
	s_cbranch_execz .LBB6_6058
; %bb.6053:                             ;   in Loop: Header=BB6_5679 Depth=3
	v_cmp_ne_u16_sdwa vcc, v38, s82 src0_sel:BYTE_0 src1_sel:DWORD
	v_bfrev_b32_e32 v1, 1
	s_and_saveexec_b64 s[40:41], vcc
	s_cbranch_execz .LBB6_6057
; %bb.6054:                             ;   in Loop: Header=BB6_5679 Depth=3
	v_and_b32_e32 v2, 0x7f, v38
	v_cmp_ne_u32_e32 vcc, s83, v2
	v_mov_b32_e32 v1, 0x7f800001
	s_and_saveexec_b64 s[38:39], vcc
	s_cbranch_execz .LBB6_6056
; %bb.6055:                             ;   in Loop: Header=BB6_5679 Depth=3
	v_and_b32_e32 v1, 7, v38
	v_ffbh_u32_e32 v1, v1
	v_min_u32_e32 v1, 32, v1
	v_lshrrev_b32_e32 v3, 3, v2
	v_cmp_gt_u32_e32 vcc, 8, v2
	v_subrev_u32_e32 v2, 28, v1
	v_sub_u32_e32 v1, 29, v1
	v_cndmask_b32_e32 v3, v3, v1, vcc
	v_cndmask_b32_e32 v1, 0, v2, vcc
	v_lshlrev_b64 v[1:2], v1, v[38:39]
	v_lshlrev_b32_e32 v2, 24, v38
	v_lshlrev_b32_e32 v1, 20, v1
	v_bfrev_b32_e32 v6, 60
	v_and_b32_e32 v1, 0x700000, v1
	v_and_b32_e32 v2, 0x80000000, v2
	v_lshl_add_u32 v3, v3, 23, v6
	v_or3_b32 v1, v2, v3, v1
.LBB6_6056:                             ;   in Loop: Header=BB6_5679 Depth=3
	s_or_b64 exec, exec, s[38:39]
.LBB6_6057:                             ;   in Loop: Header=BB6_5679 Depth=3
	s_or_b64 exec, exec, s[40:41]
.LBB6_6058:                             ;   in Loop: Header=BB6_5679 Depth=3
	s_or_b64 exec, exec, s[28:29]
	v_max_f32_e32 v1, v1, v1
	v_max_f32_e32 v0, v0, v0
	v_min_f32_e32 v0, v0, v1
.LBB6_6059:                             ;   in Loop: Header=BB6_5679 Depth=3
	v_and_b32_e32 v52, 0x7f800000, v0
	v_cmp_ne_u64_e32 vcc, s[76:77], v[52:53]
	buffer_store_dword v7, off, s[0:3], s33 offset:112 ; 4-byte Folded Spill
                                        ; implicit-def: $vgpr37
	s_and_saveexec_b64 s[28:29], vcc
	s_xor_b64 s[40:41], exec, s[28:29]
	s_cbranch_execz .LBB6_6073
; %bb.6060:                             ;   in Loop: Header=BB6_5679 Depth=3
	v_and_b32_e32 v52, 0x7fffffff, v0
	v_cmp_gt_u64_e32 vcc, s[78:79], v[52:53]
	v_and_b32_sdwa v3, v0, s82 dst_sel:DWORD dst_unused:UNUSED_PAD src0_sel:BYTE_3 src1_sel:DWORD
                                        ; implicit-def: $vgpr37
	s_and_saveexec_b64 s[28:29], vcc
	s_xor_b64 s[38:39], exec, s[28:29]
	s_cbranch_execz .LBB6_6070
; %bb.6061:                             ;   in Loop: Header=BB6_5679 Depth=3
	v_mov_b32_e32 v37, 0
	v_cmp_ne_u32_e32 vcc, 0, v0
	s_and_saveexec_b64 s[48:49], vcc
	s_cbranch_execz .LBB6_6069
; %bb.6062:                             ;   in Loop: Header=BB6_5679 Depth=3
	v_bfe_u32 v6, v0, 23, 8
	v_and_b32_e32 v1, 0x7fffff, v0
	v_cmp_gt_u32_e64 s[28:29], s85, v6
	v_sub_u32_e32 v0, 0x79, v6
	v_cmp_eq_u32_e32 vcc, 0, v6
	v_cndmask_b32_e64 v0, 0, v0, s[28:29]
	v_mov_b32_e32 v7, 0x78
	v_cndmask_b32_e32 v7, v0, v7, vcc
	v_or_b32_e32 v2, 0x800000, v1
	v_add_u32_e32 v0, 20, v7
	v_cndmask_b32_e32 v52, v2, v1, vcc
	v_lshlrev_b64 v[0:1], v0, -1
	v_add_u32_e32 v2, 19, v7
	v_lshlrev_b64 v[36:37], v2, 1
	v_bfi_b32 v1, v1, 0, 0
	v_bfi_b32 v0, v0, 0, v52
	v_cmp_eq_u64_e64 s[28:29], v[0:1], v[36:37]
	v_lshrrev_b64 v[0:1], v7, v[52:53]
	v_mov_b32_e32 v2, v1
	v_mov_b32_e32 v1, v0
	s_and_saveexec_b64 s[50:51], s[28:29]
; %bb.6063:                             ;   in Loop: Header=BB6_5679 Depth=3
	v_bfe_u32 v1, v0, 20, 1
	v_add_co_u32_e64 v1, s[28:29], v0, v1
	v_add_co_u32_e64 v1, s[28:29], -1, v1
; %bb.6064:                             ;   in Loop: Header=BB6_5679 Depth=3
	s_or_b64 exec, exec, s[50:51]
	v_add_u32_e32 v2, 0xffffff81, v6
	v_mov_b32_e32 v6, 0xffffff82
	v_cndmask_b32_e32 v2, v2, v6, vcc
	v_lshrrev_b32_e32 v6, 23, v0
	v_add3_u32 v7, v7, v2, v6
	v_add_u32_e32 v6, 6, v7
	v_and_b32_e32 v1, 0xfffff, v1
	v_add_u32_e32 v52, v1, v0
	v_cmp_ne_u32_e32 vcc, 0, v6
                                        ; implicit-def: $vgpr0_vgpr1
                                        ; implicit-def: $vgpr2
	s_and_saveexec_b64 s[28:29], vcc
	s_xor_b64 s[28:29], exec, s[28:29]
; %bb.6065:                             ;   in Loop: Header=BB6_5679 Depth=3
	v_cmp_lt_u64_e32 vcc, s[88:89], v[52:53]
	v_add_u32_e32 v0, 7, v7
	v_cndmask_b32_e32 v2, v6, v0, vcc
	v_cndmask_b32_e64 v0, 0, 1, vcc
	v_lshrrev_b64 v[0:1], v0, v[52:53]
; %bb.6066:                             ;   in Loop: Header=BB6_5679 Depth=3
	s_andn2_saveexec_b64 s[28:29], s[28:29]
; %bb.6067:                             ;   in Loop: Header=BB6_5679 Depth=3
	v_mov_b32_e32 v0, v52
	v_bfe_u32 v2, v52, 23, 1
	v_mov_b32_e32 v1, v53
; %bb.6068:                             ;   in Loop: Header=BB6_5679 Depth=3
	s_or_b64 exec, exec, s[28:29]
	v_lshrrev_b64 v[0:1], 20, v[0:1]
	v_cmp_gt_i32_e32 vcc, 16, v2
	v_cndmask_b32_e32 v1, 0, v1, vcc
	v_cndmask_b32_e32 v0, 7, v0, vcc
	v_cmp_eq_u64_e64 s[28:29], 0, v[0:1]
	v_min_i32_e32 v1, 15, v2
	v_lshlrev_b32_e32 v1, 3, v1
	v_cmp_eq_u32_e32 vcc, 0, v2
	v_and_b32_e32 v1, 0xf8, v1
	v_and_or_b32 v0, v0, 7, v1
	s_and_b64 s[28:29], vcc, s[28:29]
	v_cndmask_b32_e64 v0, v0, 0, s[28:29]
	v_or_b32_e32 v37, v0, v3
.LBB6_6069:                             ;   in Loop: Header=BB6_5679 Depth=3
	s_or_b64 exec, exec, s[48:49]
                                        ; implicit-def: $vgpr3
.LBB6_6070:                             ;   in Loop: Header=BB6_5679 Depth=3
	s_andn2_saveexec_b64 s[28:29], s[38:39]
; %bb.6071:                             ;   in Loop: Header=BB6_5679 Depth=3
	v_or_b32_e32 v37, 0x7e, v3
; %bb.6072:                             ;   in Loop: Header=BB6_5679 Depth=3
	s_or_b64 exec, exec, s[28:29]
                                        ; implicit-def: $vgpr0
.LBB6_6073:                             ;   in Loop: Header=BB6_5679 Depth=3
	s_andn2_saveexec_b64 s[28:29], s[40:41]
; %bb.6074:                             ;   in Loop: Header=BB6_5679 Depth=3
	v_or_b32_sdwa v37, v0, s83 dst_sel:DWORD dst_unused:UNUSED_PAD src0_sel:BYTE_3 src1_sel:DWORD
; %bb.6075:                             ;   in Loop: Header=BB6_5679 Depth=3
	s_or_b64 exec, exec, s[28:29]
	v_lshrrev_b16_e32 v2, 8, v50
	v_lshrrev_b16_e32 v0, 8, v38
	v_cmp_ne_u16_e64 s[28:29], 0, v2
	s_mov_b64 s[40:41], -1
	s_and_b64 vcc, exec, s[46:47]
                                        ; implicit-def: $vgpr1
	s_cbranch_vccz .LBB6_6089
; %bb.6076:                             ;   in Loop: Header=BB6_5679 Depth=3
	v_mov_b32_e32 v3, 0
	v_mov_b32_e32 v1, 0
	s_and_saveexec_b64 s[40:41], s[28:29]
	s_cbranch_execz .LBB6_6082
; %bb.6077:                             ;   in Loop: Header=BB6_5679 Depth=3
	v_cmp_ne_u16_e32 vcc, s82, v2
	v_bfrev_b32_e32 v1, 1
	s_and_saveexec_b64 s[38:39], vcc
	s_cbranch_execz .LBB6_6081
; %bb.6078:                             ;   in Loop: Header=BB6_5679 Depth=3
	v_and_b32_e32 v6, 0x7f, v2
	v_cmp_ne_u32_e32 vcc, s83, v6
	v_mov_b32_e32 v1, 0x7f800001
	s_and_saveexec_b64 s[48:49], vcc
	s_cbranch_execz .LBB6_6080
; %bb.6079:                             ;   in Loop: Header=BB6_5679 Depth=3
	v_and_b32_e32 v1, 7, v2
	v_lshrrev_b32_e32 v31, 3, v6
	v_cmp_gt_u32_e32 vcc, 8, v6
	v_ffbh_u32_e32 v6, v1
	v_min_u32_e32 v36, 32, v6
	v_subrev_u32_e32 v6, 28, v36
	v_lshlrev_b64 v[6:7], v6, v[2:3]
	v_sub_u32_e32 v7, 29, v36
	v_and_b32_e32 v6, 7, v6
	v_cndmask_b32_e32 v7, v31, v7, vcc
	v_cndmask_b32_e32 v1, v1, v6, vcc
	v_lshlrev_b32_e32 v6, 16, v50
	v_bfrev_b32_e32 v31, 60
	v_lshlrev_b32_e32 v1, 20, v1
	v_and_b32_e32 v6, 0x80000000, v6
	v_lshl_add_u32 v7, v7, 23, v31
	v_or3_b32 v1, v6, v7, v1
.LBB6_6080:                             ;   in Loop: Header=BB6_5679 Depth=3
	s_or_b64 exec, exec, s[48:49]
.LBB6_6081:                             ;   in Loop: Header=BB6_5679 Depth=3
	s_or_b64 exec, exec, s[38:39]
.LBB6_6082:                             ;   in Loop: Header=BB6_5679 Depth=3
	s_or_b64 exec, exec, s[40:41]
	v_cmp_ne_u16_e32 vcc, 0, v0
	s_and_saveexec_b64 s[40:41], vcc
	s_cbranch_execz .LBB6_6088
; %bb.6083:                             ;   in Loop: Header=BB6_5679 Depth=3
	v_cmp_ne_u16_e32 vcc, s82, v0
	v_bfrev_b32_e32 v3, 1
	s_and_saveexec_b64 s[38:39], vcc
	s_cbranch_execz .LBB6_6087
; %bb.6084:                             ;   in Loop: Header=BB6_5679 Depth=3
	v_and_b32_e32 v6, 0x7f, v0
	v_cmp_ne_u32_e32 vcc, s83, v6
	v_mov_b32_e32 v3, 0x7f800001
	s_and_saveexec_b64 s[48:49], vcc
	s_cbranch_execz .LBB6_6086
; %bb.6085:                             ;   in Loop: Header=BB6_5679 Depth=3
	v_and_b32_e32 v3, 7, v0
	v_lshrrev_b32_e32 v31, 3, v6
	v_cmp_gt_u32_e32 vcc, 8, v6
	v_ffbh_u32_e32 v6, v3
	v_min_u32_e32 v36, 32, v6
	v_subrev_u32_e32 v6, 28, v36
	v_lshlrev_b64 v[6:7], v6, v[0:1]
	v_sub_u32_e32 v7, 29, v36
	v_and_b32_e32 v6, 7, v6
	v_cndmask_b32_e32 v7, v31, v7, vcc
	v_cndmask_b32_e32 v3, v3, v6, vcc
	v_lshlrev_b32_e32 v6, 16, v38
	v_bfrev_b32_e32 v31, 60
	v_lshlrev_b32_e32 v3, 20, v3
	v_and_b32_e32 v6, 0x80000000, v6
	v_lshl_add_u32 v7, v7, 23, v31
	v_or3_b32 v3, v6, v7, v3
.LBB6_6086:                             ;   in Loop: Header=BB6_5679 Depth=3
	s_or_b64 exec, exec, s[48:49]
.LBB6_6087:                             ;   in Loop: Header=BB6_5679 Depth=3
	s_or_b64 exec, exec, s[38:39]
.LBB6_6088:                             ;   in Loop: Header=BB6_5679 Depth=3
	s_or_b64 exec, exec, s[40:41]
	v_max_f32_e32 v3, v3, v3
	v_max_f32_e32 v1, v1, v1
	;; [unrolled: 1-line block ×3, first 2 shown]
	s_mov_b64 s[40:41], 0
.LBB6_6089:                             ;   in Loop: Header=BB6_5679 Depth=3
	s_and_b64 vcc, exec, s[40:41]
	s_cbranch_vccz .LBB6_6103
; %bb.6090:                             ;   in Loop: Header=BB6_5679 Depth=3
	v_mov_b32_e32 v3, 0
	v_mov_b32_e32 v1, 0
	s_and_saveexec_b64 s[40:41], s[28:29]
	s_cbranch_execz .LBB6_6096
; %bb.6091:                             ;   in Loop: Header=BB6_5679 Depth=3
	v_cmp_ne_u16_e32 vcc, s82, v2
	v_bfrev_b32_e32 v1, 1
	s_and_saveexec_b64 s[28:29], vcc
	s_cbranch_execz .LBB6_6095
; %bb.6092:                             ;   in Loop: Header=BB6_5679 Depth=3
	v_and_b32_e32 v6, 0x7f, v2
	v_cmp_ne_u32_e32 vcc, s83, v6
	v_mov_b32_e32 v1, 0x7f800001
	s_and_saveexec_b64 s[38:39], vcc
	s_cbranch_execz .LBB6_6094
; %bb.6093:                             ;   in Loop: Header=BB6_5679 Depth=3
	v_and_b32_e32 v7, 7, v2
	v_ffbh_u32_e32 v1, v7
	v_lshrrev_b32_e32 v31, 3, v6
	v_cmp_gt_u32_e32 vcc, 8, v6
	v_min_u32_e32 v6, 32, v1
	v_subrev_u32_e32 v1, 28, v6
	v_lshlrev_b64 v[1:2], v1, v[2:3]
	v_sub_u32_e32 v2, 29, v6
	v_and_b32_e32 v1, 7, v1
	v_cndmask_b32_e32 v2, v31, v2, vcc
	v_cndmask_b32_e32 v1, v7, v1, vcc
	v_lshlrev_b32_e32 v6, 16, v50
	v_bfrev_b32_e32 v7, 60
	v_lshlrev_b32_e32 v1, 20, v1
	v_and_b32_e32 v6, 0x80000000, v6
	v_lshl_add_u32 v2, v2, 23, v7
	v_or3_b32 v1, v6, v2, v1
.LBB6_6094:                             ;   in Loop: Header=BB6_5679 Depth=3
	s_or_b64 exec, exec, s[38:39]
.LBB6_6095:                             ;   in Loop: Header=BB6_5679 Depth=3
	s_or_b64 exec, exec, s[28:29]
.LBB6_6096:                             ;   in Loop: Header=BB6_5679 Depth=3
	s_or_b64 exec, exec, s[40:41]
	v_cmp_ne_u16_e32 vcc, 0, v0
	s_and_saveexec_b64 s[28:29], vcc
	s_cbranch_execz .LBB6_6102
; %bb.6097:                             ;   in Loop: Header=BB6_5679 Depth=3
	v_cmp_ne_u16_e32 vcc, s82, v0
	v_bfrev_b32_e32 v3, 1
	s_and_saveexec_b64 s[40:41], vcc
	s_cbranch_execz .LBB6_6101
; %bb.6098:                             ;   in Loop: Header=BB6_5679 Depth=3
	v_and_b32_e32 v2, 0x7f, v0
	v_cmp_ne_u32_e32 vcc, s83, v2
	v_mov_b32_e32 v3, 0x7f800001
	s_and_saveexec_b64 s[38:39], vcc
	s_cbranch_execz .LBB6_6100
; %bb.6099:                             ;   in Loop: Header=BB6_5679 Depth=3
	v_and_b32_e32 v6, 7, v0
	v_lshrrev_b32_e32 v7, 3, v2
	v_cmp_gt_u32_e32 vcc, 8, v2
	v_ffbh_u32_e32 v2, v6
	v_min_u32_e32 v31, 32, v2
	v_subrev_u32_e32 v2, 28, v31
	v_lshlrev_b64 v[2:3], v2, v[0:1]
	v_sub_u32_e32 v0, 29, v31
	v_and_b32_e32 v2, 7, v2
	v_cndmask_b32_e32 v0, v7, v0, vcc
	v_cndmask_b32_e32 v2, v6, v2, vcc
	v_lshlrev_b32_e32 v3, 16, v38
	v_bfrev_b32_e32 v6, 60
	v_lshlrev_b32_e32 v2, 20, v2
	v_and_b32_e32 v3, 0x80000000, v3
	v_lshl_add_u32 v0, v0, 23, v6
	v_or3_b32 v3, v3, v0, v2
.LBB6_6100:                             ;   in Loop: Header=BB6_5679 Depth=3
	s_or_b64 exec, exec, s[38:39]
.LBB6_6101:                             ;   in Loop: Header=BB6_5679 Depth=3
	s_or_b64 exec, exec, s[40:41]
.LBB6_6102:                             ;   in Loop: Header=BB6_5679 Depth=3
	s_or_b64 exec, exec, s[28:29]
	v_max_f32_e32 v0, v3, v3
	v_max_f32_e32 v1, v1, v1
	v_min_f32_e32 v1, v1, v0
.LBB6_6103:                             ;   in Loop: Header=BB6_5679 Depth=3
	v_and_b32_e32 v52, 0x7f800000, v1
	v_cmp_ne_u64_e32 vcc, s[76:77], v[52:53]
	buffer_store_dword v37, off, s[0:3], s33 offset:116 ; 4-byte Folded Spill
                                        ; implicit-def: $vgpr37
	s_and_saveexec_b64 s[28:29], vcc
	s_xor_b64 s[40:41], exec, s[28:29]
	s_cbranch_execz .LBB6_6117
; %bb.6104:                             ;   in Loop: Header=BB6_5679 Depth=3
	v_and_b32_e32 v52, 0x7fffffff, v1
	v_cmp_gt_u64_e32 vcc, s[78:79], v[52:53]
	v_and_b32_sdwa v3, v1, s82 dst_sel:DWORD dst_unused:UNUSED_PAD src0_sel:BYTE_3 src1_sel:DWORD
                                        ; implicit-def: $vgpr37
	s_and_saveexec_b64 s[28:29], vcc
	s_xor_b64 s[38:39], exec, s[28:29]
	s_cbranch_execz .LBB6_6114
; %bb.6105:                             ;   in Loop: Header=BB6_5679 Depth=3
	v_mov_b32_e32 v37, 0
	v_cmp_ne_u32_e32 vcc, 0, v1
	s_and_saveexec_b64 s[48:49], vcc
	s_cbranch_execz .LBB6_6113
; %bb.6106:                             ;   in Loop: Header=BB6_5679 Depth=3
	v_bfe_u32 v6, v1, 23, 8
	v_and_b32_e32 v0, 0x7fffff, v1
	v_cmp_gt_u32_e64 s[28:29], s85, v6
	v_sub_u32_e32 v1, 0x79, v6
	v_cmp_eq_u32_e32 vcc, 0, v6
	v_cndmask_b32_e64 v1, 0, v1, s[28:29]
	v_mov_b32_e32 v7, 0x78
	v_or_b32_e32 v2, 0x800000, v0
	v_cndmask_b32_e32 v7, v1, v7, vcc
	v_cndmask_b32_e32 v52, v2, v0, vcc
	v_add_u32_e32 v0, 20, v7
	v_lshlrev_b64 v[0:1], v0, -1
	v_add_u32_e32 v2, 19, v7
	v_lshlrev_b64 v[36:37], v2, 1
	v_bfi_b32 v1, v1, 0, 0
	v_bfi_b32 v0, v0, 0, v52
	v_cmp_eq_u64_e64 s[28:29], v[0:1], v[36:37]
	v_lshrrev_b64 v[0:1], v7, v[52:53]
	v_mov_b32_e32 v2, v1
	v_mov_b32_e32 v1, v0
	s_and_saveexec_b64 s[50:51], s[28:29]
; %bb.6107:                             ;   in Loop: Header=BB6_5679 Depth=3
	v_bfe_u32 v1, v0, 20, 1
	v_add_co_u32_e64 v1, s[28:29], v0, v1
	v_add_co_u32_e64 v1, s[28:29], -1, v1
; %bb.6108:                             ;   in Loop: Header=BB6_5679 Depth=3
	s_or_b64 exec, exec, s[50:51]
	v_add_u32_e32 v2, 0xffffff81, v6
	v_mov_b32_e32 v6, 0xffffff82
	v_cndmask_b32_e32 v2, v2, v6, vcc
	v_lshrrev_b32_e32 v6, 23, v0
	v_add3_u32 v7, v7, v2, v6
	v_add_u32_e32 v6, 6, v7
	v_and_b32_e32 v1, 0xfffff, v1
	v_add_u32_e32 v52, v1, v0
	v_cmp_ne_u32_e32 vcc, 0, v6
                                        ; implicit-def: $vgpr0_vgpr1
                                        ; implicit-def: $vgpr2
	s_and_saveexec_b64 s[28:29], vcc
	s_xor_b64 s[28:29], exec, s[28:29]
; %bb.6109:                             ;   in Loop: Header=BB6_5679 Depth=3
	v_cmp_lt_u64_e32 vcc, s[88:89], v[52:53]
	v_add_u32_e32 v0, 7, v7
	v_cndmask_b32_e32 v2, v6, v0, vcc
	v_cndmask_b32_e64 v0, 0, 1, vcc
	v_lshrrev_b64 v[0:1], v0, v[52:53]
; %bb.6110:                             ;   in Loop: Header=BB6_5679 Depth=3
	s_andn2_saveexec_b64 s[28:29], s[28:29]
; %bb.6111:                             ;   in Loop: Header=BB6_5679 Depth=3
	v_mov_b32_e32 v0, v52
	v_bfe_u32 v2, v52, 23, 1
	v_mov_b32_e32 v1, v53
; %bb.6112:                             ;   in Loop: Header=BB6_5679 Depth=3
	s_or_b64 exec, exec, s[28:29]
	v_lshrrev_b64 v[0:1], 20, v[0:1]
	v_cmp_gt_i32_e32 vcc, 16, v2
	v_cndmask_b32_e32 v1, 0, v1, vcc
	v_cndmask_b32_e32 v0, 7, v0, vcc
	v_cmp_eq_u64_e64 s[28:29], 0, v[0:1]
	v_min_i32_e32 v1, 15, v2
	v_lshlrev_b32_e32 v1, 3, v1
	v_cmp_eq_u32_e32 vcc, 0, v2
	v_and_b32_e32 v1, 0xf8, v1
	v_and_or_b32 v0, v0, 7, v1
	s_and_b64 s[28:29], vcc, s[28:29]
	v_cndmask_b32_e64 v0, v0, 0, s[28:29]
	v_or_b32_e32 v37, v0, v3
.LBB6_6113:                             ;   in Loop: Header=BB6_5679 Depth=3
	s_or_b64 exec, exec, s[48:49]
                                        ; implicit-def: $vgpr3
.LBB6_6114:                             ;   in Loop: Header=BB6_5679 Depth=3
	s_andn2_saveexec_b64 s[28:29], s[38:39]
; %bb.6115:                             ;   in Loop: Header=BB6_5679 Depth=3
	v_or_b32_e32 v37, 0x7e, v3
; %bb.6116:                             ;   in Loop: Header=BB6_5679 Depth=3
	s_or_b64 exec, exec, s[28:29]
                                        ; implicit-def: $vgpr1
.LBB6_6117:                             ;   in Loop: Header=BB6_5679 Depth=3
	s_andn2_saveexec_b64 s[28:29], s[40:41]
; %bb.6118:                             ;   in Loop: Header=BB6_5679 Depth=3
	v_or_b32_sdwa v37, v1, s83 dst_sel:DWORD dst_unused:UNUSED_PAD src0_sel:BYTE_3 src1_sel:DWORD
; %bb.6119:                             ;   in Loop: Header=BB6_5679 Depth=3
	s_or_b64 exec, exec, s[28:29]
	v_lshrrev_b32_e32 v2, 16, v50
	v_lshrrev_b32_e32 v0, 16, v38
	v_cmp_ne_u16_sdwa s[28:29], v2, v53 src0_sel:BYTE_0 src1_sel:DWORD
	s_mov_b64 s[40:41], -1
	s_and_b64 vcc, exec, s[46:47]
                                        ; implicit-def: $vgpr1
	s_cbranch_vccz .LBB6_6133
; %bb.6120:                             ;   in Loop: Header=BB6_5679 Depth=3
	v_mov_b32_e32 v3, 0
	v_mov_b32_e32 v1, 0
	s_and_saveexec_b64 s[40:41], s[28:29]
	s_cbranch_execz .LBB6_6126
; %bb.6121:                             ;   in Loop: Header=BB6_5679 Depth=3
	v_cmp_ne_u16_sdwa vcc, v2, s82 src0_sel:BYTE_0 src1_sel:DWORD
	v_bfrev_b32_e32 v1, 1
	s_and_saveexec_b64 s[38:39], vcc
	s_cbranch_execz .LBB6_6125
; %bb.6122:                             ;   in Loop: Header=BB6_5679 Depth=3
	v_bfe_u32 v6, v50, 16, 7
	v_cmp_ne_u32_e32 vcc, s83, v6
	v_mov_b32_e32 v1, 0x7f800001
	s_and_saveexec_b64 s[48:49], vcc
	s_cbranch_execz .LBB6_6124
; %bb.6123:                             ;   in Loop: Header=BB6_5679 Depth=3
	v_and_b32_e32 v1, 7, v2
	v_lshrrev_b32_e32 v31, 3, v6
	v_cmp_gt_u32_e32 vcc, 8, v6
	v_ffbh_u32_e32 v6, v1
	v_min_u32_e32 v36, 32, v6
	v_subrev_u32_e32 v6, 28, v36
	v_lshlrev_b64 v[6:7], v6, v[2:3]
	v_sub_u32_e32 v7, 29, v36
	v_and_b32_e32 v6, 7, v6
	v_cndmask_b32_e32 v7, v31, v7, vcc
	v_cndmask_b32_e32 v1, v1, v6, vcc
	v_lshlrev_b32_e32 v6, 24, v2
	v_bfrev_b32_e32 v31, 60
	v_lshlrev_b32_e32 v1, 20, v1
	v_and_b32_e32 v6, 0x80000000, v6
	v_lshl_add_u32 v7, v7, 23, v31
	v_or3_b32 v1, v6, v7, v1
.LBB6_6124:                             ;   in Loop: Header=BB6_5679 Depth=3
	s_or_b64 exec, exec, s[48:49]
.LBB6_6125:                             ;   in Loop: Header=BB6_5679 Depth=3
	s_or_b64 exec, exec, s[38:39]
.LBB6_6126:                             ;   in Loop: Header=BB6_5679 Depth=3
	s_or_b64 exec, exec, s[40:41]
	v_cmp_ne_u16_sdwa vcc, v0, v53 src0_sel:BYTE_0 src1_sel:DWORD
	s_and_saveexec_b64 s[40:41], vcc
	s_cbranch_execz .LBB6_6132
; %bb.6127:                             ;   in Loop: Header=BB6_5679 Depth=3
	v_cmp_ne_u16_sdwa vcc, v0, s82 src0_sel:BYTE_0 src1_sel:DWORD
	v_bfrev_b32_e32 v3, 1
	s_and_saveexec_b64 s[38:39], vcc
	s_cbranch_execz .LBB6_6131
; %bb.6128:                             ;   in Loop: Header=BB6_5679 Depth=3
	v_bfe_u32 v6, v38, 16, 7
	v_cmp_ne_u32_e32 vcc, s83, v6
	v_mov_b32_e32 v3, 0x7f800001
	s_and_saveexec_b64 s[48:49], vcc
	s_cbranch_execz .LBB6_6130
; %bb.6129:                             ;   in Loop: Header=BB6_5679 Depth=3
	v_and_b32_e32 v3, 7, v0
	v_lshrrev_b32_e32 v31, 3, v6
	v_cmp_gt_u32_e32 vcc, 8, v6
	v_ffbh_u32_e32 v6, v3
	v_min_u32_e32 v36, 32, v6
	v_subrev_u32_e32 v6, 28, v36
	v_lshlrev_b64 v[6:7], v6, v[0:1]
	v_sub_u32_e32 v7, 29, v36
	v_and_b32_e32 v6, 7, v6
	v_cndmask_b32_e32 v7, v31, v7, vcc
	v_cndmask_b32_e32 v3, v3, v6, vcc
	v_lshlrev_b32_e32 v6, 24, v0
	v_bfrev_b32_e32 v31, 60
	v_lshlrev_b32_e32 v3, 20, v3
	v_and_b32_e32 v6, 0x80000000, v6
	v_lshl_add_u32 v7, v7, 23, v31
	v_or3_b32 v3, v6, v7, v3
.LBB6_6130:                             ;   in Loop: Header=BB6_5679 Depth=3
	s_or_b64 exec, exec, s[48:49]
.LBB6_6131:                             ;   in Loop: Header=BB6_5679 Depth=3
	s_or_b64 exec, exec, s[38:39]
.LBB6_6132:                             ;   in Loop: Header=BB6_5679 Depth=3
	s_or_b64 exec, exec, s[40:41]
	v_max_f32_e32 v3, v3, v3
	v_max_f32_e32 v1, v1, v1
	;; [unrolled: 1-line block ×3, first 2 shown]
	s_mov_b64 s[40:41], 0
.LBB6_6133:                             ;   in Loop: Header=BB6_5679 Depth=3
	s_and_b64 vcc, exec, s[40:41]
	s_cbranch_vccz .LBB6_6147
; %bb.6134:                             ;   in Loop: Header=BB6_5679 Depth=3
	v_mov_b32_e32 v3, 0
	v_mov_b32_e32 v1, 0
	s_and_saveexec_b64 s[40:41], s[28:29]
	s_cbranch_execz .LBB6_6140
; %bb.6135:                             ;   in Loop: Header=BB6_5679 Depth=3
	v_cmp_ne_u16_sdwa vcc, v2, s82 src0_sel:BYTE_0 src1_sel:DWORD
	v_bfrev_b32_e32 v1, 1
	s_and_saveexec_b64 s[28:29], vcc
	s_cbranch_execz .LBB6_6139
; %bb.6136:                             ;   in Loop: Header=BB6_5679 Depth=3
	v_bfe_u32 v6, v50, 16, 7
	v_cmp_ne_u32_e32 vcc, s83, v6
	v_mov_b32_e32 v1, 0x7f800001
	s_and_saveexec_b64 s[38:39], vcc
	s_cbranch_execz .LBB6_6138
; %bb.6137:                             ;   in Loop: Header=BB6_5679 Depth=3
	v_and_b32_e32 v1, 7, v2
	v_lshrrev_b32_e32 v31, 3, v6
	v_cmp_gt_u32_e32 vcc, 8, v6
	v_ffbh_u32_e32 v6, v1
	v_min_u32_e32 v36, 32, v6
	v_subrev_u32_e32 v6, 28, v36
	v_lshlrev_b64 v[6:7], v6, v[2:3]
	v_sub_u32_e32 v7, 29, v36
	v_and_b32_e32 v6, 7, v6
	v_cndmask_b32_e32 v7, v31, v7, vcc
	v_cndmask_b32_e32 v1, v1, v6, vcc
	v_lshlrev_b32_e32 v2, 24, v2
	v_bfrev_b32_e32 v6, 60
	v_lshlrev_b32_e32 v1, 20, v1
	v_and_b32_e32 v2, 0x80000000, v2
	v_lshl_add_u32 v6, v7, 23, v6
	v_or3_b32 v1, v2, v6, v1
.LBB6_6138:                             ;   in Loop: Header=BB6_5679 Depth=3
	s_or_b64 exec, exec, s[38:39]
.LBB6_6139:                             ;   in Loop: Header=BB6_5679 Depth=3
	s_or_b64 exec, exec, s[28:29]
.LBB6_6140:                             ;   in Loop: Header=BB6_5679 Depth=3
	s_or_b64 exec, exec, s[40:41]
	v_cmp_ne_u16_sdwa s[40:41], v0, v53 src0_sel:BYTE_0 src1_sel:DWORD
	s_and_saveexec_b64 s[28:29], s[40:41]
	s_cbranch_execz .LBB6_6146
; %bb.6141:                             ;   in Loop: Header=BB6_5679 Depth=3
	v_cmp_ne_u16_sdwa vcc, v0, s82 src0_sel:BYTE_0 src1_sel:DWORD
	v_bfrev_b32_e32 v3, 1
	s_and_saveexec_b64 s[40:41], vcc
	s_cbranch_execz .LBB6_6145
; %bb.6142:                             ;   in Loop: Header=BB6_5679 Depth=3
	v_bfe_u32 v2, v38, 16, 7
	v_cmp_ne_u32_e32 vcc, s83, v2
	v_mov_b32_e32 v3, 0x7f800001
	s_and_saveexec_b64 s[38:39], vcc
	s_cbranch_execz .LBB6_6144
; %bb.6143:                             ;   in Loop: Header=BB6_5679 Depth=3
	v_and_b32_e32 v6, 7, v0
	v_lshrrev_b32_e32 v7, 3, v2
	v_cmp_gt_u32_e32 vcc, 8, v2
	v_ffbh_u32_e32 v2, v6
	v_min_u32_e32 v31, 32, v2
	v_subrev_u32_e32 v2, 28, v31
	v_lshlrev_b64 v[2:3], v2, v[0:1]
	v_sub_u32_e32 v3, 29, v31
	v_and_b32_e32 v2, 7, v2
	v_cndmask_b32_e32 v3, v7, v3, vcc
	v_cndmask_b32_e32 v2, v6, v2, vcc
	v_lshlrev_b32_e32 v0, 24, v0
	v_bfrev_b32_e32 v6, 60
	v_lshlrev_b32_e32 v2, 20, v2
	v_and_b32_e32 v0, 0x80000000, v0
	v_lshl_add_u32 v3, v3, 23, v6
	v_or3_b32 v3, v0, v3, v2
.LBB6_6144:                             ;   in Loop: Header=BB6_5679 Depth=3
	s_or_b64 exec, exec, s[38:39]
.LBB6_6145:                             ;   in Loop: Header=BB6_5679 Depth=3
	s_or_b64 exec, exec, s[40:41]
.LBB6_6146:                             ;   in Loop: Header=BB6_5679 Depth=3
	s_or_b64 exec, exec, s[28:29]
	v_max_f32_e32 v0, v3, v3
	v_max_f32_e32 v1, v1, v1
	v_min_f32_e32 v1, v1, v0
.LBB6_6147:                             ;   in Loop: Header=BB6_5679 Depth=3
	v_and_b32_e32 v52, 0x7f800000, v1
	v_cmp_ne_u64_e32 vcc, s[76:77], v[52:53]
	buffer_store_dword v37, off, s[0:3], s33 offset:120 ; 4-byte Folded Spill
                                        ; implicit-def: $vgpr37
	s_and_saveexec_b64 s[28:29], vcc
	s_xor_b64 s[40:41], exec, s[28:29]
	s_cbranch_execz .LBB6_6161
; %bb.6148:                             ;   in Loop: Header=BB6_5679 Depth=3
	v_and_b32_e32 v52, 0x7fffffff, v1
	v_cmp_gt_u64_e32 vcc, s[78:79], v[52:53]
	v_and_b32_sdwa v3, v1, s82 dst_sel:DWORD dst_unused:UNUSED_PAD src0_sel:BYTE_3 src1_sel:DWORD
                                        ; implicit-def: $vgpr37
	s_and_saveexec_b64 s[28:29], vcc
	s_xor_b64 s[38:39], exec, s[28:29]
	s_cbranch_execz .LBB6_6158
; %bb.6149:                             ;   in Loop: Header=BB6_5679 Depth=3
	v_mov_b32_e32 v37, 0
	v_cmp_ne_u32_e32 vcc, 0, v1
	s_and_saveexec_b64 s[48:49], vcc
	s_cbranch_execz .LBB6_6157
; %bb.6150:                             ;   in Loop: Header=BB6_5679 Depth=3
	v_bfe_u32 v6, v1, 23, 8
	v_and_b32_e32 v0, 0x7fffff, v1
	v_cmp_gt_u32_e64 s[28:29], s85, v6
	v_sub_u32_e32 v1, 0x79, v6
	v_cmp_eq_u32_e32 vcc, 0, v6
	v_cndmask_b32_e64 v1, 0, v1, s[28:29]
	v_mov_b32_e32 v7, 0x78
	v_or_b32_e32 v2, 0x800000, v0
	v_cndmask_b32_e32 v7, v1, v7, vcc
	v_cndmask_b32_e32 v52, v2, v0, vcc
	v_add_u32_e32 v0, 20, v7
	v_lshlrev_b64 v[0:1], v0, -1
	v_add_u32_e32 v2, 19, v7
	v_lshlrev_b64 v[36:37], v2, 1
	v_bfi_b32 v1, v1, 0, 0
	v_bfi_b32 v0, v0, 0, v52
	v_cmp_eq_u64_e64 s[28:29], v[0:1], v[36:37]
	v_lshrrev_b64 v[0:1], v7, v[52:53]
	v_mov_b32_e32 v2, v1
	v_mov_b32_e32 v1, v0
	s_and_saveexec_b64 s[50:51], s[28:29]
; %bb.6151:                             ;   in Loop: Header=BB6_5679 Depth=3
	v_bfe_u32 v1, v0, 20, 1
	v_add_co_u32_e64 v1, s[28:29], v0, v1
	v_add_co_u32_e64 v1, s[28:29], -1, v1
; %bb.6152:                             ;   in Loop: Header=BB6_5679 Depth=3
	s_or_b64 exec, exec, s[50:51]
	v_add_u32_e32 v2, 0xffffff81, v6
	v_mov_b32_e32 v6, 0xffffff82
	v_cndmask_b32_e32 v2, v2, v6, vcc
	v_lshrrev_b32_e32 v6, 23, v0
	v_add3_u32 v7, v7, v2, v6
	v_add_u32_e32 v6, 6, v7
	v_and_b32_e32 v1, 0xfffff, v1
	v_add_u32_e32 v52, v1, v0
	v_cmp_ne_u32_e32 vcc, 0, v6
                                        ; implicit-def: $vgpr0_vgpr1
                                        ; implicit-def: $vgpr2
	s_and_saveexec_b64 s[28:29], vcc
	s_xor_b64 s[28:29], exec, s[28:29]
; %bb.6153:                             ;   in Loop: Header=BB6_5679 Depth=3
	v_cmp_lt_u64_e32 vcc, s[88:89], v[52:53]
	v_add_u32_e32 v0, 7, v7
	v_cndmask_b32_e32 v2, v6, v0, vcc
	v_cndmask_b32_e64 v0, 0, 1, vcc
	v_lshrrev_b64 v[0:1], v0, v[52:53]
; %bb.6154:                             ;   in Loop: Header=BB6_5679 Depth=3
	s_andn2_saveexec_b64 s[28:29], s[28:29]
; %bb.6155:                             ;   in Loop: Header=BB6_5679 Depth=3
	v_mov_b32_e32 v0, v52
	v_bfe_u32 v2, v52, 23, 1
	v_mov_b32_e32 v1, v53
; %bb.6156:                             ;   in Loop: Header=BB6_5679 Depth=3
	s_or_b64 exec, exec, s[28:29]
	v_lshrrev_b64 v[0:1], 20, v[0:1]
	v_cmp_gt_i32_e32 vcc, 16, v2
	v_cndmask_b32_e32 v1, 0, v1, vcc
	v_cndmask_b32_e32 v0, 7, v0, vcc
	v_cmp_eq_u64_e64 s[28:29], 0, v[0:1]
	v_min_i32_e32 v1, 15, v2
	v_lshlrev_b32_e32 v1, 3, v1
	v_cmp_eq_u32_e32 vcc, 0, v2
	v_and_b32_e32 v1, 0xf8, v1
	v_and_or_b32 v0, v0, 7, v1
	s_and_b64 s[28:29], vcc, s[28:29]
	v_cndmask_b32_e64 v0, v0, 0, s[28:29]
	v_or_b32_e32 v37, v0, v3
.LBB6_6157:                             ;   in Loop: Header=BB6_5679 Depth=3
	s_or_b64 exec, exec, s[48:49]
                                        ; implicit-def: $vgpr3
.LBB6_6158:                             ;   in Loop: Header=BB6_5679 Depth=3
	s_andn2_saveexec_b64 s[28:29], s[38:39]
; %bb.6159:                             ;   in Loop: Header=BB6_5679 Depth=3
	v_or_b32_e32 v37, 0x7e, v3
; %bb.6160:                             ;   in Loop: Header=BB6_5679 Depth=3
	s_or_b64 exec, exec, s[28:29]
                                        ; implicit-def: $vgpr1
.LBB6_6161:                             ;   in Loop: Header=BB6_5679 Depth=3
	s_andn2_saveexec_b64 s[28:29], s[40:41]
; %bb.6162:                             ;   in Loop: Header=BB6_5679 Depth=3
	v_or_b32_sdwa v37, v1, s83 dst_sel:DWORD dst_unused:UNUSED_PAD src0_sel:BYTE_3 src1_sel:DWORD
; %bb.6163:                             ;   in Loop: Header=BB6_5679 Depth=3
	s_or_b64 exec, exec, s[28:29]
	v_lshrrev_b32_e32 v2, 24, v50
	v_lshrrev_b32_e32 v0, 24, v38
	v_cmp_lt_u32_e64 s[28:29], s63, v50
	s_mov_b64 s[40:41], -1
	s_and_b64 vcc, exec, s[46:47]
                                        ; implicit-def: $vgpr1
	s_cbranch_vccz .LBB6_6177
; %bb.6164:                             ;   in Loop: Header=BB6_5679 Depth=3
	v_mov_b32_e32 v3, 0
	v_mov_b32_e32 v1, 0
	s_and_saveexec_b64 s[40:41], s[28:29]
	s_cbranch_execz .LBB6_6170
; %bb.6165:                             ;   in Loop: Header=BB6_5679 Depth=3
	v_cmp_ne_u32_e32 vcc, s82, v2
	v_bfrev_b32_e32 v1, 1
	s_and_saveexec_b64 s[38:39], vcc
	s_cbranch_execz .LBB6_6169
; %bb.6166:                             ;   in Loop: Header=BB6_5679 Depth=3
	v_bfe_u32 v6, v50, 24, 7
	v_cmp_ne_u32_e32 vcc, s83, v6
	v_mov_b32_e32 v1, 0x7f800001
	s_and_saveexec_b64 s[48:49], vcc
	s_cbranch_execz .LBB6_6168
; %bb.6167:                             ;   in Loop: Header=BB6_5679 Depth=3
	v_and_b32_e32 v1, 7, v2
	v_lshrrev_b32_e32 v31, 3, v6
	v_cmp_gt_u32_e32 vcc, 8, v6
	v_ffbh_u32_e32 v6, v1
	v_min_u32_e32 v36, 32, v6
	v_subrev_u32_e32 v6, 28, v36
	v_lshlrev_b64 v[6:7], v6, v[2:3]
	v_sub_u32_e32 v7, 29, v36
	v_and_b32_e32 v6, 7, v6
	v_cndmask_b32_e32 v7, v31, v7, vcc
	v_cndmask_b32_e32 v1, v1, v6, vcc
	v_lshlrev_b32_e32 v6, 24, v2
	v_bfrev_b32_e32 v31, 60
	v_lshlrev_b32_e32 v1, 20, v1
	v_and_b32_e32 v6, 0x80000000, v6
	v_lshl_add_u32 v7, v7, 23, v31
	v_or3_b32 v1, v6, v7, v1
.LBB6_6168:                             ;   in Loop: Header=BB6_5679 Depth=3
	s_or_b64 exec, exec, s[48:49]
.LBB6_6169:                             ;   in Loop: Header=BB6_5679 Depth=3
	s_or_b64 exec, exec, s[38:39]
.LBB6_6170:                             ;   in Loop: Header=BB6_5679 Depth=3
	s_or_b64 exec, exec, s[40:41]
	v_cmp_lt_u32_e32 vcc, s63, v38
	s_and_saveexec_b64 s[40:41], vcc
	s_cbranch_execz .LBB6_6176
; %bb.6171:                             ;   in Loop: Header=BB6_5679 Depth=3
	v_cmp_ne_u32_e32 vcc, s82, v0
	v_bfrev_b32_e32 v3, 1
	s_and_saveexec_b64 s[38:39], vcc
	s_cbranch_execz .LBB6_6175
; %bb.6172:                             ;   in Loop: Header=BB6_5679 Depth=3
	v_bfe_u32 v6, v38, 24, 7
	v_cmp_ne_u32_e32 vcc, s83, v6
	v_mov_b32_e32 v3, 0x7f800001
	s_and_saveexec_b64 s[48:49], vcc
	s_cbranch_execz .LBB6_6174
; %bb.6173:                             ;   in Loop: Header=BB6_5679 Depth=3
	v_and_b32_e32 v3, 7, v0
	v_lshrrev_b32_e32 v31, 3, v6
	v_cmp_gt_u32_e32 vcc, 8, v6
	v_ffbh_u32_e32 v6, v3
	v_min_u32_e32 v36, 32, v6
	v_subrev_u32_e32 v6, 28, v36
	v_lshlrev_b64 v[6:7], v6, v[0:1]
	v_sub_u32_e32 v7, 29, v36
	v_and_b32_e32 v6, 7, v6
	v_cndmask_b32_e32 v7, v31, v7, vcc
	v_cndmask_b32_e32 v3, v3, v6, vcc
	v_lshlrev_b32_e32 v6, 24, v0
	v_bfrev_b32_e32 v31, 60
	v_lshlrev_b32_e32 v3, 20, v3
	v_and_b32_e32 v6, 0x80000000, v6
	v_lshl_add_u32 v7, v7, 23, v31
	v_or3_b32 v3, v6, v7, v3
.LBB6_6174:                             ;   in Loop: Header=BB6_5679 Depth=3
	s_or_b64 exec, exec, s[48:49]
.LBB6_6175:                             ;   in Loop: Header=BB6_5679 Depth=3
	s_or_b64 exec, exec, s[38:39]
.LBB6_6176:                             ;   in Loop: Header=BB6_5679 Depth=3
	s_or_b64 exec, exec, s[40:41]
	v_max_f32_e32 v3, v3, v3
	v_max_f32_e32 v1, v1, v1
	;; [unrolled: 1-line block ×3, first 2 shown]
	s_mov_b64 s[40:41], 0
.LBB6_6177:                             ;   in Loop: Header=BB6_5679 Depth=3
	s_and_b64 vcc, exec, s[40:41]
	s_cbranch_vccz .LBB6_6191
; %bb.6178:                             ;   in Loop: Header=BB6_5679 Depth=3
	v_mov_b32_e32 v3, 0
	v_mov_b32_e32 v1, 0
	s_and_saveexec_b64 s[40:41], s[28:29]
	s_cbranch_execz .LBB6_6184
; %bb.6179:                             ;   in Loop: Header=BB6_5679 Depth=3
	v_cmp_ne_u32_e32 vcc, s82, v2
	v_bfrev_b32_e32 v1, 1
	s_and_saveexec_b64 s[28:29], vcc
	s_cbranch_execz .LBB6_6183
; %bb.6180:                             ;   in Loop: Header=BB6_5679 Depth=3
	v_bfe_u32 v6, v50, 24, 7
	v_cmp_ne_u32_e32 vcc, s83, v6
	v_mov_b32_e32 v1, 0x7f800001
	s_and_saveexec_b64 s[38:39], vcc
	s_cbranch_execz .LBB6_6182
; %bb.6181:                             ;   in Loop: Header=BB6_5679 Depth=3
	v_and_b32_e32 v1, 7, v2
	v_lshrrev_b32_e32 v31, 3, v6
	v_cmp_gt_u32_e32 vcc, 8, v6
	v_ffbh_u32_e32 v6, v1
	v_min_u32_e32 v36, 32, v6
	v_subrev_u32_e32 v6, 28, v36
	v_lshlrev_b64 v[6:7], v6, v[2:3]
	v_sub_u32_e32 v7, 29, v36
	v_and_b32_e32 v6, 7, v6
	v_cndmask_b32_e32 v7, v31, v7, vcc
	v_cndmask_b32_e32 v1, v1, v6, vcc
	v_lshlrev_b32_e32 v2, 24, v2
	v_bfrev_b32_e32 v6, 60
	v_lshlrev_b32_e32 v1, 20, v1
	v_and_b32_e32 v2, 0x80000000, v2
	v_lshl_add_u32 v6, v7, 23, v6
	v_or3_b32 v1, v2, v6, v1
.LBB6_6182:                             ;   in Loop: Header=BB6_5679 Depth=3
	s_or_b64 exec, exec, s[38:39]
.LBB6_6183:                             ;   in Loop: Header=BB6_5679 Depth=3
	s_or_b64 exec, exec, s[28:29]
.LBB6_6184:                             ;   in Loop: Header=BB6_5679 Depth=3
	s_or_b64 exec, exec, s[40:41]
	v_cmp_lt_u32_e32 vcc, s63, v38
	s_and_saveexec_b64 s[28:29], vcc
	s_cbranch_execz .LBB6_6190
; %bb.6185:                             ;   in Loop: Header=BB6_5679 Depth=3
	v_cmp_ne_u32_e32 vcc, s82, v0
	v_bfrev_b32_e32 v3, 1
	s_and_saveexec_b64 s[40:41], vcc
	s_cbranch_execz .LBB6_6189
; %bb.6186:                             ;   in Loop: Header=BB6_5679 Depth=3
	v_bfe_u32 v2, v38, 24, 7
	v_cmp_ne_u32_e32 vcc, s83, v2
	v_mov_b32_e32 v3, 0x7f800001
	s_and_saveexec_b64 s[38:39], vcc
	s_cbranch_execz .LBB6_6188
; %bb.6187:                             ;   in Loop: Header=BB6_5679 Depth=3
	v_and_b32_e32 v6, 7, v0
	v_lshrrev_b32_e32 v7, 3, v2
	v_cmp_gt_u32_e32 vcc, 8, v2
	v_ffbh_u32_e32 v2, v6
	v_min_u32_e32 v31, 32, v2
	v_subrev_u32_e32 v2, 28, v31
	v_lshlrev_b64 v[2:3], v2, v[0:1]
	v_sub_u32_e32 v3, 29, v31
	v_and_b32_e32 v2, 7, v2
	v_cndmask_b32_e32 v3, v7, v3, vcc
	v_cndmask_b32_e32 v2, v6, v2, vcc
	v_lshlrev_b32_e32 v0, 24, v0
	v_bfrev_b32_e32 v6, 60
	v_lshlrev_b32_e32 v2, 20, v2
	v_and_b32_e32 v0, 0x80000000, v0
	v_lshl_add_u32 v3, v3, 23, v6
	v_or3_b32 v3, v0, v3, v2
.LBB6_6188:                             ;   in Loop: Header=BB6_5679 Depth=3
	s_or_b64 exec, exec, s[38:39]
.LBB6_6189:                             ;   in Loop: Header=BB6_5679 Depth=3
	s_or_b64 exec, exec, s[40:41]
.LBB6_6190:                             ;   in Loop: Header=BB6_5679 Depth=3
	s_or_b64 exec, exec, s[28:29]
	v_max_f32_e32 v0, v3, v3
	v_max_f32_e32 v1, v1, v1
	v_min_f32_e32 v1, v1, v0
.LBB6_6191:                             ;   in Loop: Header=BB6_5679 Depth=3
	v_and_b32_e32 v52, 0x7f800000, v1
	v_cmp_ne_u64_e32 vcc, s[76:77], v[52:53]
	buffer_store_dword v37, off, s[0:3], s33 offset:124 ; 4-byte Folded Spill
                                        ; implicit-def: $vgpr54
	s_and_saveexec_b64 s[28:29], vcc
	s_xor_b64 s[40:41], exec, s[28:29]
	s_cbranch_execz .LBB6_6205
; %bb.6192:                             ;   in Loop: Header=BB6_5679 Depth=3
	v_and_b32_e32 v52, 0x7fffffff, v1
	v_cmp_gt_u64_e32 vcc, s[78:79], v[52:53]
	v_and_b32_sdwa v3, v1, s82 dst_sel:DWORD dst_unused:UNUSED_PAD src0_sel:BYTE_3 src1_sel:DWORD
                                        ; implicit-def: $vgpr54
	s_and_saveexec_b64 s[28:29], vcc
	s_xor_b64 s[38:39], exec, s[28:29]
	s_cbranch_execz .LBB6_6202
; %bb.6193:                             ;   in Loop: Header=BB6_5679 Depth=3
	v_mov_b32_e32 v54, 0
	v_cmp_ne_u32_e32 vcc, 0, v1
	s_and_saveexec_b64 s[48:49], vcc
	s_cbranch_execz .LBB6_6201
; %bb.6194:                             ;   in Loop: Header=BB6_5679 Depth=3
	v_bfe_u32 v6, v1, 23, 8
	v_and_b32_e32 v0, 0x7fffff, v1
	v_cmp_gt_u32_e64 s[28:29], s85, v6
	v_sub_u32_e32 v1, 0x79, v6
	v_cmp_eq_u32_e32 vcc, 0, v6
	v_cndmask_b32_e64 v1, 0, v1, s[28:29]
	v_mov_b32_e32 v7, 0x78
	v_or_b32_e32 v2, 0x800000, v0
	v_cndmask_b32_e32 v7, v1, v7, vcc
	v_cndmask_b32_e32 v52, v2, v0, vcc
	v_add_u32_e32 v0, 20, v7
	v_lshlrev_b64 v[0:1], v0, -1
	v_add_u32_e32 v2, 19, v7
	v_lshlrev_b64 v[36:37], v2, 1
	v_bfi_b32 v1, v1, 0, 0
	v_bfi_b32 v0, v0, 0, v52
	v_cmp_eq_u64_e64 s[28:29], v[0:1], v[36:37]
	v_lshrrev_b64 v[0:1], v7, v[52:53]
	v_mov_b32_e32 v2, v1
	v_mov_b32_e32 v1, v0
	s_and_saveexec_b64 s[50:51], s[28:29]
; %bb.6195:                             ;   in Loop: Header=BB6_5679 Depth=3
	v_bfe_u32 v1, v0, 20, 1
	v_add_co_u32_e64 v1, s[28:29], v0, v1
	v_add_co_u32_e64 v1, s[28:29], -1, v1
; %bb.6196:                             ;   in Loop: Header=BB6_5679 Depth=3
	s_or_b64 exec, exec, s[50:51]
	v_add_u32_e32 v2, 0xffffff81, v6
	v_mov_b32_e32 v6, 0xffffff82
	v_cndmask_b32_e32 v2, v2, v6, vcc
	v_lshrrev_b32_e32 v6, 23, v0
	v_add3_u32 v7, v7, v2, v6
	v_add_u32_e32 v6, 6, v7
	v_and_b32_e32 v1, 0xfffff, v1
	v_add_u32_e32 v52, v1, v0
	v_cmp_ne_u32_e32 vcc, 0, v6
                                        ; implicit-def: $vgpr0_vgpr1
                                        ; implicit-def: $vgpr2
	s_and_saveexec_b64 s[28:29], vcc
	s_xor_b64 s[28:29], exec, s[28:29]
; %bb.6197:                             ;   in Loop: Header=BB6_5679 Depth=3
	v_cmp_lt_u64_e32 vcc, s[88:89], v[52:53]
	v_add_u32_e32 v0, 7, v7
	v_cndmask_b32_e32 v2, v6, v0, vcc
	v_cndmask_b32_e64 v0, 0, 1, vcc
	v_lshrrev_b64 v[0:1], v0, v[52:53]
; %bb.6198:                             ;   in Loop: Header=BB6_5679 Depth=3
	s_andn2_saveexec_b64 s[28:29], s[28:29]
; %bb.6199:                             ;   in Loop: Header=BB6_5679 Depth=3
	v_mov_b32_e32 v0, v52
	v_bfe_u32 v2, v52, 23, 1
	v_mov_b32_e32 v1, v53
; %bb.6200:                             ;   in Loop: Header=BB6_5679 Depth=3
	s_or_b64 exec, exec, s[28:29]
	v_lshrrev_b64 v[0:1], 20, v[0:1]
	v_cmp_gt_i32_e32 vcc, 16, v2
	v_cndmask_b32_e32 v1, 0, v1, vcc
	v_cndmask_b32_e32 v0, 7, v0, vcc
	v_cmp_eq_u64_e64 s[28:29], 0, v[0:1]
	v_min_i32_e32 v1, 15, v2
	v_lshlrev_b32_e32 v1, 3, v1
	v_cmp_eq_u32_e32 vcc, 0, v2
	v_and_b32_e32 v1, 0xf8, v1
	v_and_or_b32 v0, v0, 7, v1
	s_and_b64 s[28:29], vcc, s[28:29]
	v_cndmask_b32_e64 v0, v0, 0, s[28:29]
	v_or_b32_e32 v54, v0, v3
.LBB6_6201:                             ;   in Loop: Header=BB6_5679 Depth=3
	s_or_b64 exec, exec, s[48:49]
                                        ; implicit-def: $vgpr3
.LBB6_6202:                             ;   in Loop: Header=BB6_5679 Depth=3
	s_andn2_saveexec_b64 s[28:29], s[38:39]
; %bb.6203:                             ;   in Loop: Header=BB6_5679 Depth=3
	v_or_b32_e32 v54, 0x7e, v3
; %bb.6204:                             ;   in Loop: Header=BB6_5679 Depth=3
	s_or_b64 exec, exec, s[28:29]
                                        ; implicit-def: $vgpr1
.LBB6_6205:                             ;   in Loop: Header=BB6_5679 Depth=3
	s_andn2_saveexec_b64 s[28:29], s[40:41]
; %bb.6206:                             ;   in Loop: Header=BB6_5679 Depth=3
	v_or_b32_sdwa v54, v1, s83 dst_sel:DWORD dst_unused:UNUSED_PAD src0_sel:BYTE_3 src1_sel:DWORD
; %bb.6207:                             ;   in Loop: Header=BB6_5679 Depth=3
	s_or_b64 exec, exec, s[28:29]
	v_mov_b32_e32 v52, v51
	v_mov_b32_e32 v2, v39
	;; [unrolled: 1-line block ×3, first 2 shown]
	v_cmp_ne_u16_sdwa s[28:29], v51, v53 src0_sel:BYTE_0 src1_sel:DWORD
	s_mov_b64 s[40:41], -1
	s_and_b64 vcc, exec, s[46:47]
                                        ; implicit-def: $vgpr0
	s_cbranch_vccz .LBB6_6221
; %bb.6208:                             ;   in Loop: Header=BB6_5679 Depth=3
	v_mov_b32_e32 v1, 0
	v_mov_b32_e32 v0, 0
	s_and_saveexec_b64 s[40:41], s[28:29]
	s_cbranch_execz .LBB6_6214
; %bb.6209:                             ;   in Loop: Header=BB6_5679 Depth=3
	v_cmp_ne_u16_sdwa vcc, v51, s82 src0_sel:BYTE_0 src1_sel:DWORD
	v_bfrev_b32_e32 v0, 1
	s_and_saveexec_b64 s[38:39], vcc
	s_cbranch_execz .LBB6_6213
; %bb.6210:                             ;   in Loop: Header=BB6_5679 Depth=3
	v_and_b32_e32 v6, 0x7f, v51
	v_cmp_ne_u32_e32 vcc, s83, v6
	v_mov_b32_e32 v0, 0x7f800001
	s_and_saveexec_b64 s[48:49], vcc
	s_cbranch_execz .LBB6_6212
; %bb.6211:                             ;   in Loop: Header=BB6_5679 Depth=3
	v_and_b32_e32 v0, 7, v51
	v_ffbh_u32_e32 v0, v0
	v_min_u32_e32 v0, 32, v0
	v_lshrrev_b32_e32 v7, 3, v6
	v_cmp_gt_u32_e32 vcc, 8, v6
	v_subrev_u32_e32 v6, 28, v0
	v_sub_u32_e32 v0, 29, v0
	v_cndmask_b32_e32 v6, 0, v6, vcc
	v_cndmask_b32_e32 v0, v7, v0, vcc
	v_lshlrev_b64 v[6:7], v6, v[52:53]
	v_lshlrev_b32_e32 v7, 24, v52
	v_lshlrev_b32_e32 v6, 20, v6
	v_bfrev_b32_e32 v31, 60
	v_and_b32_e32 v6, 0x700000, v6
	v_and_b32_e32 v7, 0x80000000, v7
	v_lshl_add_u32 v0, v0, 23, v31
	v_or3_b32 v0, v7, v0, v6
.LBB6_6212:                             ;   in Loop: Header=BB6_5679 Depth=3
	s_or_b64 exec, exec, s[48:49]
.LBB6_6213:                             ;   in Loop: Header=BB6_5679 Depth=3
	s_or_b64 exec, exec, s[38:39]
.LBB6_6214:                             ;   in Loop: Header=BB6_5679 Depth=3
	s_or_b64 exec, exec, s[40:41]
	v_cmp_ne_u16_sdwa vcc, v39, v53 src0_sel:BYTE_0 src1_sel:DWORD
	s_and_saveexec_b64 s[40:41], vcc
	s_cbranch_execz .LBB6_6220
; %bb.6215:                             ;   in Loop: Header=BB6_5679 Depth=3
	v_cmp_ne_u16_sdwa vcc, v39, s82 src0_sel:BYTE_0 src1_sel:DWORD
	v_bfrev_b32_e32 v1, 1
	s_and_saveexec_b64 s[38:39], vcc
	s_cbranch_execz .LBB6_6219
; %bb.6216:                             ;   in Loop: Header=BB6_5679 Depth=3
	v_and_b32_e32 v6, 0x7f, v39
	v_cmp_ne_u32_e32 vcc, s83, v6
	v_mov_b32_e32 v1, 0x7f800001
	s_and_saveexec_b64 s[48:49], vcc
	s_cbranch_execz .LBB6_6218
; %bb.6217:                             ;   in Loop: Header=BB6_5679 Depth=3
	v_and_b32_e32 v1, 7, v39
	v_ffbh_u32_e32 v1, v1
	v_min_u32_e32 v1, 32, v1
	v_lshrrev_b32_e32 v7, 3, v6
	v_cmp_gt_u32_e32 vcc, 8, v6
	v_subrev_u32_e32 v6, 28, v1
	v_sub_u32_e32 v1, 29, v1
	v_cndmask_b32_e32 v6, 0, v6, vcc
	v_cndmask_b32_e32 v1, v7, v1, vcc
	v_lshlrev_b64 v[6:7], v6, v[2:3]
	v_lshlrev_b32_e32 v7, 24, v2
	v_lshlrev_b32_e32 v6, 20, v6
	v_bfrev_b32_e32 v31, 60
	v_and_b32_e32 v6, 0x700000, v6
	v_and_b32_e32 v7, 0x80000000, v7
	v_lshl_add_u32 v1, v1, 23, v31
	v_or3_b32 v1, v7, v1, v6
.LBB6_6218:                             ;   in Loop: Header=BB6_5679 Depth=3
	s_or_b64 exec, exec, s[48:49]
.LBB6_6219:                             ;   in Loop: Header=BB6_5679 Depth=3
	s_or_b64 exec, exec, s[38:39]
.LBB6_6220:                             ;   in Loop: Header=BB6_5679 Depth=3
	s_or_b64 exec, exec, s[40:41]
	v_max_f32_e32 v1, v1, v1
	v_max_f32_e32 v0, v0, v0
	;; [unrolled: 1-line block ×3, first 2 shown]
	s_mov_b64 s[40:41], 0
.LBB6_6221:                             ;   in Loop: Header=BB6_5679 Depth=3
	s_and_b64 vcc, exec, s[40:41]
	s_cbranch_vccz .LBB6_6235
; %bb.6222:                             ;   in Loop: Header=BB6_5679 Depth=3
	v_mov_b32_e32 v1, 0
	v_mov_b32_e32 v0, 0
	s_and_saveexec_b64 s[40:41], s[28:29]
	s_cbranch_execz .LBB6_6228
; %bb.6223:                             ;   in Loop: Header=BB6_5679 Depth=3
	v_cmp_ne_u16_sdwa vcc, v51, s82 src0_sel:BYTE_0 src1_sel:DWORD
	v_bfrev_b32_e32 v0, 1
	s_and_saveexec_b64 s[28:29], vcc
	s_cbranch_execz .LBB6_6227
; %bb.6224:                             ;   in Loop: Header=BB6_5679 Depth=3
	v_and_b32_e32 v6, 0x7f, v51
	v_cmp_ne_u32_e32 vcc, s83, v6
	v_mov_b32_e32 v0, 0x7f800001
	s_and_saveexec_b64 s[38:39], vcc
	s_cbranch_execz .LBB6_6226
; %bb.6225:                             ;   in Loop: Header=BB6_5679 Depth=3
	v_and_b32_e32 v0, 7, v51
	v_ffbh_u32_e32 v0, v0
	v_min_u32_e32 v0, 32, v0
	v_lshrrev_b32_e32 v7, 3, v6
	v_cmp_gt_u32_e32 vcc, 8, v6
	v_subrev_u32_e32 v6, 28, v0
	v_sub_u32_e32 v0, 29, v0
	v_cndmask_b32_e32 v6, 0, v6, vcc
	v_cndmask_b32_e32 v0, v7, v0, vcc
	v_lshlrev_b64 v[6:7], v6, v[52:53]
	v_lshlrev_b32_e32 v7, 24, v52
	v_lshlrev_b32_e32 v6, 20, v6
	v_bfrev_b32_e32 v31, 60
	v_and_b32_e32 v6, 0x700000, v6
	v_and_b32_e32 v7, 0x80000000, v7
	v_lshl_add_u32 v0, v0, 23, v31
	v_or3_b32 v0, v7, v0, v6
.LBB6_6226:                             ;   in Loop: Header=BB6_5679 Depth=3
	s_or_b64 exec, exec, s[38:39]
.LBB6_6227:                             ;   in Loop: Header=BB6_5679 Depth=3
	s_or_b64 exec, exec, s[28:29]
.LBB6_6228:                             ;   in Loop: Header=BB6_5679 Depth=3
	s_or_b64 exec, exec, s[40:41]
	v_cmp_ne_u16_sdwa s[40:41], v39, v53 src0_sel:BYTE_0 src1_sel:DWORD
	s_and_saveexec_b64 s[28:29], s[40:41]
	s_cbranch_execz .LBB6_6234
; %bb.6229:                             ;   in Loop: Header=BB6_5679 Depth=3
	v_cmp_ne_u16_sdwa vcc, v39, s82 src0_sel:BYTE_0 src1_sel:DWORD
	v_bfrev_b32_e32 v1, 1
	s_and_saveexec_b64 s[40:41], vcc
	s_cbranch_execz .LBB6_6233
; %bb.6230:                             ;   in Loop: Header=BB6_5679 Depth=3
	v_and_b32_e32 v6, 0x7f, v39
	v_cmp_ne_u32_e32 vcc, s83, v6
	v_mov_b32_e32 v1, 0x7f800001
	s_and_saveexec_b64 s[38:39], vcc
	s_cbranch_execz .LBB6_6232
; %bb.6231:                             ;   in Loop: Header=BB6_5679 Depth=3
	v_and_b32_e32 v1, 7, v39
	v_ffbh_u32_e32 v1, v1
	v_min_u32_e32 v1, 32, v1
	v_lshrrev_b32_e32 v7, 3, v6
	v_cmp_gt_u32_e32 vcc, 8, v6
	v_subrev_u32_e32 v6, 28, v1
	v_sub_u32_e32 v1, 29, v1
	v_cndmask_b32_e32 v6, 0, v6, vcc
	v_cndmask_b32_e32 v1, v7, v1, vcc
	v_lshlrev_b64 v[6:7], v6, v[2:3]
	v_bfrev_b32_e32 v7, 60
	v_lshlrev_b32_e32 v3, 20, v6
	v_lshlrev_b32_e32 v6, 24, v2
	v_and_b32_e32 v3, 0x700000, v3
	v_and_b32_e32 v6, 0x80000000, v6
	v_lshl_add_u32 v1, v1, 23, v7
	v_or3_b32 v1, v6, v1, v3
.LBB6_6232:                             ;   in Loop: Header=BB6_5679 Depth=3
	s_or_b64 exec, exec, s[38:39]
.LBB6_6233:                             ;   in Loop: Header=BB6_5679 Depth=3
	s_or_b64 exec, exec, s[40:41]
.LBB6_6234:                             ;   in Loop: Header=BB6_5679 Depth=3
	s_or_b64 exec, exec, s[28:29]
	v_max_f32_e32 v1, v1, v1
	v_max_f32_e32 v0, v0, v0
	v_min_f32_e32 v0, v0, v1
.LBB6_6235:                             ;   in Loop: Header=BB6_5679 Depth=3
	v_and_b32_e32 v6, 0x7f800000, v0
	v_mov_b32_e32 v7, v53
	v_cmp_ne_u64_e32 vcc, s[76:77], v[6:7]
                                        ; implicit-def: $vgpr48
	s_and_saveexec_b64 s[28:29], vcc
	s_xor_b64 s[40:41], exec, s[28:29]
	s_cbranch_execz .LBB6_6249
; %bb.6236:                             ;   in Loop: Header=BB6_5679 Depth=3
	v_and_b32_e32 v6, 0x7fffffff, v0
	v_mov_b32_e32 v7, v53
	v_cmp_gt_u64_e32 vcc, s[78:79], v[6:7]
	v_and_b32_sdwa v3, v0, s82 dst_sel:DWORD dst_unused:UNUSED_PAD src0_sel:BYTE_3 src1_sel:DWORD
                                        ; implicit-def: $vgpr48
	s_and_saveexec_b64 s[28:29], vcc
	s_xor_b64 s[38:39], exec, s[28:29]
	s_cbranch_execz .LBB6_6246
; %bb.6237:                             ;   in Loop: Header=BB6_5679 Depth=3
	v_mov_b32_e32 v48, 0
	v_cmp_ne_u32_e32 vcc, 0, v0
	s_and_saveexec_b64 s[48:49], vcc
	s_cbranch_execz .LBB6_6245
; %bb.6238:                             ;   in Loop: Header=BB6_5679 Depth=3
	v_bfe_u32 v31, v0, 23, 8
	v_and_b32_e32 v1, 0x7fffff, v0
	v_cmp_gt_u32_e64 s[28:29], s85, v31
	v_sub_u32_e32 v0, 0x79, v31
	v_cmp_eq_u32_e32 vcc, 0, v31
	v_cndmask_b32_e64 v0, 0, v0, s[28:29]
	v_mov_b32_e32 v7, 0x78
	v_or_b32_e32 v6, 0x800000, v1
	v_cndmask_b32_e32 v36, v0, v7, vcc
	v_cndmask_b32_e32 v0, v6, v1, vcc
	v_add_u32_e32 v6, 20, v36
	v_lshlrev_b64 v[6:7], v6, -1
	v_mov_b32_e32 v1, v53
	v_add_u32_e32 v37, 19, v36
	v_bfi_b32 v6, v6, 0, v0
	v_lshlrev_b64 v[48:49], v37, 1
	v_lshrrev_b64 v[0:1], v36, v[0:1]
	v_bfi_b32 v7, v7, 0, 0
	v_cmp_eq_u64_e64 s[28:29], v[6:7], v[48:49]
	v_mov_b32_e32 v7, v1
	v_mov_b32_e32 v6, v0
	s_and_saveexec_b64 s[50:51], s[28:29]
; %bb.6239:                             ;   in Loop: Header=BB6_5679 Depth=3
	v_bfe_u32 v1, v0, 20, 1
	v_add_co_u32_e64 v1, s[28:29], v0, v1
	v_add_co_u32_e64 v6, s[28:29], -1, v1
; %bb.6240:                             ;   in Loop: Header=BB6_5679 Depth=3
	s_or_b64 exec, exec, s[50:51]
	v_add_u32_e32 v1, 0xffffff81, v31
	v_mov_b32_e32 v7, 0xffffff82
	v_cndmask_b32_e32 v1, v1, v7, vcc
	v_lshrrev_b32_e32 v7, 23, v0
	v_add3_u32 v7, v36, v1, v7
	v_add_u32_e32 v1, 6, v7
	v_and_b32_e32 v6, 0xfffff, v6
	v_add_u32_e32 v36, v6, v0
	v_mov_b32_e32 v37, v53
	v_cmp_ne_u32_e32 vcc, 0, v1
                                        ; implicit-def: $vgpr0
	s_and_saveexec_b64 s[28:29], vcc
	s_xor_b64 s[28:29], exec, s[28:29]
; %bb.6241:                             ;   in Loop: Header=BB6_5679 Depth=3
	v_cmp_lt_u64_e32 vcc, s[88:89], v[36:37]
	v_add_u32_e32 v0, 7, v7
	v_cndmask_b32_e32 v0, v1, v0, vcc
	v_cndmask_b32_e64 v1, 0, 1, vcc
	v_lshrrev_b64 v[36:37], v1, v[36:37]
; %bb.6242:                             ;   in Loop: Header=BB6_5679 Depth=3
	s_andn2_saveexec_b64 s[28:29], s[28:29]
; %bb.6243:                             ;   in Loop: Header=BB6_5679 Depth=3
	v_bfe_u32 v0, v36, 23, 1
; %bb.6244:                             ;   in Loop: Header=BB6_5679 Depth=3
	s_or_b64 exec, exec, s[28:29]
	v_lshrrev_b64 v[6:7], 20, v[36:37]
	v_cmp_gt_i32_e32 vcc, 16, v0
	v_cndmask_b32_e32 v7, 0, v7, vcc
	v_cndmask_b32_e32 v6, 7, v6, vcc
	v_cmp_eq_u32_e32 vcc, 0, v0
	v_min_i32_e32 v0, 15, v0
	v_cmp_eq_u64_e64 s[28:29], 0, v[6:7]
	v_lshlrev_b32_e32 v0, 3, v0
	v_and_b32_e32 v0, 0xf8, v0
	v_and_or_b32 v0, v6, 7, v0
	s_and_b64 s[28:29], vcc, s[28:29]
	v_cndmask_b32_e64 v0, v0, 0, s[28:29]
	v_or_b32_e32 v48, v0, v3
.LBB6_6245:                             ;   in Loop: Header=BB6_5679 Depth=3
	s_or_b64 exec, exec, s[48:49]
                                        ; implicit-def: $vgpr3
.LBB6_6246:                             ;   in Loop: Header=BB6_5679 Depth=3
	s_andn2_saveexec_b64 s[28:29], s[38:39]
; %bb.6247:                             ;   in Loop: Header=BB6_5679 Depth=3
	v_or_b32_e32 v48, 0x7e, v3
; %bb.6248:                             ;   in Loop: Header=BB6_5679 Depth=3
	s_or_b64 exec, exec, s[28:29]
                                        ; implicit-def: $vgpr0
.LBB6_6249:                             ;   in Loop: Header=BB6_5679 Depth=3
	s_andn2_saveexec_b64 s[28:29], s[40:41]
; %bb.6250:                             ;   in Loop: Header=BB6_5679 Depth=3
	v_or_b32_sdwa v48, v0, s83 dst_sel:DWORD dst_unused:UNUSED_PAD src0_sel:BYTE_3 src1_sel:DWORD
; %bb.6251:                             ;   in Loop: Header=BB6_5679 Depth=3
	s_or_b64 exec, exec, s[28:29]
	v_lshrrev_b16_e32 v31, 8, v52
	v_lshrrev_b16_e32 v3, 8, v2
	v_cmp_ne_u16_e64 s[28:29], 0, v31
	s_mov_b64 s[40:41], -1
	s_and_b64 vcc, exec, s[46:47]
                                        ; implicit-def: $vgpr0
	s_cbranch_vccz .LBB6_6265
; %bb.6252:                             ;   in Loop: Header=BB6_5679 Depth=3
	v_mov_b32_e32 v1, 0
	v_mov_b32_e32 v0, 0
	s_and_saveexec_b64 s[40:41], s[28:29]
	s_cbranch_execz .LBB6_6258
; %bb.6253:                             ;   in Loop: Header=BB6_5679 Depth=3
	v_cmp_ne_u16_e32 vcc, s82, v31
	v_bfrev_b32_e32 v0, 1
	s_and_saveexec_b64 s[38:39], vcc
	s_cbranch_execz .LBB6_6257
; %bb.6254:                             ;   in Loop: Header=BB6_5679 Depth=3
	v_and_b32_e32 v6, 0x7f, v31
	v_cmp_ne_u32_e32 vcc, s83, v6
	v_mov_b32_e32 v0, 0x7f800001
	s_and_saveexec_b64 s[48:49], vcc
	s_cbranch_execz .LBB6_6256
; %bb.6255:                             ;   in Loop: Header=BB6_5679 Depth=3
	v_and_b32_e32 v0, 7, v31
	v_lshrrev_b32_e32 v36, 3, v6
	v_cmp_gt_u32_e32 vcc, 8, v6
	v_ffbh_u32_e32 v6, v0
	v_min_u32_e32 v37, 32, v6
	v_subrev_u32_e32 v6, 28, v37
	v_lshlrev_b64 v[6:7], v6, v[31:32]
	v_sub_u32_e32 v7, 29, v37
	v_and_b32_e32 v6, 7, v6
	v_cndmask_b32_e32 v7, v36, v7, vcc
	v_cndmask_b32_e32 v0, v0, v6, vcc
	v_lshlrev_b32_e32 v6, 16, v52
	v_bfrev_b32_e32 v36, 60
	v_lshlrev_b32_e32 v0, 20, v0
	v_and_b32_e32 v6, 0x80000000, v6
	v_lshl_add_u32 v7, v7, 23, v36
	v_or3_b32 v0, v6, v7, v0
.LBB6_6256:                             ;   in Loop: Header=BB6_5679 Depth=3
	s_or_b64 exec, exec, s[48:49]
.LBB6_6257:                             ;   in Loop: Header=BB6_5679 Depth=3
	s_or_b64 exec, exec, s[38:39]
.LBB6_6258:                             ;   in Loop: Header=BB6_5679 Depth=3
	s_or_b64 exec, exec, s[40:41]
	v_cmp_ne_u16_e32 vcc, 0, v3
	s_and_saveexec_b64 s[40:41], vcc
	s_cbranch_execz .LBB6_6264
; %bb.6259:                             ;   in Loop: Header=BB6_5679 Depth=3
	v_cmp_ne_u16_e32 vcc, s82, v3
	v_bfrev_b32_e32 v1, 1
	s_and_saveexec_b64 s[38:39], vcc
	s_cbranch_execz .LBB6_6263
; %bb.6260:                             ;   in Loop: Header=BB6_5679 Depth=3
	v_and_b32_e32 v6, 0x7f, v3
	v_cmp_ne_u32_e32 vcc, s83, v6
	v_mov_b32_e32 v1, 0x7f800001
	s_and_saveexec_b64 s[48:49], vcc
	s_cbranch_execz .LBB6_6262
; %bb.6261:                             ;   in Loop: Header=BB6_5679 Depth=3
	v_and_b32_e32 v1, 7, v3
	v_lshrrev_b32_e32 v36, 3, v6
	v_cmp_gt_u32_e32 vcc, 8, v6
	v_ffbh_u32_e32 v6, v1
	v_min_u32_e32 v37, 32, v6
	v_subrev_u32_e32 v6, 28, v37
	v_lshlrev_b64 v[6:7], v6, v[3:4]
	v_sub_u32_e32 v7, 29, v37
	v_and_b32_e32 v6, 7, v6
	v_cndmask_b32_e32 v7, v36, v7, vcc
	v_cndmask_b32_e32 v1, v1, v6, vcc
	v_lshlrev_b32_e32 v6, 16, v2
	v_bfrev_b32_e32 v36, 60
	v_lshlrev_b32_e32 v1, 20, v1
	v_and_b32_e32 v6, 0x80000000, v6
	v_lshl_add_u32 v7, v7, 23, v36
	v_or3_b32 v1, v6, v7, v1
.LBB6_6262:                             ;   in Loop: Header=BB6_5679 Depth=3
	s_or_b64 exec, exec, s[48:49]
.LBB6_6263:                             ;   in Loop: Header=BB6_5679 Depth=3
	s_or_b64 exec, exec, s[38:39]
.LBB6_6264:                             ;   in Loop: Header=BB6_5679 Depth=3
	s_or_b64 exec, exec, s[40:41]
	v_max_f32_e32 v1, v1, v1
	v_max_f32_e32 v0, v0, v0
	;; [unrolled: 1-line block ×3, first 2 shown]
	s_mov_b64 s[40:41], 0
.LBB6_6265:                             ;   in Loop: Header=BB6_5679 Depth=3
	s_and_b64 vcc, exec, s[40:41]
	s_cbranch_vccz .LBB6_6279
; %bb.6266:                             ;   in Loop: Header=BB6_5679 Depth=3
	v_mov_b32_e32 v1, 0
	v_mov_b32_e32 v0, 0
	s_and_saveexec_b64 s[40:41], s[28:29]
	s_cbranch_execz .LBB6_6272
; %bb.6267:                             ;   in Loop: Header=BB6_5679 Depth=3
	v_cmp_ne_u16_e32 vcc, s82, v31
	v_bfrev_b32_e32 v0, 1
	s_and_saveexec_b64 s[28:29], vcc
	s_cbranch_execz .LBB6_6271
; %bb.6268:                             ;   in Loop: Header=BB6_5679 Depth=3
	v_and_b32_e32 v6, 0x7f, v31
	v_cmp_ne_u32_e32 vcc, s83, v6
	v_mov_b32_e32 v0, 0x7f800001
	s_and_saveexec_b64 s[38:39], vcc
	s_cbranch_execz .LBB6_6270
; %bb.6269:                             ;   in Loop: Header=BB6_5679 Depth=3
	v_and_b32_e32 v0, 7, v31
	v_lshrrev_b32_e32 v36, 3, v6
	v_cmp_gt_u32_e32 vcc, 8, v6
	v_ffbh_u32_e32 v6, v0
	v_min_u32_e32 v37, 32, v6
	v_subrev_u32_e32 v6, 28, v37
	v_lshlrev_b64 v[6:7], v6, v[31:32]
	v_sub_u32_e32 v7, 29, v37
	v_and_b32_e32 v6, 7, v6
	v_cndmask_b32_e32 v7, v36, v7, vcc
	v_cndmask_b32_e32 v0, v0, v6, vcc
	v_lshlrev_b32_e32 v6, 16, v52
	v_bfrev_b32_e32 v31, 60
	v_lshlrev_b32_e32 v0, 20, v0
	v_and_b32_e32 v6, 0x80000000, v6
	v_lshl_add_u32 v7, v7, 23, v31
	v_or3_b32 v0, v6, v7, v0
.LBB6_6270:                             ;   in Loop: Header=BB6_5679 Depth=3
	s_or_b64 exec, exec, s[38:39]
.LBB6_6271:                             ;   in Loop: Header=BB6_5679 Depth=3
	s_or_b64 exec, exec, s[28:29]
.LBB6_6272:                             ;   in Loop: Header=BB6_5679 Depth=3
	s_or_b64 exec, exec, s[40:41]
	v_cmp_ne_u16_e32 vcc, 0, v3
	s_and_saveexec_b64 s[28:29], vcc
	s_cbranch_execz .LBB6_6278
; %bb.6273:                             ;   in Loop: Header=BB6_5679 Depth=3
	v_cmp_ne_u16_e32 vcc, s82, v3
	v_bfrev_b32_e32 v1, 1
	s_and_saveexec_b64 s[40:41], vcc
	s_cbranch_execz .LBB6_6277
; %bb.6274:                             ;   in Loop: Header=BB6_5679 Depth=3
	v_and_b32_e32 v6, 0x7f, v3
	v_cmp_ne_u32_e32 vcc, s83, v6
	v_mov_b32_e32 v1, 0x7f800001
	s_and_saveexec_b64 s[38:39], vcc
	s_cbranch_execz .LBB6_6276
; %bb.6275:                             ;   in Loop: Header=BB6_5679 Depth=3
	v_and_b32_e32 v1, 7, v3
	v_lshrrev_b32_e32 v31, 3, v6
	v_cmp_gt_u32_e32 vcc, 8, v6
	v_ffbh_u32_e32 v6, v1
	v_min_u32_e32 v36, 32, v6
	v_subrev_u32_e32 v6, 28, v36
	v_lshlrev_b64 v[6:7], v6, v[3:4]
	v_sub_u32_e32 v3, 29, v36
	v_and_b32_e32 v6, 7, v6
	v_cndmask_b32_e32 v3, v31, v3, vcc
	v_cndmask_b32_e32 v1, v1, v6, vcc
	v_lshlrev_b32_e32 v2, 16, v2
	v_bfrev_b32_e32 v6, 60
	v_lshlrev_b32_e32 v1, 20, v1
	v_and_b32_e32 v2, 0x80000000, v2
	v_lshl_add_u32 v3, v3, 23, v6
	v_or3_b32 v1, v2, v3, v1
.LBB6_6276:                             ;   in Loop: Header=BB6_5679 Depth=3
	s_or_b64 exec, exec, s[38:39]
.LBB6_6277:                             ;   in Loop: Header=BB6_5679 Depth=3
	s_or_b64 exec, exec, s[40:41]
.LBB6_6278:                             ;   in Loop: Header=BB6_5679 Depth=3
	s_or_b64 exec, exec, s[28:29]
	v_max_f32_e32 v1, v1, v1
	v_max_f32_e32 v0, v0, v0
	v_min_f32_e32 v0, v0, v1
.LBB6_6279:                             ;   in Loop: Header=BB6_5679 Depth=3
	v_and_b32_e32 v52, 0x7f800000, v0
	v_cmp_ne_u64_e32 vcc, s[76:77], v[52:53]
                                        ; implicit-def: $vgpr49
	s_and_saveexec_b64 s[28:29], vcc
	s_xor_b64 s[40:41], exec, s[28:29]
	s_cbranch_execz .LBB6_6293
; %bb.6280:                             ;   in Loop: Header=BB6_5679 Depth=3
	v_and_b32_e32 v52, 0x7fffffff, v0
	v_cmp_gt_u64_e32 vcc, s[78:79], v[52:53]
	v_and_b32_sdwa v3, v0, s82 dst_sel:DWORD dst_unused:UNUSED_PAD src0_sel:BYTE_3 src1_sel:DWORD
                                        ; implicit-def: $vgpr49
	s_and_saveexec_b64 s[28:29], vcc
	s_xor_b64 s[38:39], exec, s[28:29]
	s_cbranch_execz .LBB6_6290
; %bb.6281:                             ;   in Loop: Header=BB6_5679 Depth=3
	v_mov_b32_e32 v49, 0
	v_cmp_ne_u32_e32 vcc, 0, v0
	s_and_saveexec_b64 s[48:49], vcc
	s_cbranch_execz .LBB6_6289
; %bb.6282:                             ;   in Loop: Header=BB6_5679 Depth=3
	v_bfe_u32 v6, v0, 23, 8
	v_and_b32_e32 v1, 0x7fffff, v0
	v_cmp_gt_u32_e64 s[28:29], s85, v6
	v_sub_u32_e32 v0, 0x79, v6
	v_cmp_eq_u32_e32 vcc, 0, v6
	v_cndmask_b32_e64 v0, 0, v0, s[28:29]
	v_mov_b32_e32 v7, 0x78
	v_cndmask_b32_e32 v7, v0, v7, vcc
	v_or_b32_e32 v2, 0x800000, v1
	v_add_u32_e32 v0, 20, v7
	v_cndmask_b32_e32 v52, v2, v1, vcc
	v_lshlrev_b64 v[0:1], v0, -1
	v_add_u32_e32 v2, 19, v7
	v_lshlrev_b64 v[36:37], v2, 1
	v_bfi_b32 v1, v1, 0, 0
	v_bfi_b32 v0, v0, 0, v52
	v_cmp_eq_u64_e64 s[28:29], v[0:1], v[36:37]
	v_lshrrev_b64 v[0:1], v7, v[52:53]
	v_mov_b32_e32 v2, v1
	v_mov_b32_e32 v1, v0
	s_and_saveexec_b64 s[50:51], s[28:29]
; %bb.6283:                             ;   in Loop: Header=BB6_5679 Depth=3
	v_bfe_u32 v1, v0, 20, 1
	v_add_co_u32_e64 v1, s[28:29], v0, v1
	v_add_co_u32_e64 v1, s[28:29], -1, v1
; %bb.6284:                             ;   in Loop: Header=BB6_5679 Depth=3
	s_or_b64 exec, exec, s[50:51]
	v_add_u32_e32 v2, 0xffffff81, v6
	v_mov_b32_e32 v6, 0xffffff82
	v_cndmask_b32_e32 v2, v2, v6, vcc
	v_lshrrev_b32_e32 v6, 23, v0
	v_add3_u32 v7, v7, v2, v6
	v_add_u32_e32 v6, 6, v7
	v_and_b32_e32 v1, 0xfffff, v1
	v_add_u32_e32 v52, v1, v0
	v_cmp_ne_u32_e32 vcc, 0, v6
                                        ; implicit-def: $vgpr0_vgpr1
                                        ; implicit-def: $vgpr2
	s_and_saveexec_b64 s[28:29], vcc
	s_xor_b64 s[28:29], exec, s[28:29]
; %bb.6285:                             ;   in Loop: Header=BB6_5679 Depth=3
	v_cmp_lt_u64_e32 vcc, s[88:89], v[52:53]
	v_add_u32_e32 v0, 7, v7
	v_cndmask_b32_e32 v2, v6, v0, vcc
	v_cndmask_b32_e64 v0, 0, 1, vcc
	v_lshrrev_b64 v[0:1], v0, v[52:53]
; %bb.6286:                             ;   in Loop: Header=BB6_5679 Depth=3
	s_andn2_saveexec_b64 s[28:29], s[28:29]
; %bb.6287:                             ;   in Loop: Header=BB6_5679 Depth=3
	v_mov_b32_e32 v0, v52
	v_bfe_u32 v2, v52, 23, 1
	v_mov_b32_e32 v1, v53
; %bb.6288:                             ;   in Loop: Header=BB6_5679 Depth=3
	s_or_b64 exec, exec, s[28:29]
	v_lshrrev_b64 v[0:1], 20, v[0:1]
	v_cmp_gt_i32_e32 vcc, 16, v2
	v_cndmask_b32_e32 v1, 0, v1, vcc
	v_cndmask_b32_e32 v0, 7, v0, vcc
	v_cmp_eq_u64_e64 s[28:29], 0, v[0:1]
	v_min_i32_e32 v1, 15, v2
	v_lshlrev_b32_e32 v1, 3, v1
	v_cmp_eq_u32_e32 vcc, 0, v2
	v_and_b32_e32 v1, 0xf8, v1
	v_and_or_b32 v0, v0, 7, v1
	s_and_b64 s[28:29], vcc, s[28:29]
	v_cndmask_b32_e64 v0, v0, 0, s[28:29]
	v_or_b32_e32 v49, v0, v3
.LBB6_6289:                             ;   in Loop: Header=BB6_5679 Depth=3
	s_or_b64 exec, exec, s[48:49]
                                        ; implicit-def: $vgpr3
.LBB6_6290:                             ;   in Loop: Header=BB6_5679 Depth=3
	s_andn2_saveexec_b64 s[28:29], s[38:39]
; %bb.6291:                             ;   in Loop: Header=BB6_5679 Depth=3
	v_or_b32_e32 v49, 0x7e, v3
; %bb.6292:                             ;   in Loop: Header=BB6_5679 Depth=3
	s_or_b64 exec, exec, s[28:29]
                                        ; implicit-def: $vgpr0
.LBB6_6293:                             ;   in Loop: Header=BB6_5679 Depth=3
	s_andn2_saveexec_b64 s[28:29], s[40:41]
; %bb.6294:                             ;   in Loop: Header=BB6_5679 Depth=3
	v_or_b32_sdwa v49, v0, s83 dst_sel:DWORD dst_unused:UNUSED_PAD src0_sel:BYTE_3 src1_sel:DWORD
; %bb.6295:                             ;   in Loop: Header=BB6_5679 Depth=3
	s_or_b64 exec, exec, s[28:29]
	v_lshrrev_b32_e32 v2, 16, v51
	v_lshrrev_b32_e32 v0, 16, v39
	v_cmp_ne_u16_sdwa s[28:29], v2, v53 src0_sel:BYTE_0 src1_sel:DWORD
	s_mov_b64 s[40:41], -1
	s_and_b64 vcc, exec, s[46:47]
                                        ; implicit-def: $vgpr1
	s_cbranch_vccz .LBB6_6309
; %bb.6296:                             ;   in Loop: Header=BB6_5679 Depth=3
	v_mov_b32_e32 v3, 0
	v_mov_b32_e32 v1, 0
	s_and_saveexec_b64 s[40:41], s[28:29]
	s_cbranch_execz .LBB6_6302
; %bb.6297:                             ;   in Loop: Header=BB6_5679 Depth=3
	v_cmp_ne_u16_sdwa vcc, v2, s82 src0_sel:BYTE_0 src1_sel:DWORD
	v_bfrev_b32_e32 v1, 1
	s_and_saveexec_b64 s[38:39], vcc
	s_cbranch_execz .LBB6_6301
; %bb.6298:                             ;   in Loop: Header=BB6_5679 Depth=3
	v_bfe_u32 v6, v51, 16, 7
	v_cmp_ne_u32_e32 vcc, s83, v6
	v_mov_b32_e32 v1, 0x7f800001
	s_and_saveexec_b64 s[48:49], vcc
	s_cbranch_execz .LBB6_6300
; %bb.6299:                             ;   in Loop: Header=BB6_5679 Depth=3
	v_and_b32_e32 v1, 7, v2
	v_lshrrev_b32_e32 v31, 3, v6
	v_cmp_gt_u32_e32 vcc, 8, v6
	v_ffbh_u32_e32 v6, v1
	v_min_u32_e32 v36, 32, v6
	v_subrev_u32_e32 v6, 28, v36
	v_lshlrev_b64 v[6:7], v6, v[2:3]
	v_sub_u32_e32 v7, 29, v36
	v_and_b32_e32 v6, 7, v6
	v_cndmask_b32_e32 v7, v31, v7, vcc
	v_cndmask_b32_e32 v1, v1, v6, vcc
	v_lshlrev_b32_e32 v6, 24, v2
	v_bfrev_b32_e32 v31, 60
	v_lshlrev_b32_e32 v1, 20, v1
	v_and_b32_e32 v6, 0x80000000, v6
	v_lshl_add_u32 v7, v7, 23, v31
	v_or3_b32 v1, v6, v7, v1
.LBB6_6300:                             ;   in Loop: Header=BB6_5679 Depth=3
	s_or_b64 exec, exec, s[48:49]
.LBB6_6301:                             ;   in Loop: Header=BB6_5679 Depth=3
	s_or_b64 exec, exec, s[38:39]
.LBB6_6302:                             ;   in Loop: Header=BB6_5679 Depth=3
	s_or_b64 exec, exec, s[40:41]
	v_cmp_ne_u16_sdwa vcc, v0, v53 src0_sel:BYTE_0 src1_sel:DWORD
	s_and_saveexec_b64 s[40:41], vcc
	s_cbranch_execz .LBB6_6308
; %bb.6303:                             ;   in Loop: Header=BB6_5679 Depth=3
	v_cmp_ne_u16_sdwa vcc, v0, s82 src0_sel:BYTE_0 src1_sel:DWORD
	v_bfrev_b32_e32 v3, 1
	s_and_saveexec_b64 s[38:39], vcc
	s_cbranch_execz .LBB6_6307
; %bb.6304:                             ;   in Loop: Header=BB6_5679 Depth=3
	v_bfe_u32 v6, v39, 16, 7
	v_cmp_ne_u32_e32 vcc, s83, v6
	v_mov_b32_e32 v3, 0x7f800001
	s_and_saveexec_b64 s[48:49], vcc
	s_cbranch_execz .LBB6_6306
; %bb.6305:                             ;   in Loop: Header=BB6_5679 Depth=3
	v_and_b32_e32 v3, 7, v0
	v_lshrrev_b32_e32 v31, 3, v6
	v_cmp_gt_u32_e32 vcc, 8, v6
	v_ffbh_u32_e32 v6, v3
	v_min_u32_e32 v36, 32, v6
	v_subrev_u32_e32 v6, 28, v36
	v_lshlrev_b64 v[6:7], v6, v[0:1]
	v_sub_u32_e32 v7, 29, v36
	v_and_b32_e32 v6, 7, v6
	v_cndmask_b32_e32 v7, v31, v7, vcc
	v_cndmask_b32_e32 v3, v3, v6, vcc
	v_lshlrev_b32_e32 v6, 24, v0
	v_bfrev_b32_e32 v31, 60
	v_lshlrev_b32_e32 v3, 20, v3
	v_and_b32_e32 v6, 0x80000000, v6
	v_lshl_add_u32 v7, v7, 23, v31
	v_or3_b32 v3, v6, v7, v3
.LBB6_6306:                             ;   in Loop: Header=BB6_5679 Depth=3
	s_or_b64 exec, exec, s[48:49]
.LBB6_6307:                             ;   in Loop: Header=BB6_5679 Depth=3
	s_or_b64 exec, exec, s[38:39]
.LBB6_6308:                             ;   in Loop: Header=BB6_5679 Depth=3
	s_or_b64 exec, exec, s[40:41]
	v_max_f32_e32 v3, v3, v3
	v_max_f32_e32 v1, v1, v1
	;; [unrolled: 1-line block ×3, first 2 shown]
	s_mov_b64 s[40:41], 0
.LBB6_6309:                             ;   in Loop: Header=BB6_5679 Depth=3
	s_and_b64 vcc, exec, s[40:41]
	s_cbranch_vccz .LBB6_6323
; %bb.6310:                             ;   in Loop: Header=BB6_5679 Depth=3
	v_mov_b32_e32 v3, 0
	v_mov_b32_e32 v1, 0
	s_and_saveexec_b64 s[40:41], s[28:29]
	s_cbranch_execz .LBB6_6316
; %bb.6311:                             ;   in Loop: Header=BB6_5679 Depth=3
	v_cmp_ne_u16_sdwa vcc, v2, s82 src0_sel:BYTE_0 src1_sel:DWORD
	v_bfrev_b32_e32 v1, 1
	s_and_saveexec_b64 s[28:29], vcc
	s_cbranch_execz .LBB6_6315
; %bb.6312:                             ;   in Loop: Header=BB6_5679 Depth=3
	v_bfe_u32 v6, v51, 16, 7
	v_cmp_ne_u32_e32 vcc, s83, v6
	v_mov_b32_e32 v1, 0x7f800001
	s_and_saveexec_b64 s[38:39], vcc
	s_cbranch_execz .LBB6_6314
; %bb.6313:                             ;   in Loop: Header=BB6_5679 Depth=3
	v_and_b32_e32 v1, 7, v2
	v_lshrrev_b32_e32 v31, 3, v6
	v_cmp_gt_u32_e32 vcc, 8, v6
	v_ffbh_u32_e32 v6, v1
	v_min_u32_e32 v36, 32, v6
	v_subrev_u32_e32 v6, 28, v36
	v_lshlrev_b64 v[6:7], v6, v[2:3]
	v_sub_u32_e32 v7, 29, v36
	v_and_b32_e32 v6, 7, v6
	v_cndmask_b32_e32 v7, v31, v7, vcc
	v_cndmask_b32_e32 v1, v1, v6, vcc
	v_lshlrev_b32_e32 v2, 24, v2
	v_bfrev_b32_e32 v6, 60
	v_lshlrev_b32_e32 v1, 20, v1
	v_and_b32_e32 v2, 0x80000000, v2
	v_lshl_add_u32 v6, v7, 23, v6
	v_or3_b32 v1, v2, v6, v1
.LBB6_6314:                             ;   in Loop: Header=BB6_5679 Depth=3
	s_or_b64 exec, exec, s[38:39]
.LBB6_6315:                             ;   in Loop: Header=BB6_5679 Depth=3
	s_or_b64 exec, exec, s[28:29]
.LBB6_6316:                             ;   in Loop: Header=BB6_5679 Depth=3
	s_or_b64 exec, exec, s[40:41]
	v_cmp_ne_u16_sdwa s[40:41], v0, v53 src0_sel:BYTE_0 src1_sel:DWORD
	s_and_saveexec_b64 s[28:29], s[40:41]
	s_cbranch_execz .LBB6_6322
; %bb.6317:                             ;   in Loop: Header=BB6_5679 Depth=3
	v_cmp_ne_u16_sdwa vcc, v0, s82 src0_sel:BYTE_0 src1_sel:DWORD
	v_bfrev_b32_e32 v3, 1
	s_and_saveexec_b64 s[40:41], vcc
	s_cbranch_execz .LBB6_6321
; %bb.6318:                             ;   in Loop: Header=BB6_5679 Depth=3
	v_bfe_u32 v2, v39, 16, 7
	v_cmp_ne_u32_e32 vcc, s83, v2
	v_mov_b32_e32 v3, 0x7f800001
	s_and_saveexec_b64 s[38:39], vcc
	s_cbranch_execz .LBB6_6320
; %bb.6319:                             ;   in Loop: Header=BB6_5679 Depth=3
	v_and_b32_e32 v6, 7, v0
	v_lshrrev_b32_e32 v7, 3, v2
	v_cmp_gt_u32_e32 vcc, 8, v2
	v_ffbh_u32_e32 v2, v6
	v_min_u32_e32 v31, 32, v2
	v_subrev_u32_e32 v2, 28, v31
	v_lshlrev_b64 v[2:3], v2, v[0:1]
	v_sub_u32_e32 v3, 29, v31
	v_and_b32_e32 v2, 7, v2
	v_cndmask_b32_e32 v3, v7, v3, vcc
	v_cndmask_b32_e32 v2, v6, v2, vcc
	v_lshlrev_b32_e32 v0, 24, v0
	v_bfrev_b32_e32 v6, 60
	v_lshlrev_b32_e32 v2, 20, v2
	v_and_b32_e32 v0, 0x80000000, v0
	v_lshl_add_u32 v3, v3, 23, v6
	v_or3_b32 v3, v0, v3, v2
.LBB6_6320:                             ;   in Loop: Header=BB6_5679 Depth=3
	s_or_b64 exec, exec, s[38:39]
.LBB6_6321:                             ;   in Loop: Header=BB6_5679 Depth=3
	s_or_b64 exec, exec, s[40:41]
.LBB6_6322:                             ;   in Loop: Header=BB6_5679 Depth=3
	s_or_b64 exec, exec, s[28:29]
	v_max_f32_e32 v0, v3, v3
	v_max_f32_e32 v1, v1, v1
	v_min_f32_e32 v1, v1, v0
.LBB6_6323:                             ;   in Loop: Header=BB6_5679 Depth=3
	v_and_b32_e32 v52, 0x7f800000, v1
	v_cmp_ne_u64_e32 vcc, s[76:77], v[52:53]
                                        ; implicit-def: $vgpr37
	s_and_saveexec_b64 s[28:29], vcc
	s_xor_b64 s[40:41], exec, s[28:29]
	s_cbranch_execz .LBB6_6337
; %bb.6324:                             ;   in Loop: Header=BB6_5679 Depth=3
	v_and_b32_e32 v52, 0x7fffffff, v1
	v_cmp_gt_u64_e32 vcc, s[78:79], v[52:53]
	v_and_b32_sdwa v3, v1, s82 dst_sel:DWORD dst_unused:UNUSED_PAD src0_sel:BYTE_3 src1_sel:DWORD
                                        ; implicit-def: $vgpr37
	s_and_saveexec_b64 s[28:29], vcc
	s_xor_b64 s[38:39], exec, s[28:29]
	s_cbranch_execz .LBB6_6334
; %bb.6325:                             ;   in Loop: Header=BB6_5679 Depth=3
	v_mov_b32_e32 v37, 0
	v_cmp_ne_u32_e32 vcc, 0, v1
	s_and_saveexec_b64 s[48:49], vcc
	s_cbranch_execz .LBB6_6333
; %bb.6326:                             ;   in Loop: Header=BB6_5679 Depth=3
	v_bfe_u32 v6, v1, 23, 8
	v_and_b32_e32 v0, 0x7fffff, v1
	v_cmp_gt_u32_e64 s[28:29], s85, v6
	v_sub_u32_e32 v1, 0x79, v6
	v_cmp_eq_u32_e32 vcc, 0, v6
	v_cndmask_b32_e64 v1, 0, v1, s[28:29]
	v_mov_b32_e32 v7, 0x78
	v_or_b32_e32 v2, 0x800000, v0
	v_cndmask_b32_e32 v7, v1, v7, vcc
	v_cndmask_b32_e32 v52, v2, v0, vcc
	v_add_u32_e32 v0, 20, v7
	v_lshlrev_b64 v[0:1], v0, -1
	v_add_u32_e32 v2, 19, v7
	v_lshlrev_b64 v[36:37], v2, 1
	v_bfi_b32 v1, v1, 0, 0
	v_bfi_b32 v0, v0, 0, v52
	v_cmp_eq_u64_e64 s[28:29], v[0:1], v[36:37]
	v_lshrrev_b64 v[0:1], v7, v[52:53]
	v_mov_b32_e32 v2, v1
	v_mov_b32_e32 v1, v0
	s_and_saveexec_b64 s[50:51], s[28:29]
; %bb.6327:                             ;   in Loop: Header=BB6_5679 Depth=3
	v_bfe_u32 v1, v0, 20, 1
	v_add_co_u32_e64 v1, s[28:29], v0, v1
	v_add_co_u32_e64 v1, s[28:29], -1, v1
; %bb.6328:                             ;   in Loop: Header=BB6_5679 Depth=3
	s_or_b64 exec, exec, s[50:51]
	v_add_u32_e32 v2, 0xffffff81, v6
	v_mov_b32_e32 v6, 0xffffff82
	v_cndmask_b32_e32 v2, v2, v6, vcc
	v_lshrrev_b32_e32 v6, 23, v0
	v_add3_u32 v7, v7, v2, v6
	v_add_u32_e32 v6, 6, v7
	v_and_b32_e32 v1, 0xfffff, v1
	v_add_u32_e32 v52, v1, v0
	v_cmp_ne_u32_e32 vcc, 0, v6
                                        ; implicit-def: $vgpr0_vgpr1
                                        ; implicit-def: $vgpr2
	s_and_saveexec_b64 s[28:29], vcc
	s_xor_b64 s[28:29], exec, s[28:29]
; %bb.6329:                             ;   in Loop: Header=BB6_5679 Depth=3
	v_cmp_lt_u64_e32 vcc, s[88:89], v[52:53]
	v_add_u32_e32 v0, 7, v7
	v_cndmask_b32_e32 v2, v6, v0, vcc
	v_cndmask_b32_e64 v0, 0, 1, vcc
	v_lshrrev_b64 v[0:1], v0, v[52:53]
; %bb.6330:                             ;   in Loop: Header=BB6_5679 Depth=3
	s_andn2_saveexec_b64 s[28:29], s[28:29]
; %bb.6331:                             ;   in Loop: Header=BB6_5679 Depth=3
	v_mov_b32_e32 v0, v52
	v_bfe_u32 v2, v52, 23, 1
	v_mov_b32_e32 v1, v53
; %bb.6332:                             ;   in Loop: Header=BB6_5679 Depth=3
	s_or_b64 exec, exec, s[28:29]
	v_lshrrev_b64 v[0:1], 20, v[0:1]
	v_cmp_gt_i32_e32 vcc, 16, v2
	v_cndmask_b32_e32 v1, 0, v1, vcc
	v_cndmask_b32_e32 v0, 7, v0, vcc
	v_cmp_eq_u64_e64 s[28:29], 0, v[0:1]
	v_min_i32_e32 v1, 15, v2
	v_lshlrev_b32_e32 v1, 3, v1
	v_cmp_eq_u32_e32 vcc, 0, v2
	v_and_b32_e32 v1, 0xf8, v1
	v_and_or_b32 v0, v0, 7, v1
	s_and_b64 s[28:29], vcc, s[28:29]
	v_cndmask_b32_e64 v0, v0, 0, s[28:29]
	v_or_b32_e32 v37, v0, v3
.LBB6_6333:                             ;   in Loop: Header=BB6_5679 Depth=3
	s_or_b64 exec, exec, s[48:49]
                                        ; implicit-def: $vgpr3
.LBB6_6334:                             ;   in Loop: Header=BB6_5679 Depth=3
	s_andn2_saveexec_b64 s[28:29], s[38:39]
; %bb.6335:                             ;   in Loop: Header=BB6_5679 Depth=3
	v_or_b32_e32 v37, 0x7e, v3
; %bb.6336:                             ;   in Loop: Header=BB6_5679 Depth=3
	s_or_b64 exec, exec, s[28:29]
                                        ; implicit-def: $vgpr1
.LBB6_6337:                             ;   in Loop: Header=BB6_5679 Depth=3
	s_andn2_saveexec_b64 s[28:29], s[40:41]
; %bb.6338:                             ;   in Loop: Header=BB6_5679 Depth=3
	v_or_b32_sdwa v37, v1, s83 dst_sel:DWORD dst_unused:UNUSED_PAD src0_sel:BYTE_3 src1_sel:DWORD
; %bb.6339:                             ;   in Loop: Header=BB6_5679 Depth=3
	s_or_b64 exec, exec, s[28:29]
	v_cmp_lt_u64_e64 s[28:29], s[62:63], v[50:51]
	v_lshrrev_b32_e32 v2, 24, v51
	v_lshrrev_b32_e32 v0, 24, v39
	s_mov_b64 s[40:41], -1
	s_and_b64 vcc, exec, s[46:47]
                                        ; implicit-def: $vgpr1
	s_cbranch_vccz .LBB6_6353
; %bb.6340:                             ;   in Loop: Header=BB6_5679 Depth=3
	v_mov_b32_e32 v3, 0
	v_mov_b32_e32 v1, 0
	s_and_saveexec_b64 s[40:41], s[28:29]
	s_cbranch_execz .LBB6_6346
; %bb.6341:                             ;   in Loop: Header=BB6_5679 Depth=3
	v_cmp_ne_u32_e32 vcc, s82, v2
	v_bfrev_b32_e32 v1, 1
	s_and_saveexec_b64 s[38:39], vcc
	s_cbranch_execz .LBB6_6345
; %bb.6342:                             ;   in Loop: Header=BB6_5679 Depth=3
	v_bfe_u32 v6, v51, 24, 7
	v_cmp_ne_u32_e32 vcc, s83, v6
	v_mov_b32_e32 v1, 0x7f800001
	s_and_saveexec_b64 s[48:49], vcc
	s_cbranch_execz .LBB6_6344
; %bb.6343:                             ;   in Loop: Header=BB6_5679 Depth=3
	v_and_b32_e32 v1, 7, v2
	v_lshrrev_b32_e32 v31, 3, v6
	v_cmp_gt_u32_e32 vcc, 8, v6
	v_ffbh_u32_e32 v6, v1
	v_min_u32_e32 v36, 32, v6
	v_subrev_u32_e32 v6, 28, v36
	v_lshlrev_b64 v[6:7], v6, v[2:3]
	v_sub_u32_e32 v7, 29, v36
	v_and_b32_e32 v6, 7, v6
	v_cndmask_b32_e32 v7, v31, v7, vcc
	v_cndmask_b32_e32 v1, v1, v6, vcc
	v_lshlrev_b32_e32 v6, 24, v2
	v_bfrev_b32_e32 v31, 60
	v_lshlrev_b32_e32 v1, 20, v1
	v_and_b32_e32 v6, 0x80000000, v6
	v_lshl_add_u32 v7, v7, 23, v31
	v_or3_b32 v1, v6, v7, v1
.LBB6_6344:                             ;   in Loop: Header=BB6_5679 Depth=3
	s_or_b64 exec, exec, s[48:49]
.LBB6_6345:                             ;   in Loop: Header=BB6_5679 Depth=3
	s_or_b64 exec, exec, s[38:39]
.LBB6_6346:                             ;   in Loop: Header=BB6_5679 Depth=3
	s_or_b64 exec, exec, s[40:41]
	v_cmp_lt_u64_e32 vcc, s[62:63], v[38:39]
	s_and_saveexec_b64 s[40:41], vcc
	s_cbranch_execz .LBB6_6352
; %bb.6347:                             ;   in Loop: Header=BB6_5679 Depth=3
	v_cmp_ne_u32_e32 vcc, s82, v0
	v_bfrev_b32_e32 v3, 1
	s_and_saveexec_b64 s[38:39], vcc
	s_cbranch_execz .LBB6_6351
; %bb.6348:                             ;   in Loop: Header=BB6_5679 Depth=3
	v_bfe_u32 v6, v39, 24, 7
	v_cmp_ne_u32_e32 vcc, s83, v6
	v_mov_b32_e32 v3, 0x7f800001
	s_and_saveexec_b64 s[48:49], vcc
	s_cbranch_execz .LBB6_6350
; %bb.6349:                             ;   in Loop: Header=BB6_5679 Depth=3
	v_and_b32_e32 v3, 7, v0
	v_lshrrev_b32_e32 v31, 3, v6
	v_cmp_gt_u32_e32 vcc, 8, v6
	v_ffbh_u32_e32 v6, v3
	v_min_u32_e32 v36, 32, v6
	v_subrev_u32_e32 v6, 28, v36
	v_lshlrev_b64 v[6:7], v6, v[0:1]
	v_sub_u32_e32 v7, 29, v36
	v_and_b32_e32 v6, 7, v6
	v_cndmask_b32_e32 v7, v31, v7, vcc
	v_cndmask_b32_e32 v3, v3, v6, vcc
	v_lshlrev_b32_e32 v6, 24, v0
	v_bfrev_b32_e32 v31, 60
	v_lshlrev_b32_e32 v3, 20, v3
	v_and_b32_e32 v6, 0x80000000, v6
	v_lshl_add_u32 v7, v7, 23, v31
	v_or3_b32 v3, v6, v7, v3
.LBB6_6350:                             ;   in Loop: Header=BB6_5679 Depth=3
	s_or_b64 exec, exec, s[48:49]
.LBB6_6351:                             ;   in Loop: Header=BB6_5679 Depth=3
	s_or_b64 exec, exec, s[38:39]
.LBB6_6352:                             ;   in Loop: Header=BB6_5679 Depth=3
	s_or_b64 exec, exec, s[40:41]
	v_max_f32_e32 v3, v3, v3
	v_max_f32_e32 v1, v1, v1
	;; [unrolled: 1-line block ×3, first 2 shown]
	s_mov_b64 s[40:41], 0
.LBB6_6353:                             ;   in Loop: Header=BB6_5679 Depth=3
	s_and_b64 vcc, exec, s[40:41]
	s_cbranch_vccz .LBB6_6367
; %bb.6354:                             ;   in Loop: Header=BB6_5679 Depth=3
	v_mov_b32_e32 v3, 0
	v_mov_b32_e32 v1, 0
	s_and_saveexec_b64 s[40:41], s[28:29]
	s_cbranch_execz .LBB6_6360
; %bb.6355:                             ;   in Loop: Header=BB6_5679 Depth=3
	v_cmp_ne_u32_e32 vcc, s82, v2
	v_bfrev_b32_e32 v1, 1
	s_and_saveexec_b64 s[28:29], vcc
	s_cbranch_execz .LBB6_6359
; %bb.6356:                             ;   in Loop: Header=BB6_5679 Depth=3
	v_bfe_u32 v6, v51, 24, 7
	v_cmp_ne_u32_e32 vcc, s83, v6
	v_mov_b32_e32 v1, 0x7f800001
	s_and_saveexec_b64 s[38:39], vcc
	s_cbranch_execz .LBB6_6358
; %bb.6357:                             ;   in Loop: Header=BB6_5679 Depth=3
	v_and_b32_e32 v1, 7, v2
	v_lshrrev_b32_e32 v31, 3, v6
	v_cmp_gt_u32_e32 vcc, 8, v6
	v_ffbh_u32_e32 v6, v1
	v_min_u32_e32 v36, 32, v6
	v_subrev_u32_e32 v6, 28, v36
	v_lshlrev_b64 v[6:7], v6, v[2:3]
	v_sub_u32_e32 v7, 29, v36
	v_and_b32_e32 v6, 7, v6
	v_cndmask_b32_e32 v7, v31, v7, vcc
	v_cndmask_b32_e32 v1, v1, v6, vcc
	v_lshlrev_b32_e32 v2, 24, v2
	v_bfrev_b32_e32 v6, 60
	v_lshlrev_b32_e32 v1, 20, v1
	v_and_b32_e32 v2, 0x80000000, v2
	v_lshl_add_u32 v6, v7, 23, v6
	v_or3_b32 v1, v2, v6, v1
.LBB6_6358:                             ;   in Loop: Header=BB6_5679 Depth=3
	s_or_b64 exec, exec, s[38:39]
.LBB6_6359:                             ;   in Loop: Header=BB6_5679 Depth=3
	s_or_b64 exec, exec, s[28:29]
.LBB6_6360:                             ;   in Loop: Header=BB6_5679 Depth=3
	s_or_b64 exec, exec, s[40:41]
	v_cmp_lt_u64_e32 vcc, s[62:63], v[38:39]
	s_and_saveexec_b64 s[28:29], vcc
	s_cbranch_execz .LBB6_6366
; %bb.6361:                             ;   in Loop: Header=BB6_5679 Depth=3
	v_cmp_ne_u32_e32 vcc, s82, v0
	v_bfrev_b32_e32 v3, 1
	s_and_saveexec_b64 s[40:41], vcc
	s_cbranch_execz .LBB6_6365
; %bb.6362:                             ;   in Loop: Header=BB6_5679 Depth=3
	v_bfe_u32 v2, v39, 24, 7
	v_cmp_ne_u32_e32 vcc, s83, v2
	v_mov_b32_e32 v3, 0x7f800001
	s_and_saveexec_b64 s[38:39], vcc
	s_cbranch_execz .LBB6_6364
; %bb.6363:                             ;   in Loop: Header=BB6_5679 Depth=3
	v_and_b32_e32 v6, 7, v0
	v_lshrrev_b32_e32 v7, 3, v2
	v_cmp_gt_u32_e32 vcc, 8, v2
	v_ffbh_u32_e32 v2, v6
	v_min_u32_e32 v31, 32, v2
	v_subrev_u32_e32 v2, 28, v31
	v_lshlrev_b64 v[2:3], v2, v[0:1]
	v_sub_u32_e32 v3, 29, v31
	v_and_b32_e32 v2, 7, v2
	v_cndmask_b32_e32 v3, v7, v3, vcc
	v_cndmask_b32_e32 v2, v6, v2, vcc
	v_lshlrev_b32_e32 v0, 24, v0
	v_bfrev_b32_e32 v6, 60
	v_lshlrev_b32_e32 v2, 20, v2
	v_and_b32_e32 v0, 0x80000000, v0
	v_lshl_add_u32 v3, v3, 23, v6
	v_or3_b32 v3, v0, v3, v2
.LBB6_6364:                             ;   in Loop: Header=BB6_5679 Depth=3
	s_or_b64 exec, exec, s[38:39]
.LBB6_6365:                             ;   in Loop: Header=BB6_5679 Depth=3
	s_or_b64 exec, exec, s[40:41]
.LBB6_6366:                             ;   in Loop: Header=BB6_5679 Depth=3
	s_or_b64 exec, exec, s[28:29]
	v_max_f32_e32 v0, v3, v3
	v_max_f32_e32 v1, v1, v1
	v_min_f32_e32 v1, v1, v0
.LBB6_6367:                             ;   in Loop: Header=BB6_5679 Depth=3
	v_and_b32_e32 v52, 0x7f800000, v1
	v_cmp_ne_u64_e32 vcc, s[76:77], v[52:53]
	buffer_store_dword v37, off, s[0:3], s33 offset:132 ; 4-byte Folded Spill
                                        ; implicit-def: $vgpr7
	s_and_saveexec_b64 s[28:29], vcc
	s_xor_b64 s[40:41], exec, s[28:29]
	s_cbranch_execz .LBB6_6381
; %bb.6368:                             ;   in Loop: Header=BB6_5679 Depth=3
	v_and_b32_e32 v52, 0x7fffffff, v1
	v_cmp_gt_u64_e32 vcc, s[78:79], v[52:53]
	v_and_b32_sdwa v3, v1, s82 dst_sel:DWORD dst_unused:UNUSED_PAD src0_sel:BYTE_3 src1_sel:DWORD
                                        ; implicit-def: $vgpr7
	s_and_saveexec_b64 s[28:29], vcc
	s_xor_b64 s[38:39], exec, s[28:29]
	s_cbranch_execz .LBB6_6378
; %bb.6369:                             ;   in Loop: Header=BB6_5679 Depth=3
	v_mov_b32_e32 v7, 0
	v_cmp_ne_u32_e32 vcc, 0, v1
	s_and_saveexec_b64 s[48:49], vcc
	s_cbranch_execz .LBB6_6377
; %bb.6370:                             ;   in Loop: Header=BB6_5679 Depth=3
	v_bfe_u32 v6, v1, 23, 8
	v_and_b32_e32 v0, 0x7fffff, v1
	v_cmp_gt_u32_e64 s[28:29], s85, v6
	v_sub_u32_e32 v1, 0x79, v6
	v_cmp_eq_u32_e32 vcc, 0, v6
	v_cndmask_b32_e64 v1, 0, v1, s[28:29]
	v_mov_b32_e32 v7, 0x78
	v_or_b32_e32 v2, 0x800000, v0
	v_cndmask_b32_e32 v7, v1, v7, vcc
	v_cndmask_b32_e32 v52, v2, v0, vcc
	v_add_u32_e32 v0, 20, v7
	v_lshlrev_b64 v[0:1], v0, -1
	v_add_u32_e32 v2, 19, v7
	v_lshlrev_b64 v[36:37], v2, 1
	v_bfi_b32 v1, v1, 0, 0
	v_bfi_b32 v0, v0, 0, v52
	v_cmp_eq_u64_e64 s[28:29], v[0:1], v[36:37]
	v_lshrrev_b64 v[0:1], v7, v[52:53]
	v_mov_b32_e32 v2, v1
	v_mov_b32_e32 v1, v0
	s_and_saveexec_b64 s[50:51], s[28:29]
; %bb.6371:                             ;   in Loop: Header=BB6_5679 Depth=3
	v_bfe_u32 v1, v0, 20, 1
	v_add_co_u32_e64 v1, s[28:29], v0, v1
	v_add_co_u32_e64 v1, s[28:29], -1, v1
; %bb.6372:                             ;   in Loop: Header=BB6_5679 Depth=3
	s_or_b64 exec, exec, s[50:51]
	v_add_u32_e32 v2, 0xffffff81, v6
	v_mov_b32_e32 v6, 0xffffff82
	v_cndmask_b32_e32 v2, v2, v6, vcc
	v_lshrrev_b32_e32 v6, 23, v0
	v_add3_u32 v7, v7, v2, v6
	v_add_u32_e32 v6, 6, v7
	v_and_b32_e32 v1, 0xfffff, v1
	v_add_u32_e32 v52, v1, v0
	v_cmp_ne_u32_e32 vcc, 0, v6
                                        ; implicit-def: $vgpr0_vgpr1
                                        ; implicit-def: $vgpr2
	s_and_saveexec_b64 s[28:29], vcc
	s_xor_b64 s[28:29], exec, s[28:29]
; %bb.6373:                             ;   in Loop: Header=BB6_5679 Depth=3
	v_cmp_lt_u64_e32 vcc, s[88:89], v[52:53]
	v_add_u32_e32 v0, 7, v7
	v_cndmask_b32_e32 v2, v6, v0, vcc
	v_cndmask_b32_e64 v0, 0, 1, vcc
	v_lshrrev_b64 v[0:1], v0, v[52:53]
; %bb.6374:                             ;   in Loop: Header=BB6_5679 Depth=3
	s_andn2_saveexec_b64 s[28:29], s[28:29]
; %bb.6375:                             ;   in Loop: Header=BB6_5679 Depth=3
	v_mov_b32_e32 v0, v52
	v_bfe_u32 v2, v52, 23, 1
	v_mov_b32_e32 v1, v53
; %bb.6376:                             ;   in Loop: Header=BB6_5679 Depth=3
	s_or_b64 exec, exec, s[28:29]
	v_lshrrev_b64 v[0:1], 20, v[0:1]
	v_cmp_gt_i32_e32 vcc, 16, v2
	v_cndmask_b32_e32 v1, 0, v1, vcc
	v_cndmask_b32_e32 v0, 7, v0, vcc
	v_cmp_eq_u64_e64 s[28:29], 0, v[0:1]
	v_min_i32_e32 v1, 15, v2
	v_lshlrev_b32_e32 v1, 3, v1
	v_cmp_eq_u32_e32 vcc, 0, v2
	v_and_b32_e32 v1, 0xf8, v1
	v_and_or_b32 v0, v0, 7, v1
	s_and_b64 s[28:29], vcc, s[28:29]
	v_cndmask_b32_e64 v0, v0, 0, s[28:29]
	v_or_b32_e32 v7, v0, v3
.LBB6_6377:                             ;   in Loop: Header=BB6_5679 Depth=3
	s_or_b64 exec, exec, s[48:49]
                                        ; implicit-def: $vgpr3
.LBB6_6378:                             ;   in Loop: Header=BB6_5679 Depth=3
	s_andn2_saveexec_b64 s[28:29], s[38:39]
; %bb.6379:                             ;   in Loop: Header=BB6_5679 Depth=3
	v_or_b32_e32 v7, 0x7e, v3
; %bb.6380:                             ;   in Loop: Header=BB6_5679 Depth=3
	s_or_b64 exec, exec, s[28:29]
                                        ; implicit-def: $vgpr1
.LBB6_6381:                             ;   in Loop: Header=BB6_5679 Depth=3
	s_andn2_saveexec_b64 s[28:29], s[40:41]
; %bb.6382:                             ;   in Loop: Header=BB6_5679 Depth=3
	v_or_b32_sdwa v7, v1, s83 dst_sel:DWORD dst_unused:UNUSED_PAD src0_sel:BYTE_3 src1_sel:DWORD
; %bb.6383:                             ;   in Loop: Header=BB6_5679 Depth=3
	s_or_b64 exec, exec, s[28:29]
	v_cndmask_b32_e64 v0, 0, 1, s[46:47]
	v_cmp_ne_u16_sdwa s[40:41], v32, v53 src0_sel:BYTE_0 src1_sel:DWORD
	v_cmp_ne_u32_e64 s[28:29], 1, v0
	s_andn2_b64 vcc, exec, s[46:47]
	s_mov_b64 s[38:39], -1
                                        ; implicit-def: $vgpr0
	s_cbranch_vccnz .LBB6_6397
; %bb.6384:                             ;   in Loop: Header=BB6_5679 Depth=3
	v_mov_b32_e32 v1, 0
	v_mov_b32_e32 v0, 0
	s_and_saveexec_b64 s[38:39], s[40:41]
	s_cbranch_execz .LBB6_6390
; %bb.6385:                             ;   in Loop: Header=BB6_5679 Depth=3
	v_cmp_ne_u16_sdwa vcc, v32, s82 src0_sel:BYTE_0 src1_sel:DWORD
	v_bfrev_b32_e32 v0, 1
	s_and_saveexec_b64 s[48:49], vcc
	s_cbranch_execz .LBB6_6389
; %bb.6386:                             ;   in Loop: Header=BB6_5679 Depth=3
	v_and_b32_e32 v2, 0x7f, v32
	v_cmp_ne_u32_e32 vcc, s83, v2
	v_mov_b32_e32 v0, 0x7f800001
	s_and_saveexec_b64 s[50:51], vcc
	s_cbranch_execz .LBB6_6388
; %bb.6387:                             ;   in Loop: Header=BB6_5679 Depth=3
	v_and_b32_e32 v0, 7, v32
	v_ffbh_u32_e32 v0, v0
	v_min_u32_e32 v0, 32, v0
	v_lshrrev_b32_e32 v3, 3, v2
	v_cmp_gt_u32_e32 vcc, 8, v2
	v_subrev_u32_e32 v2, 28, v0
	v_sub_u32_e32 v0, 29, v0
	v_cndmask_b32_e32 v2, 0, v2, vcc
	v_cndmask_b32_e32 v0, v3, v0, vcc
	v_lshlrev_b64 v[2:3], v2, v[32:33]
	v_lshlrev_b32_e32 v3, 24, v32
	v_lshlrev_b32_e32 v2, 20, v2
	v_bfrev_b32_e32 v6, 60
	v_and_b32_e32 v2, 0x700000, v2
	v_and_b32_e32 v3, 0x80000000, v3
	v_lshl_add_u32 v0, v0, 23, v6
	v_or3_b32 v0, v3, v0, v2
.LBB6_6388:                             ;   in Loop: Header=BB6_5679 Depth=3
	s_or_b64 exec, exec, s[50:51]
.LBB6_6389:                             ;   in Loop: Header=BB6_5679 Depth=3
	s_or_b64 exec, exec, s[48:49]
.LBB6_6390:                             ;   in Loop: Header=BB6_5679 Depth=3
	s_or_b64 exec, exec, s[38:39]
	s_waitcnt vmcnt(8)
	v_cmp_ne_u16_sdwa vcc, v24, v53 src0_sel:BYTE_0 src1_sel:DWORD
	s_and_saveexec_b64 s[38:39], vcc
	s_cbranch_execz .LBB6_6396
; %bb.6391:                             ;   in Loop: Header=BB6_5679 Depth=3
	v_cmp_ne_u16_sdwa vcc, v24, s82 src0_sel:BYTE_0 src1_sel:DWORD
	v_bfrev_b32_e32 v1, 1
	s_and_saveexec_b64 s[48:49], vcc
	s_cbranch_execz .LBB6_6395
; %bb.6392:                             ;   in Loop: Header=BB6_5679 Depth=3
	v_and_b32_e32 v2, 0x7f, v24
	v_cmp_ne_u32_e32 vcc, s83, v2
	v_mov_b32_e32 v1, 0x7f800001
	s_and_saveexec_b64 s[50:51], vcc
	s_cbranch_execz .LBB6_6394
; %bb.6393:                             ;   in Loop: Header=BB6_5679 Depth=3
	v_and_b32_e32 v1, 7, v24
	v_ffbh_u32_e32 v1, v1
	v_min_u32_e32 v1, 32, v1
	v_lshrrev_b32_e32 v3, 3, v2
	v_cmp_gt_u32_e32 vcc, 8, v2
	v_subrev_u32_e32 v2, 28, v1
	v_sub_u32_e32 v1, 29, v1
	v_cndmask_b32_e32 v3, v3, v1, vcc
	v_cndmask_b32_e32 v1, 0, v2, vcc
	v_lshlrev_b64 v[1:2], v1, v[24:25]
	v_lshlrev_b32_e32 v2, 24, v24
	v_lshlrev_b32_e32 v1, 20, v1
	v_bfrev_b32_e32 v6, 60
	v_and_b32_e32 v1, 0x700000, v1
	v_and_b32_e32 v2, 0x80000000, v2
	v_lshl_add_u32 v3, v3, 23, v6
	v_or3_b32 v1, v2, v3, v1
.LBB6_6394:                             ;   in Loop: Header=BB6_5679 Depth=3
	s_or_b64 exec, exec, s[50:51]
.LBB6_6395:                             ;   in Loop: Header=BB6_5679 Depth=3
	s_or_b64 exec, exec, s[48:49]
.LBB6_6396:                             ;   in Loop: Header=BB6_5679 Depth=3
	s_or_b64 exec, exec, s[38:39]
	v_max_f32_e32 v1, v1, v1
	v_max_f32_e32 v0, v0, v0
	;; [unrolled: 1-line block ×3, first 2 shown]
	s_mov_b64 s[38:39], 0
.LBB6_6397:                             ;   in Loop: Header=BB6_5679 Depth=3
	s_and_b64 vcc, exec, s[38:39]
	s_cbranch_vccz .LBB6_6411
; %bb.6398:                             ;   in Loop: Header=BB6_5679 Depth=3
	v_mov_b32_e32 v1, 0
	v_mov_b32_e32 v0, 0
	s_and_saveexec_b64 s[38:39], s[40:41]
	s_cbranch_execz .LBB6_6404
; %bb.6399:                             ;   in Loop: Header=BB6_5679 Depth=3
	v_cmp_ne_u16_sdwa vcc, v32, s82 src0_sel:BYTE_0 src1_sel:DWORD
	v_bfrev_b32_e32 v0, 1
	s_and_saveexec_b64 s[40:41], vcc
	s_cbranch_execz .LBB6_6403
; %bb.6400:                             ;   in Loop: Header=BB6_5679 Depth=3
	v_and_b32_e32 v2, 0x7f, v32
	v_cmp_ne_u32_e32 vcc, s83, v2
	v_mov_b32_e32 v0, 0x7f800001
	s_and_saveexec_b64 s[48:49], vcc
	s_cbranch_execz .LBB6_6402
; %bb.6401:                             ;   in Loop: Header=BB6_5679 Depth=3
	v_and_b32_e32 v0, 7, v32
	v_ffbh_u32_e32 v0, v0
	v_min_u32_e32 v0, 32, v0
	v_lshrrev_b32_e32 v3, 3, v2
	v_cmp_gt_u32_e32 vcc, 8, v2
	v_subrev_u32_e32 v2, 28, v0
	v_sub_u32_e32 v0, 29, v0
	v_cndmask_b32_e32 v2, 0, v2, vcc
	v_cndmask_b32_e32 v0, v3, v0, vcc
	v_lshlrev_b64 v[2:3], v2, v[32:33]
	v_lshlrev_b32_e32 v3, 24, v32
	v_lshlrev_b32_e32 v2, 20, v2
	v_bfrev_b32_e32 v6, 60
	v_and_b32_e32 v2, 0x700000, v2
	v_and_b32_e32 v3, 0x80000000, v3
	v_lshl_add_u32 v0, v0, 23, v6
	v_or3_b32 v0, v3, v0, v2
.LBB6_6402:                             ;   in Loop: Header=BB6_5679 Depth=3
	s_or_b64 exec, exec, s[48:49]
.LBB6_6403:                             ;   in Loop: Header=BB6_5679 Depth=3
	s_or_b64 exec, exec, s[40:41]
.LBB6_6404:                             ;   in Loop: Header=BB6_5679 Depth=3
	s_or_b64 exec, exec, s[38:39]
	s_waitcnt vmcnt(8)
	v_cmp_ne_u16_sdwa vcc, v24, v53 src0_sel:BYTE_0 src1_sel:DWORD
	s_and_saveexec_b64 s[40:41], vcc
	s_cbranch_execz .LBB6_6410
; %bb.6405:                             ;   in Loop: Header=BB6_5679 Depth=3
	v_cmp_ne_u16_sdwa vcc, v24, s82 src0_sel:BYTE_0 src1_sel:DWORD
	v_bfrev_b32_e32 v1, 1
	s_and_saveexec_b64 s[38:39], vcc
	s_cbranch_execz .LBB6_6409
; %bb.6406:                             ;   in Loop: Header=BB6_5679 Depth=3
	v_and_b32_e32 v2, 0x7f, v24
	v_cmp_ne_u32_e32 vcc, s83, v2
	v_mov_b32_e32 v1, 0x7f800001
	s_and_saveexec_b64 s[48:49], vcc
	s_cbranch_execz .LBB6_6408
; %bb.6407:                             ;   in Loop: Header=BB6_5679 Depth=3
	v_and_b32_e32 v1, 7, v24
	v_ffbh_u32_e32 v1, v1
	v_min_u32_e32 v1, 32, v1
	v_lshrrev_b32_e32 v3, 3, v2
	v_cmp_gt_u32_e32 vcc, 8, v2
	v_subrev_u32_e32 v2, 28, v1
	v_sub_u32_e32 v1, 29, v1
	v_cndmask_b32_e32 v3, v3, v1, vcc
	v_cndmask_b32_e32 v1, 0, v2, vcc
	v_lshlrev_b64 v[1:2], v1, v[24:25]
	v_lshlrev_b32_e32 v2, 24, v24
	v_lshlrev_b32_e32 v1, 20, v1
	v_bfrev_b32_e32 v6, 60
	v_and_b32_e32 v1, 0x700000, v1
	v_and_b32_e32 v2, 0x80000000, v2
	v_lshl_add_u32 v3, v3, 23, v6
	v_or3_b32 v1, v2, v3, v1
.LBB6_6408:                             ;   in Loop: Header=BB6_5679 Depth=3
	s_or_b64 exec, exec, s[48:49]
.LBB6_6409:                             ;   in Loop: Header=BB6_5679 Depth=3
	s_or_b64 exec, exec, s[38:39]
.LBB6_6410:                             ;   in Loop: Header=BB6_5679 Depth=3
	s_or_b64 exec, exec, s[40:41]
	v_max_f32_e32 v1, v1, v1
	v_max_f32_e32 v0, v0, v0
	v_min_f32_e32 v0, v0, v1
.LBB6_6411:                             ;   in Loop: Header=BB6_5679 Depth=3
	v_and_b32_e32 v52, 0x7f800000, v0
	v_cmp_ne_u64_e32 vcc, s[76:77], v[52:53]
	buffer_store_dword v7, off, s[0:3], s33 offset:136 ; 4-byte Folded Spill
                                        ; implicit-def: $vgpr37
	s_and_saveexec_b64 s[40:41], vcc
	s_xor_b64 s[38:39], exec, s[40:41]
	s_cbranch_execz .LBB6_6425
; %bb.6412:                             ;   in Loop: Header=BB6_5679 Depth=3
	v_and_b32_e32 v52, 0x7fffffff, v0
	v_cmp_gt_u64_e32 vcc, s[78:79], v[52:53]
	v_and_b32_sdwa v3, v0, s82 dst_sel:DWORD dst_unused:UNUSED_PAD src0_sel:BYTE_3 src1_sel:DWORD
                                        ; implicit-def: $vgpr37
	s_and_saveexec_b64 s[40:41], vcc
	s_xor_b64 s[48:49], exec, s[40:41]
	s_cbranch_execz .LBB6_6422
; %bb.6413:                             ;   in Loop: Header=BB6_5679 Depth=3
	v_mov_b32_e32 v37, 0
	v_cmp_ne_u32_e32 vcc, 0, v0
	s_and_saveexec_b64 s[50:51], vcc
	s_cbranch_execz .LBB6_6421
; %bb.6414:                             ;   in Loop: Header=BB6_5679 Depth=3
	v_bfe_u32 v6, v0, 23, 8
	v_and_b32_e32 v1, 0x7fffff, v0
	v_cmp_gt_u32_e64 s[40:41], s85, v6
	v_sub_u32_e32 v0, 0x79, v6
	v_cmp_eq_u32_e32 vcc, 0, v6
	v_cndmask_b32_e64 v0, 0, v0, s[40:41]
	v_mov_b32_e32 v7, 0x78
	v_cndmask_b32_e32 v7, v0, v7, vcc
	v_or_b32_e32 v2, 0x800000, v1
	v_add_u32_e32 v0, 20, v7
	v_cndmask_b32_e32 v52, v2, v1, vcc
	v_lshlrev_b64 v[0:1], v0, -1
	v_add_u32_e32 v2, 19, v7
	v_lshlrev_b64 v[36:37], v2, 1
	v_bfi_b32 v1, v1, 0, 0
	v_bfi_b32 v0, v0, 0, v52
	v_cmp_eq_u64_e64 s[40:41], v[0:1], v[36:37]
	v_lshrrev_b64 v[0:1], v7, v[52:53]
	v_mov_b32_e32 v2, v1
	v_mov_b32_e32 v1, v0
	s_and_saveexec_b64 s[52:53], s[40:41]
; %bb.6415:                             ;   in Loop: Header=BB6_5679 Depth=3
	v_bfe_u32 v1, v0, 20, 1
	v_add_co_u32_e64 v1, s[40:41], v0, v1
	v_add_co_u32_e64 v1, s[40:41], -1, v1
; %bb.6416:                             ;   in Loop: Header=BB6_5679 Depth=3
	s_or_b64 exec, exec, s[52:53]
	v_add_u32_e32 v2, 0xffffff81, v6
	v_mov_b32_e32 v6, 0xffffff82
	v_cndmask_b32_e32 v2, v2, v6, vcc
	v_lshrrev_b32_e32 v6, 23, v0
	v_add3_u32 v7, v7, v2, v6
	v_add_u32_e32 v6, 6, v7
	v_and_b32_e32 v1, 0xfffff, v1
	v_add_u32_e32 v52, v1, v0
	v_cmp_ne_u32_e32 vcc, 0, v6
                                        ; implicit-def: $vgpr0_vgpr1
                                        ; implicit-def: $vgpr2
	s_and_saveexec_b64 s[40:41], vcc
	s_xor_b64 s[40:41], exec, s[40:41]
; %bb.6417:                             ;   in Loop: Header=BB6_5679 Depth=3
	v_cmp_lt_u64_e32 vcc, s[88:89], v[52:53]
	v_add_u32_e32 v0, 7, v7
	v_cndmask_b32_e32 v2, v6, v0, vcc
	v_cndmask_b32_e64 v0, 0, 1, vcc
	v_lshrrev_b64 v[0:1], v0, v[52:53]
; %bb.6418:                             ;   in Loop: Header=BB6_5679 Depth=3
	s_andn2_saveexec_b64 s[40:41], s[40:41]
; %bb.6419:                             ;   in Loop: Header=BB6_5679 Depth=3
	v_mov_b32_e32 v0, v52
	v_bfe_u32 v2, v52, 23, 1
	v_mov_b32_e32 v1, v53
; %bb.6420:                             ;   in Loop: Header=BB6_5679 Depth=3
	s_or_b64 exec, exec, s[40:41]
	v_lshrrev_b64 v[0:1], 20, v[0:1]
	v_cmp_gt_i32_e32 vcc, 16, v2
	v_cndmask_b32_e32 v1, 0, v1, vcc
	v_cndmask_b32_e32 v0, 7, v0, vcc
	v_cmp_eq_u64_e64 s[40:41], 0, v[0:1]
	v_min_i32_e32 v1, 15, v2
	v_lshlrev_b32_e32 v1, 3, v1
	v_cmp_eq_u32_e32 vcc, 0, v2
	v_and_b32_e32 v1, 0xf8, v1
	v_and_or_b32 v0, v0, 7, v1
	s_and_b64 s[40:41], vcc, s[40:41]
	v_cndmask_b32_e64 v0, v0, 0, s[40:41]
	v_or_b32_e32 v37, v0, v3
.LBB6_6421:                             ;   in Loop: Header=BB6_5679 Depth=3
	s_or_b64 exec, exec, s[50:51]
                                        ; implicit-def: $vgpr3
.LBB6_6422:                             ;   in Loop: Header=BB6_5679 Depth=3
	s_andn2_saveexec_b64 s[40:41], s[48:49]
; %bb.6423:                             ;   in Loop: Header=BB6_5679 Depth=3
	v_or_b32_e32 v37, 0x7e, v3
; %bb.6424:                             ;   in Loop: Header=BB6_5679 Depth=3
	s_or_b64 exec, exec, s[40:41]
                                        ; implicit-def: $vgpr0
.LBB6_6425:                             ;   in Loop: Header=BB6_5679 Depth=3
	s_andn2_saveexec_b64 s[40:41], s[38:39]
; %bb.6426:                             ;   in Loop: Header=BB6_5679 Depth=3
	v_or_b32_sdwa v37, v0, s83 dst_sel:DWORD dst_unused:UNUSED_PAD src0_sel:BYTE_3 src1_sel:DWORD
; %bb.6427:                             ;   in Loop: Header=BB6_5679 Depth=3
	s_or_b64 exec, exec, s[40:41]
	v_lshrrev_b16_e32 v2, 8, v32
	s_waitcnt vmcnt(9)
	v_lshrrev_b16_e32 v0, 8, v24
	v_cmp_ne_u16_e64 s[40:41], 0, v2
	s_and_b64 vcc, exec, s[28:29]
	s_mov_b64 s[38:39], -1
                                        ; implicit-def: $vgpr1
	s_cbranch_vccnz .LBB6_6441
; %bb.6428:                             ;   in Loop: Header=BB6_5679 Depth=3
	v_mov_b32_e32 v3, 0
	v_mov_b32_e32 v1, 0
	s_and_saveexec_b64 s[38:39], s[40:41]
	s_cbranch_execz .LBB6_6434
; %bb.6429:                             ;   in Loop: Header=BB6_5679 Depth=3
	v_cmp_ne_u16_e32 vcc, s82, v2
	v_bfrev_b32_e32 v1, 1
	s_and_saveexec_b64 s[48:49], vcc
	s_cbranch_execz .LBB6_6433
; %bb.6430:                             ;   in Loop: Header=BB6_5679 Depth=3
	v_and_b32_e32 v6, 0x7f, v2
	v_cmp_ne_u32_e32 vcc, s83, v6
	v_mov_b32_e32 v1, 0x7f800001
	s_and_saveexec_b64 s[50:51], vcc
	s_cbranch_execz .LBB6_6432
; %bb.6431:                             ;   in Loop: Header=BB6_5679 Depth=3
	v_and_b32_e32 v1, 7, v2
	v_lshrrev_b32_e32 v31, 3, v6
	v_cmp_gt_u32_e32 vcc, 8, v6
	v_ffbh_u32_e32 v6, v1
	v_min_u32_e32 v36, 32, v6
	v_subrev_u32_e32 v6, 28, v36
	v_lshlrev_b64 v[6:7], v6, v[2:3]
	v_sub_u32_e32 v7, 29, v36
	v_and_b32_e32 v6, 7, v6
	v_cndmask_b32_e32 v7, v31, v7, vcc
	v_cndmask_b32_e32 v1, v1, v6, vcc
	v_lshlrev_b32_e32 v6, 16, v32
	v_bfrev_b32_e32 v31, 60
	v_lshlrev_b32_e32 v1, 20, v1
	v_and_b32_e32 v6, 0x80000000, v6
	v_lshl_add_u32 v7, v7, 23, v31
	v_or3_b32 v1, v6, v7, v1
.LBB6_6432:                             ;   in Loop: Header=BB6_5679 Depth=3
	s_or_b64 exec, exec, s[50:51]
.LBB6_6433:                             ;   in Loop: Header=BB6_5679 Depth=3
	s_or_b64 exec, exec, s[48:49]
.LBB6_6434:                             ;   in Loop: Header=BB6_5679 Depth=3
	s_or_b64 exec, exec, s[38:39]
	v_cmp_ne_u16_e32 vcc, 0, v0
	s_and_saveexec_b64 s[38:39], vcc
	s_cbranch_execz .LBB6_6440
; %bb.6435:                             ;   in Loop: Header=BB6_5679 Depth=3
	v_cmp_ne_u16_e32 vcc, s82, v0
	v_bfrev_b32_e32 v3, 1
	s_and_saveexec_b64 s[48:49], vcc
	s_cbranch_execz .LBB6_6439
; %bb.6436:                             ;   in Loop: Header=BB6_5679 Depth=3
	v_and_b32_e32 v6, 0x7f, v0
	v_cmp_ne_u32_e32 vcc, s83, v6
	v_mov_b32_e32 v3, 0x7f800001
	s_and_saveexec_b64 s[50:51], vcc
	s_cbranch_execz .LBB6_6438
; %bb.6437:                             ;   in Loop: Header=BB6_5679 Depth=3
	v_and_b32_e32 v3, 7, v0
	v_lshrrev_b32_e32 v31, 3, v6
	v_cmp_gt_u32_e32 vcc, 8, v6
	v_ffbh_u32_e32 v6, v3
	v_min_u32_e32 v36, 32, v6
	v_subrev_u32_e32 v6, 28, v36
	v_lshlrev_b64 v[6:7], v6, v[0:1]
	v_sub_u32_e32 v7, 29, v36
	v_and_b32_e32 v6, 7, v6
	v_cndmask_b32_e32 v7, v31, v7, vcc
	v_cndmask_b32_e32 v3, v3, v6, vcc
	v_lshlrev_b32_e32 v6, 16, v24
	v_bfrev_b32_e32 v31, 60
	v_lshlrev_b32_e32 v3, 20, v3
	v_and_b32_e32 v6, 0x80000000, v6
	v_lshl_add_u32 v7, v7, 23, v31
	v_or3_b32 v3, v6, v7, v3
.LBB6_6438:                             ;   in Loop: Header=BB6_5679 Depth=3
	s_or_b64 exec, exec, s[50:51]
.LBB6_6439:                             ;   in Loop: Header=BB6_5679 Depth=3
	s_or_b64 exec, exec, s[48:49]
.LBB6_6440:                             ;   in Loop: Header=BB6_5679 Depth=3
	s_or_b64 exec, exec, s[38:39]
	v_max_f32_e32 v3, v3, v3
	v_max_f32_e32 v1, v1, v1
	;; [unrolled: 1-line block ×3, first 2 shown]
	s_mov_b64 s[38:39], 0
.LBB6_6441:                             ;   in Loop: Header=BB6_5679 Depth=3
	s_and_b64 vcc, exec, s[38:39]
	s_cbranch_vccz .LBB6_6455
; %bb.6442:                             ;   in Loop: Header=BB6_5679 Depth=3
	v_mov_b32_e32 v3, 0
	v_mov_b32_e32 v1, 0
	s_and_saveexec_b64 s[38:39], s[40:41]
	s_cbranch_execz .LBB6_6448
; %bb.6443:                             ;   in Loop: Header=BB6_5679 Depth=3
	v_cmp_ne_u16_e32 vcc, s82, v2
	v_bfrev_b32_e32 v1, 1
	s_and_saveexec_b64 s[40:41], vcc
	s_cbranch_execz .LBB6_6447
; %bb.6444:                             ;   in Loop: Header=BB6_5679 Depth=3
	v_and_b32_e32 v6, 0x7f, v2
	v_cmp_ne_u32_e32 vcc, s83, v6
	v_mov_b32_e32 v1, 0x7f800001
	s_and_saveexec_b64 s[48:49], vcc
	s_cbranch_execz .LBB6_6446
; %bb.6445:                             ;   in Loop: Header=BB6_5679 Depth=3
	v_and_b32_e32 v7, 7, v2
	v_ffbh_u32_e32 v1, v7
	v_lshrrev_b32_e32 v31, 3, v6
	v_cmp_gt_u32_e32 vcc, 8, v6
	v_min_u32_e32 v6, 32, v1
	v_subrev_u32_e32 v1, 28, v6
	v_lshlrev_b64 v[1:2], v1, v[2:3]
	v_sub_u32_e32 v2, 29, v6
	v_and_b32_e32 v1, 7, v1
	v_cndmask_b32_e32 v2, v31, v2, vcc
	v_cndmask_b32_e32 v1, v7, v1, vcc
	v_lshlrev_b32_e32 v6, 16, v32
	v_bfrev_b32_e32 v7, 60
	v_lshlrev_b32_e32 v1, 20, v1
	v_and_b32_e32 v6, 0x80000000, v6
	v_lshl_add_u32 v2, v2, 23, v7
	v_or3_b32 v1, v6, v2, v1
.LBB6_6446:                             ;   in Loop: Header=BB6_5679 Depth=3
	s_or_b64 exec, exec, s[48:49]
.LBB6_6447:                             ;   in Loop: Header=BB6_5679 Depth=3
	s_or_b64 exec, exec, s[40:41]
.LBB6_6448:                             ;   in Loop: Header=BB6_5679 Depth=3
	s_or_b64 exec, exec, s[38:39]
	v_cmp_ne_u16_e32 vcc, 0, v0
	s_and_saveexec_b64 s[40:41], vcc
	s_cbranch_execz .LBB6_6454
; %bb.6449:                             ;   in Loop: Header=BB6_5679 Depth=3
	v_cmp_ne_u16_e32 vcc, s82, v0
	v_bfrev_b32_e32 v3, 1
	s_and_saveexec_b64 s[38:39], vcc
	s_cbranch_execz .LBB6_6453
; %bb.6450:                             ;   in Loop: Header=BB6_5679 Depth=3
	v_and_b32_e32 v2, 0x7f, v0
	v_cmp_ne_u32_e32 vcc, s83, v2
	v_mov_b32_e32 v3, 0x7f800001
	s_and_saveexec_b64 s[48:49], vcc
	s_cbranch_execz .LBB6_6452
; %bb.6451:                             ;   in Loop: Header=BB6_5679 Depth=3
	v_and_b32_e32 v6, 7, v0
	v_lshrrev_b32_e32 v7, 3, v2
	v_cmp_gt_u32_e32 vcc, 8, v2
	v_ffbh_u32_e32 v2, v6
	v_min_u32_e32 v31, 32, v2
	v_subrev_u32_e32 v2, 28, v31
	v_lshlrev_b64 v[2:3], v2, v[0:1]
	v_sub_u32_e32 v0, 29, v31
	v_and_b32_e32 v2, 7, v2
	v_cndmask_b32_e32 v0, v7, v0, vcc
	v_cndmask_b32_e32 v2, v6, v2, vcc
	v_lshlrev_b32_e32 v3, 16, v24
	v_bfrev_b32_e32 v6, 60
	v_lshlrev_b32_e32 v2, 20, v2
	v_and_b32_e32 v3, 0x80000000, v3
	v_lshl_add_u32 v0, v0, 23, v6
	v_or3_b32 v3, v3, v0, v2
.LBB6_6452:                             ;   in Loop: Header=BB6_5679 Depth=3
	s_or_b64 exec, exec, s[48:49]
.LBB6_6453:                             ;   in Loop: Header=BB6_5679 Depth=3
	s_or_b64 exec, exec, s[38:39]
.LBB6_6454:                             ;   in Loop: Header=BB6_5679 Depth=3
	s_or_b64 exec, exec, s[40:41]
	v_max_f32_e32 v0, v3, v3
	v_max_f32_e32 v1, v1, v1
	v_min_f32_e32 v1, v1, v0
.LBB6_6455:                             ;   in Loop: Header=BB6_5679 Depth=3
	v_and_b32_e32 v52, 0x7f800000, v1
	v_cmp_ne_u64_e32 vcc, s[76:77], v[52:53]
	buffer_store_dword v37, off, s[0:3], s33 offset:140 ; 4-byte Folded Spill
                                        ; implicit-def: $vgpr37
	s_and_saveexec_b64 s[40:41], vcc
	s_xor_b64 s[38:39], exec, s[40:41]
	s_cbranch_execz .LBB6_6469
; %bb.6456:                             ;   in Loop: Header=BB6_5679 Depth=3
	v_and_b32_e32 v52, 0x7fffffff, v1
	v_cmp_gt_u64_e32 vcc, s[78:79], v[52:53]
	v_and_b32_sdwa v3, v1, s82 dst_sel:DWORD dst_unused:UNUSED_PAD src0_sel:BYTE_3 src1_sel:DWORD
                                        ; implicit-def: $vgpr37
	s_and_saveexec_b64 s[40:41], vcc
	s_xor_b64 s[48:49], exec, s[40:41]
	s_cbranch_execz .LBB6_6466
; %bb.6457:                             ;   in Loop: Header=BB6_5679 Depth=3
	v_mov_b32_e32 v37, 0
	v_cmp_ne_u32_e32 vcc, 0, v1
	s_and_saveexec_b64 s[50:51], vcc
	s_cbranch_execz .LBB6_6465
; %bb.6458:                             ;   in Loop: Header=BB6_5679 Depth=3
	v_bfe_u32 v6, v1, 23, 8
	v_and_b32_e32 v0, 0x7fffff, v1
	v_cmp_gt_u32_e64 s[40:41], s85, v6
	v_sub_u32_e32 v1, 0x79, v6
	v_cmp_eq_u32_e32 vcc, 0, v6
	v_cndmask_b32_e64 v1, 0, v1, s[40:41]
	v_mov_b32_e32 v7, 0x78
	v_or_b32_e32 v2, 0x800000, v0
	v_cndmask_b32_e32 v7, v1, v7, vcc
	v_cndmask_b32_e32 v52, v2, v0, vcc
	v_add_u32_e32 v0, 20, v7
	v_lshlrev_b64 v[0:1], v0, -1
	v_add_u32_e32 v2, 19, v7
	v_lshlrev_b64 v[36:37], v2, 1
	v_bfi_b32 v1, v1, 0, 0
	v_bfi_b32 v0, v0, 0, v52
	v_cmp_eq_u64_e64 s[40:41], v[0:1], v[36:37]
	v_lshrrev_b64 v[0:1], v7, v[52:53]
	v_mov_b32_e32 v2, v1
	v_mov_b32_e32 v1, v0
	s_and_saveexec_b64 s[52:53], s[40:41]
; %bb.6459:                             ;   in Loop: Header=BB6_5679 Depth=3
	v_bfe_u32 v1, v0, 20, 1
	v_add_co_u32_e64 v1, s[40:41], v0, v1
	v_add_co_u32_e64 v1, s[40:41], -1, v1
; %bb.6460:                             ;   in Loop: Header=BB6_5679 Depth=3
	s_or_b64 exec, exec, s[52:53]
	v_add_u32_e32 v2, 0xffffff81, v6
	v_mov_b32_e32 v6, 0xffffff82
	v_cndmask_b32_e32 v2, v2, v6, vcc
	v_lshrrev_b32_e32 v6, 23, v0
	v_add3_u32 v7, v7, v2, v6
	v_add_u32_e32 v6, 6, v7
	v_and_b32_e32 v1, 0xfffff, v1
	v_add_u32_e32 v52, v1, v0
	v_cmp_ne_u32_e32 vcc, 0, v6
                                        ; implicit-def: $vgpr0_vgpr1
                                        ; implicit-def: $vgpr2
	s_and_saveexec_b64 s[40:41], vcc
	s_xor_b64 s[40:41], exec, s[40:41]
; %bb.6461:                             ;   in Loop: Header=BB6_5679 Depth=3
	v_cmp_lt_u64_e32 vcc, s[88:89], v[52:53]
	v_add_u32_e32 v0, 7, v7
	v_cndmask_b32_e32 v2, v6, v0, vcc
	v_cndmask_b32_e64 v0, 0, 1, vcc
	v_lshrrev_b64 v[0:1], v0, v[52:53]
; %bb.6462:                             ;   in Loop: Header=BB6_5679 Depth=3
	s_andn2_saveexec_b64 s[40:41], s[40:41]
; %bb.6463:                             ;   in Loop: Header=BB6_5679 Depth=3
	v_mov_b32_e32 v0, v52
	v_bfe_u32 v2, v52, 23, 1
	v_mov_b32_e32 v1, v53
; %bb.6464:                             ;   in Loop: Header=BB6_5679 Depth=3
	s_or_b64 exec, exec, s[40:41]
	v_lshrrev_b64 v[0:1], 20, v[0:1]
	v_cmp_gt_i32_e32 vcc, 16, v2
	v_cndmask_b32_e32 v1, 0, v1, vcc
	v_cndmask_b32_e32 v0, 7, v0, vcc
	v_cmp_eq_u64_e64 s[40:41], 0, v[0:1]
	v_min_i32_e32 v1, 15, v2
	v_lshlrev_b32_e32 v1, 3, v1
	v_cmp_eq_u32_e32 vcc, 0, v2
	v_and_b32_e32 v1, 0xf8, v1
	v_and_or_b32 v0, v0, 7, v1
	s_and_b64 s[40:41], vcc, s[40:41]
	v_cndmask_b32_e64 v0, v0, 0, s[40:41]
	v_or_b32_e32 v37, v0, v3
.LBB6_6465:                             ;   in Loop: Header=BB6_5679 Depth=3
	s_or_b64 exec, exec, s[50:51]
                                        ; implicit-def: $vgpr3
.LBB6_6466:                             ;   in Loop: Header=BB6_5679 Depth=3
	s_andn2_saveexec_b64 s[40:41], s[48:49]
; %bb.6467:                             ;   in Loop: Header=BB6_5679 Depth=3
	v_or_b32_e32 v37, 0x7e, v3
; %bb.6468:                             ;   in Loop: Header=BB6_5679 Depth=3
	s_or_b64 exec, exec, s[40:41]
                                        ; implicit-def: $vgpr1
.LBB6_6469:                             ;   in Loop: Header=BB6_5679 Depth=3
	s_andn2_saveexec_b64 s[40:41], s[38:39]
; %bb.6470:                             ;   in Loop: Header=BB6_5679 Depth=3
	v_or_b32_sdwa v37, v1, s83 dst_sel:DWORD dst_unused:UNUSED_PAD src0_sel:BYTE_3 src1_sel:DWORD
; %bb.6471:                             ;   in Loop: Header=BB6_5679 Depth=3
	s_or_b64 exec, exec, s[40:41]
	v_lshrrev_b32_e32 v2, 16, v32
	v_lshrrev_b32_e32 v0, 16, v24
	v_cmp_ne_u16_sdwa s[40:41], v2, v53 src0_sel:BYTE_0 src1_sel:DWORD
	s_and_b64 vcc, exec, s[28:29]
	s_mov_b64 s[38:39], -1
                                        ; implicit-def: $vgpr1
	s_cbranch_vccnz .LBB6_6485
; %bb.6472:                             ;   in Loop: Header=BB6_5679 Depth=3
	v_mov_b32_e32 v3, 0
	v_mov_b32_e32 v1, 0
	s_and_saveexec_b64 s[38:39], s[40:41]
	s_cbranch_execz .LBB6_6478
; %bb.6473:                             ;   in Loop: Header=BB6_5679 Depth=3
	v_cmp_ne_u16_sdwa vcc, v2, s82 src0_sel:BYTE_0 src1_sel:DWORD
	v_bfrev_b32_e32 v1, 1
	s_and_saveexec_b64 s[48:49], vcc
	s_cbranch_execz .LBB6_6477
; %bb.6474:                             ;   in Loop: Header=BB6_5679 Depth=3
	v_bfe_u32 v6, v32, 16, 7
	v_cmp_ne_u32_e32 vcc, s83, v6
	v_mov_b32_e32 v1, 0x7f800001
	s_and_saveexec_b64 s[50:51], vcc
	s_cbranch_execz .LBB6_6476
; %bb.6475:                             ;   in Loop: Header=BB6_5679 Depth=3
	v_and_b32_e32 v1, 7, v2
	v_lshrrev_b32_e32 v31, 3, v6
	v_cmp_gt_u32_e32 vcc, 8, v6
	v_ffbh_u32_e32 v6, v1
	v_min_u32_e32 v36, 32, v6
	v_subrev_u32_e32 v6, 28, v36
	v_lshlrev_b64 v[6:7], v6, v[2:3]
	v_sub_u32_e32 v7, 29, v36
	v_and_b32_e32 v6, 7, v6
	v_cndmask_b32_e32 v7, v31, v7, vcc
	v_cndmask_b32_e32 v1, v1, v6, vcc
	v_lshlrev_b32_e32 v6, 24, v2
	v_bfrev_b32_e32 v31, 60
	v_lshlrev_b32_e32 v1, 20, v1
	v_and_b32_e32 v6, 0x80000000, v6
	v_lshl_add_u32 v7, v7, 23, v31
	v_or3_b32 v1, v6, v7, v1
.LBB6_6476:                             ;   in Loop: Header=BB6_5679 Depth=3
	s_or_b64 exec, exec, s[50:51]
.LBB6_6477:                             ;   in Loop: Header=BB6_5679 Depth=3
	s_or_b64 exec, exec, s[48:49]
.LBB6_6478:                             ;   in Loop: Header=BB6_5679 Depth=3
	s_or_b64 exec, exec, s[38:39]
	v_cmp_ne_u16_sdwa vcc, v0, v53 src0_sel:BYTE_0 src1_sel:DWORD
	s_and_saveexec_b64 s[38:39], vcc
	s_cbranch_execz .LBB6_6484
; %bb.6479:                             ;   in Loop: Header=BB6_5679 Depth=3
	v_cmp_ne_u16_sdwa vcc, v0, s82 src0_sel:BYTE_0 src1_sel:DWORD
	v_bfrev_b32_e32 v3, 1
	s_and_saveexec_b64 s[48:49], vcc
	s_cbranch_execz .LBB6_6483
; %bb.6480:                             ;   in Loop: Header=BB6_5679 Depth=3
	v_bfe_u32 v6, v24, 16, 7
	v_cmp_ne_u32_e32 vcc, s83, v6
	v_mov_b32_e32 v3, 0x7f800001
	s_and_saveexec_b64 s[50:51], vcc
	s_cbranch_execz .LBB6_6482
; %bb.6481:                             ;   in Loop: Header=BB6_5679 Depth=3
	v_and_b32_e32 v3, 7, v0
	v_lshrrev_b32_e32 v31, 3, v6
	v_cmp_gt_u32_e32 vcc, 8, v6
	v_ffbh_u32_e32 v6, v3
	v_min_u32_e32 v36, 32, v6
	v_subrev_u32_e32 v6, 28, v36
	v_lshlrev_b64 v[6:7], v6, v[0:1]
	v_sub_u32_e32 v7, 29, v36
	v_and_b32_e32 v6, 7, v6
	v_cndmask_b32_e32 v7, v31, v7, vcc
	v_cndmask_b32_e32 v3, v3, v6, vcc
	v_lshlrev_b32_e32 v6, 24, v0
	v_bfrev_b32_e32 v31, 60
	v_lshlrev_b32_e32 v3, 20, v3
	v_and_b32_e32 v6, 0x80000000, v6
	v_lshl_add_u32 v7, v7, 23, v31
	v_or3_b32 v3, v6, v7, v3
.LBB6_6482:                             ;   in Loop: Header=BB6_5679 Depth=3
	s_or_b64 exec, exec, s[50:51]
.LBB6_6483:                             ;   in Loop: Header=BB6_5679 Depth=3
	s_or_b64 exec, exec, s[48:49]
.LBB6_6484:                             ;   in Loop: Header=BB6_5679 Depth=3
	s_or_b64 exec, exec, s[38:39]
	v_max_f32_e32 v3, v3, v3
	v_max_f32_e32 v1, v1, v1
	v_max_f32_e32 v1, v1, v3
	s_mov_b64 s[38:39], 0
.LBB6_6485:                             ;   in Loop: Header=BB6_5679 Depth=3
	s_and_b64 vcc, exec, s[38:39]
	s_cbranch_vccz .LBB6_6499
; %bb.6486:                             ;   in Loop: Header=BB6_5679 Depth=3
	v_mov_b32_e32 v3, 0
	v_mov_b32_e32 v1, 0
	s_and_saveexec_b64 s[38:39], s[40:41]
	s_cbranch_execz .LBB6_6492
; %bb.6487:                             ;   in Loop: Header=BB6_5679 Depth=3
	v_cmp_ne_u16_sdwa vcc, v2, s82 src0_sel:BYTE_0 src1_sel:DWORD
	v_bfrev_b32_e32 v1, 1
	s_and_saveexec_b64 s[40:41], vcc
	s_cbranch_execz .LBB6_6491
; %bb.6488:                             ;   in Loop: Header=BB6_5679 Depth=3
	v_bfe_u32 v6, v32, 16, 7
	v_cmp_ne_u32_e32 vcc, s83, v6
	v_mov_b32_e32 v1, 0x7f800001
	s_and_saveexec_b64 s[48:49], vcc
	s_cbranch_execz .LBB6_6490
; %bb.6489:                             ;   in Loop: Header=BB6_5679 Depth=3
	v_and_b32_e32 v1, 7, v2
	v_lshrrev_b32_e32 v31, 3, v6
	v_cmp_gt_u32_e32 vcc, 8, v6
	v_ffbh_u32_e32 v6, v1
	v_min_u32_e32 v36, 32, v6
	v_subrev_u32_e32 v6, 28, v36
	v_lshlrev_b64 v[6:7], v6, v[2:3]
	v_sub_u32_e32 v7, 29, v36
	v_and_b32_e32 v6, 7, v6
	v_cndmask_b32_e32 v7, v31, v7, vcc
	v_cndmask_b32_e32 v1, v1, v6, vcc
	v_lshlrev_b32_e32 v2, 24, v2
	v_bfrev_b32_e32 v6, 60
	v_lshlrev_b32_e32 v1, 20, v1
	v_and_b32_e32 v2, 0x80000000, v2
	v_lshl_add_u32 v6, v7, 23, v6
	v_or3_b32 v1, v2, v6, v1
.LBB6_6490:                             ;   in Loop: Header=BB6_5679 Depth=3
	s_or_b64 exec, exec, s[48:49]
.LBB6_6491:                             ;   in Loop: Header=BB6_5679 Depth=3
	s_or_b64 exec, exec, s[40:41]
.LBB6_6492:                             ;   in Loop: Header=BB6_5679 Depth=3
	s_or_b64 exec, exec, s[38:39]
	v_cmp_ne_u16_sdwa vcc, v0, v53 src0_sel:BYTE_0 src1_sel:DWORD
	s_and_saveexec_b64 s[40:41], vcc
	s_cbranch_execz .LBB6_6498
; %bb.6493:                             ;   in Loop: Header=BB6_5679 Depth=3
	v_cmp_ne_u16_sdwa vcc, v0, s82 src0_sel:BYTE_0 src1_sel:DWORD
	v_bfrev_b32_e32 v3, 1
	s_and_saveexec_b64 s[38:39], vcc
	s_cbranch_execz .LBB6_6497
; %bb.6494:                             ;   in Loop: Header=BB6_5679 Depth=3
	v_bfe_u32 v2, v24, 16, 7
	v_cmp_ne_u32_e32 vcc, s83, v2
	v_mov_b32_e32 v3, 0x7f800001
	s_and_saveexec_b64 s[48:49], vcc
	s_cbranch_execz .LBB6_6496
; %bb.6495:                             ;   in Loop: Header=BB6_5679 Depth=3
	v_and_b32_e32 v6, 7, v0
	v_lshrrev_b32_e32 v7, 3, v2
	v_cmp_gt_u32_e32 vcc, 8, v2
	v_ffbh_u32_e32 v2, v6
	v_min_u32_e32 v31, 32, v2
	v_subrev_u32_e32 v2, 28, v31
	v_lshlrev_b64 v[2:3], v2, v[0:1]
	v_sub_u32_e32 v3, 29, v31
	v_and_b32_e32 v2, 7, v2
	v_cndmask_b32_e32 v3, v7, v3, vcc
	v_cndmask_b32_e32 v2, v6, v2, vcc
	v_lshlrev_b32_e32 v0, 24, v0
	v_bfrev_b32_e32 v6, 60
	v_lshlrev_b32_e32 v2, 20, v2
	v_and_b32_e32 v0, 0x80000000, v0
	v_lshl_add_u32 v3, v3, 23, v6
	v_or3_b32 v3, v0, v3, v2
.LBB6_6496:                             ;   in Loop: Header=BB6_5679 Depth=3
	s_or_b64 exec, exec, s[48:49]
.LBB6_6497:                             ;   in Loop: Header=BB6_5679 Depth=3
	s_or_b64 exec, exec, s[38:39]
.LBB6_6498:                             ;   in Loop: Header=BB6_5679 Depth=3
	s_or_b64 exec, exec, s[40:41]
	v_max_f32_e32 v0, v3, v3
	v_max_f32_e32 v1, v1, v1
	v_min_f32_e32 v1, v1, v0
.LBB6_6499:                             ;   in Loop: Header=BB6_5679 Depth=3
	v_and_b32_e32 v52, 0x7f800000, v1
	v_cmp_ne_u64_e32 vcc, s[76:77], v[52:53]
	buffer_store_dword v37, off, s[0:3], s33 offset:144 ; 4-byte Folded Spill
                                        ; implicit-def: $vgpr37
	s_and_saveexec_b64 s[40:41], vcc
	s_xor_b64 s[38:39], exec, s[40:41]
	s_cbranch_execz .LBB6_6513
; %bb.6500:                             ;   in Loop: Header=BB6_5679 Depth=3
	v_and_b32_e32 v52, 0x7fffffff, v1
	v_cmp_gt_u64_e32 vcc, s[78:79], v[52:53]
	v_and_b32_sdwa v3, v1, s82 dst_sel:DWORD dst_unused:UNUSED_PAD src0_sel:BYTE_3 src1_sel:DWORD
                                        ; implicit-def: $vgpr37
	s_and_saveexec_b64 s[40:41], vcc
	s_xor_b64 s[48:49], exec, s[40:41]
	s_cbranch_execz .LBB6_6510
; %bb.6501:                             ;   in Loop: Header=BB6_5679 Depth=3
	v_mov_b32_e32 v37, 0
	v_cmp_ne_u32_e32 vcc, 0, v1
	s_and_saveexec_b64 s[50:51], vcc
	s_cbranch_execz .LBB6_6509
; %bb.6502:                             ;   in Loop: Header=BB6_5679 Depth=3
	v_bfe_u32 v6, v1, 23, 8
	v_and_b32_e32 v0, 0x7fffff, v1
	v_cmp_gt_u32_e64 s[40:41], s85, v6
	v_sub_u32_e32 v1, 0x79, v6
	v_cmp_eq_u32_e32 vcc, 0, v6
	v_cndmask_b32_e64 v1, 0, v1, s[40:41]
	v_mov_b32_e32 v7, 0x78
	v_or_b32_e32 v2, 0x800000, v0
	v_cndmask_b32_e32 v7, v1, v7, vcc
	v_cndmask_b32_e32 v52, v2, v0, vcc
	v_add_u32_e32 v0, 20, v7
	v_lshlrev_b64 v[0:1], v0, -1
	v_add_u32_e32 v2, 19, v7
	v_lshlrev_b64 v[36:37], v2, 1
	v_bfi_b32 v1, v1, 0, 0
	v_bfi_b32 v0, v0, 0, v52
	v_cmp_eq_u64_e64 s[40:41], v[0:1], v[36:37]
	v_lshrrev_b64 v[0:1], v7, v[52:53]
	v_mov_b32_e32 v2, v1
	v_mov_b32_e32 v1, v0
	s_and_saveexec_b64 s[52:53], s[40:41]
; %bb.6503:                             ;   in Loop: Header=BB6_5679 Depth=3
	v_bfe_u32 v1, v0, 20, 1
	v_add_co_u32_e64 v1, s[40:41], v0, v1
	v_add_co_u32_e64 v1, s[40:41], -1, v1
; %bb.6504:                             ;   in Loop: Header=BB6_5679 Depth=3
	s_or_b64 exec, exec, s[52:53]
	v_add_u32_e32 v2, 0xffffff81, v6
	v_mov_b32_e32 v6, 0xffffff82
	v_cndmask_b32_e32 v2, v2, v6, vcc
	v_lshrrev_b32_e32 v6, 23, v0
	v_add3_u32 v7, v7, v2, v6
	v_add_u32_e32 v6, 6, v7
	v_and_b32_e32 v1, 0xfffff, v1
	v_add_u32_e32 v52, v1, v0
	v_cmp_ne_u32_e32 vcc, 0, v6
                                        ; implicit-def: $vgpr0_vgpr1
                                        ; implicit-def: $vgpr2
	s_and_saveexec_b64 s[40:41], vcc
	s_xor_b64 s[40:41], exec, s[40:41]
; %bb.6505:                             ;   in Loop: Header=BB6_5679 Depth=3
	v_cmp_lt_u64_e32 vcc, s[88:89], v[52:53]
	v_add_u32_e32 v0, 7, v7
	v_cndmask_b32_e32 v2, v6, v0, vcc
	v_cndmask_b32_e64 v0, 0, 1, vcc
	v_lshrrev_b64 v[0:1], v0, v[52:53]
; %bb.6506:                             ;   in Loop: Header=BB6_5679 Depth=3
	s_andn2_saveexec_b64 s[40:41], s[40:41]
; %bb.6507:                             ;   in Loop: Header=BB6_5679 Depth=3
	v_mov_b32_e32 v0, v52
	v_bfe_u32 v2, v52, 23, 1
	v_mov_b32_e32 v1, v53
; %bb.6508:                             ;   in Loop: Header=BB6_5679 Depth=3
	s_or_b64 exec, exec, s[40:41]
	v_lshrrev_b64 v[0:1], 20, v[0:1]
	v_cmp_gt_i32_e32 vcc, 16, v2
	v_cndmask_b32_e32 v1, 0, v1, vcc
	v_cndmask_b32_e32 v0, 7, v0, vcc
	v_cmp_eq_u64_e64 s[40:41], 0, v[0:1]
	v_min_i32_e32 v1, 15, v2
	v_lshlrev_b32_e32 v1, 3, v1
	v_cmp_eq_u32_e32 vcc, 0, v2
	v_and_b32_e32 v1, 0xf8, v1
	v_and_or_b32 v0, v0, 7, v1
	s_and_b64 s[40:41], vcc, s[40:41]
	v_cndmask_b32_e64 v0, v0, 0, s[40:41]
	v_or_b32_e32 v37, v0, v3
.LBB6_6509:                             ;   in Loop: Header=BB6_5679 Depth=3
	s_or_b64 exec, exec, s[50:51]
                                        ; implicit-def: $vgpr3
.LBB6_6510:                             ;   in Loop: Header=BB6_5679 Depth=3
	s_andn2_saveexec_b64 s[40:41], s[48:49]
; %bb.6511:                             ;   in Loop: Header=BB6_5679 Depth=3
	v_or_b32_e32 v37, 0x7e, v3
; %bb.6512:                             ;   in Loop: Header=BB6_5679 Depth=3
	s_or_b64 exec, exec, s[40:41]
                                        ; implicit-def: $vgpr1
.LBB6_6513:                             ;   in Loop: Header=BB6_5679 Depth=3
	s_andn2_saveexec_b64 s[40:41], s[38:39]
; %bb.6514:                             ;   in Loop: Header=BB6_5679 Depth=3
	v_or_b32_sdwa v37, v1, s83 dst_sel:DWORD dst_unused:UNUSED_PAD src0_sel:BYTE_3 src1_sel:DWORD
; %bb.6515:                             ;   in Loop: Header=BB6_5679 Depth=3
	s_or_b64 exec, exec, s[40:41]
	v_lshrrev_b32_e32 v2, 24, v32
	v_lshrrev_b32_e32 v0, 24, v24
	v_cmp_lt_u32_e64 s[40:41], s63, v32
	s_and_b64 vcc, exec, s[28:29]
	s_mov_b64 s[38:39], -1
                                        ; implicit-def: $vgpr1
	s_cbranch_vccnz .LBB6_6529
; %bb.6516:                             ;   in Loop: Header=BB6_5679 Depth=3
	v_mov_b32_e32 v3, 0
	v_mov_b32_e32 v1, 0
	s_and_saveexec_b64 s[38:39], s[40:41]
	s_cbranch_execz .LBB6_6522
; %bb.6517:                             ;   in Loop: Header=BB6_5679 Depth=3
	v_cmp_ne_u32_e32 vcc, s82, v2
	v_bfrev_b32_e32 v1, 1
	s_and_saveexec_b64 s[48:49], vcc
	s_cbranch_execz .LBB6_6521
; %bb.6518:                             ;   in Loop: Header=BB6_5679 Depth=3
	v_bfe_u32 v6, v32, 24, 7
	v_cmp_ne_u32_e32 vcc, s83, v6
	v_mov_b32_e32 v1, 0x7f800001
	s_and_saveexec_b64 s[50:51], vcc
	s_cbranch_execz .LBB6_6520
; %bb.6519:                             ;   in Loop: Header=BB6_5679 Depth=3
	v_and_b32_e32 v1, 7, v2
	v_lshrrev_b32_e32 v31, 3, v6
	v_cmp_gt_u32_e32 vcc, 8, v6
	v_ffbh_u32_e32 v6, v1
	v_min_u32_e32 v36, 32, v6
	v_subrev_u32_e32 v6, 28, v36
	v_lshlrev_b64 v[6:7], v6, v[2:3]
	v_sub_u32_e32 v7, 29, v36
	v_and_b32_e32 v6, 7, v6
	v_cndmask_b32_e32 v7, v31, v7, vcc
	v_cndmask_b32_e32 v1, v1, v6, vcc
	v_lshlrev_b32_e32 v6, 24, v2
	v_bfrev_b32_e32 v31, 60
	v_lshlrev_b32_e32 v1, 20, v1
	v_and_b32_e32 v6, 0x80000000, v6
	v_lshl_add_u32 v7, v7, 23, v31
	v_or3_b32 v1, v6, v7, v1
.LBB6_6520:                             ;   in Loop: Header=BB6_5679 Depth=3
	s_or_b64 exec, exec, s[50:51]
.LBB6_6521:                             ;   in Loop: Header=BB6_5679 Depth=3
	s_or_b64 exec, exec, s[48:49]
.LBB6_6522:                             ;   in Loop: Header=BB6_5679 Depth=3
	s_or_b64 exec, exec, s[38:39]
	v_cmp_lt_u32_e32 vcc, s63, v24
	s_and_saveexec_b64 s[38:39], vcc
	s_cbranch_execz .LBB6_6528
; %bb.6523:                             ;   in Loop: Header=BB6_5679 Depth=3
	v_cmp_ne_u32_e32 vcc, s82, v0
	v_bfrev_b32_e32 v3, 1
	s_and_saveexec_b64 s[48:49], vcc
	s_cbranch_execz .LBB6_6527
; %bb.6524:                             ;   in Loop: Header=BB6_5679 Depth=3
	v_bfe_u32 v6, v24, 24, 7
	v_cmp_ne_u32_e32 vcc, s83, v6
	v_mov_b32_e32 v3, 0x7f800001
	s_and_saveexec_b64 s[50:51], vcc
	s_cbranch_execz .LBB6_6526
; %bb.6525:                             ;   in Loop: Header=BB6_5679 Depth=3
	v_and_b32_e32 v3, 7, v0
	v_lshrrev_b32_e32 v31, 3, v6
	v_cmp_gt_u32_e32 vcc, 8, v6
	v_ffbh_u32_e32 v6, v3
	v_min_u32_e32 v36, 32, v6
	v_subrev_u32_e32 v6, 28, v36
	v_lshlrev_b64 v[6:7], v6, v[0:1]
	v_sub_u32_e32 v7, 29, v36
	v_and_b32_e32 v6, 7, v6
	v_cndmask_b32_e32 v7, v31, v7, vcc
	v_cndmask_b32_e32 v3, v3, v6, vcc
	v_lshlrev_b32_e32 v6, 24, v0
	v_bfrev_b32_e32 v31, 60
	v_lshlrev_b32_e32 v3, 20, v3
	v_and_b32_e32 v6, 0x80000000, v6
	v_lshl_add_u32 v7, v7, 23, v31
	v_or3_b32 v3, v6, v7, v3
.LBB6_6526:                             ;   in Loop: Header=BB6_5679 Depth=3
	s_or_b64 exec, exec, s[50:51]
.LBB6_6527:                             ;   in Loop: Header=BB6_5679 Depth=3
	s_or_b64 exec, exec, s[48:49]
.LBB6_6528:                             ;   in Loop: Header=BB6_5679 Depth=3
	s_or_b64 exec, exec, s[38:39]
	v_max_f32_e32 v3, v3, v3
	v_max_f32_e32 v1, v1, v1
	;; [unrolled: 1-line block ×3, first 2 shown]
	s_mov_b64 s[38:39], 0
.LBB6_6529:                             ;   in Loop: Header=BB6_5679 Depth=3
	s_and_b64 vcc, exec, s[38:39]
	s_cbranch_vccz .LBB6_6543
; %bb.6530:                             ;   in Loop: Header=BB6_5679 Depth=3
	v_mov_b32_e32 v3, 0
	v_mov_b32_e32 v1, 0
	s_and_saveexec_b64 s[38:39], s[40:41]
	s_cbranch_execz .LBB6_6536
; %bb.6531:                             ;   in Loop: Header=BB6_5679 Depth=3
	v_cmp_ne_u32_e32 vcc, s82, v2
	v_bfrev_b32_e32 v1, 1
	s_and_saveexec_b64 s[40:41], vcc
	s_cbranch_execz .LBB6_6535
; %bb.6532:                             ;   in Loop: Header=BB6_5679 Depth=3
	v_bfe_u32 v6, v32, 24, 7
	v_cmp_ne_u32_e32 vcc, s83, v6
	v_mov_b32_e32 v1, 0x7f800001
	s_and_saveexec_b64 s[48:49], vcc
	s_cbranch_execz .LBB6_6534
; %bb.6533:                             ;   in Loop: Header=BB6_5679 Depth=3
	v_and_b32_e32 v1, 7, v2
	v_lshrrev_b32_e32 v31, 3, v6
	v_cmp_gt_u32_e32 vcc, 8, v6
	v_ffbh_u32_e32 v6, v1
	v_min_u32_e32 v36, 32, v6
	v_subrev_u32_e32 v6, 28, v36
	v_lshlrev_b64 v[6:7], v6, v[2:3]
	v_sub_u32_e32 v7, 29, v36
	v_and_b32_e32 v6, 7, v6
	v_cndmask_b32_e32 v7, v31, v7, vcc
	v_cndmask_b32_e32 v1, v1, v6, vcc
	v_lshlrev_b32_e32 v2, 24, v2
	v_bfrev_b32_e32 v6, 60
	v_lshlrev_b32_e32 v1, 20, v1
	v_and_b32_e32 v2, 0x80000000, v2
	v_lshl_add_u32 v6, v7, 23, v6
	v_or3_b32 v1, v2, v6, v1
.LBB6_6534:                             ;   in Loop: Header=BB6_5679 Depth=3
	s_or_b64 exec, exec, s[48:49]
.LBB6_6535:                             ;   in Loop: Header=BB6_5679 Depth=3
	s_or_b64 exec, exec, s[40:41]
.LBB6_6536:                             ;   in Loop: Header=BB6_5679 Depth=3
	s_or_b64 exec, exec, s[38:39]
	v_cmp_lt_u32_e32 vcc, s63, v24
	s_and_saveexec_b64 s[40:41], vcc
	s_cbranch_execz .LBB6_6542
; %bb.6537:                             ;   in Loop: Header=BB6_5679 Depth=3
	v_cmp_ne_u32_e32 vcc, s82, v0
	v_bfrev_b32_e32 v3, 1
	s_and_saveexec_b64 s[38:39], vcc
	s_cbranch_execz .LBB6_6541
; %bb.6538:                             ;   in Loop: Header=BB6_5679 Depth=3
	v_bfe_u32 v2, v24, 24, 7
	v_cmp_ne_u32_e32 vcc, s83, v2
	v_mov_b32_e32 v3, 0x7f800001
	s_and_saveexec_b64 s[48:49], vcc
	s_cbranch_execz .LBB6_6540
; %bb.6539:                             ;   in Loop: Header=BB6_5679 Depth=3
	v_and_b32_e32 v6, 7, v0
	v_lshrrev_b32_e32 v7, 3, v2
	v_cmp_gt_u32_e32 vcc, 8, v2
	v_ffbh_u32_e32 v2, v6
	v_min_u32_e32 v31, 32, v2
	v_subrev_u32_e32 v2, 28, v31
	v_lshlrev_b64 v[2:3], v2, v[0:1]
	v_sub_u32_e32 v3, 29, v31
	v_and_b32_e32 v2, 7, v2
	v_cndmask_b32_e32 v3, v7, v3, vcc
	v_cndmask_b32_e32 v2, v6, v2, vcc
	v_lshlrev_b32_e32 v0, 24, v0
	v_bfrev_b32_e32 v6, 60
	v_lshlrev_b32_e32 v2, 20, v2
	v_and_b32_e32 v0, 0x80000000, v0
	v_lshl_add_u32 v3, v3, 23, v6
	v_or3_b32 v3, v0, v3, v2
.LBB6_6540:                             ;   in Loop: Header=BB6_5679 Depth=3
	s_or_b64 exec, exec, s[48:49]
.LBB6_6541:                             ;   in Loop: Header=BB6_5679 Depth=3
	s_or_b64 exec, exec, s[38:39]
.LBB6_6542:                             ;   in Loop: Header=BB6_5679 Depth=3
	s_or_b64 exec, exec, s[40:41]
	v_max_f32_e32 v0, v3, v3
	v_max_f32_e32 v1, v1, v1
	v_min_f32_e32 v1, v1, v0
.LBB6_6543:                             ;   in Loop: Header=BB6_5679 Depth=3
	v_and_b32_e32 v52, 0x7f800000, v1
	v_cmp_ne_u64_e32 vcc, s[76:77], v[52:53]
	buffer_store_dword v37, off, s[0:3], s33 offset:148 ; 4-byte Folded Spill
                                        ; implicit-def: $vgpr55
	s_and_saveexec_b64 s[40:41], vcc
	s_xor_b64 s[38:39], exec, s[40:41]
	s_cbranch_execz .LBB6_6557
; %bb.6544:                             ;   in Loop: Header=BB6_5679 Depth=3
	v_and_b32_e32 v52, 0x7fffffff, v1
	v_cmp_gt_u64_e32 vcc, s[78:79], v[52:53]
	v_and_b32_sdwa v3, v1, s82 dst_sel:DWORD dst_unused:UNUSED_PAD src0_sel:BYTE_3 src1_sel:DWORD
                                        ; implicit-def: $vgpr55
	s_and_saveexec_b64 s[40:41], vcc
	s_xor_b64 s[48:49], exec, s[40:41]
	s_cbranch_execz .LBB6_6554
; %bb.6545:                             ;   in Loop: Header=BB6_5679 Depth=3
	v_mov_b32_e32 v55, 0
	v_cmp_ne_u32_e32 vcc, 0, v1
	s_and_saveexec_b64 s[50:51], vcc
	s_cbranch_execz .LBB6_6553
; %bb.6546:                             ;   in Loop: Header=BB6_5679 Depth=3
	v_bfe_u32 v6, v1, 23, 8
	v_and_b32_e32 v0, 0x7fffff, v1
	v_cmp_gt_u32_e64 s[40:41], s85, v6
	v_sub_u32_e32 v1, 0x79, v6
	v_cmp_eq_u32_e32 vcc, 0, v6
	v_cndmask_b32_e64 v1, 0, v1, s[40:41]
	v_mov_b32_e32 v7, 0x78
	v_or_b32_e32 v2, 0x800000, v0
	v_cndmask_b32_e32 v7, v1, v7, vcc
	v_cndmask_b32_e32 v52, v2, v0, vcc
	v_add_u32_e32 v0, 20, v7
	v_lshlrev_b64 v[0:1], v0, -1
	v_add_u32_e32 v2, 19, v7
	v_lshlrev_b64 v[36:37], v2, 1
	v_bfi_b32 v1, v1, 0, 0
	v_bfi_b32 v0, v0, 0, v52
	v_cmp_eq_u64_e64 s[40:41], v[0:1], v[36:37]
	v_lshrrev_b64 v[0:1], v7, v[52:53]
	v_mov_b32_e32 v2, v1
	v_mov_b32_e32 v1, v0
	s_and_saveexec_b64 s[52:53], s[40:41]
; %bb.6547:                             ;   in Loop: Header=BB6_5679 Depth=3
	v_bfe_u32 v1, v0, 20, 1
	v_add_co_u32_e64 v1, s[40:41], v0, v1
	v_add_co_u32_e64 v1, s[40:41], -1, v1
; %bb.6548:                             ;   in Loop: Header=BB6_5679 Depth=3
	s_or_b64 exec, exec, s[52:53]
	v_add_u32_e32 v2, 0xffffff81, v6
	v_mov_b32_e32 v6, 0xffffff82
	v_cndmask_b32_e32 v2, v2, v6, vcc
	v_lshrrev_b32_e32 v6, 23, v0
	v_add3_u32 v7, v7, v2, v6
	v_add_u32_e32 v6, 6, v7
	v_and_b32_e32 v1, 0xfffff, v1
	v_add_u32_e32 v52, v1, v0
	v_cmp_ne_u32_e32 vcc, 0, v6
                                        ; implicit-def: $vgpr0_vgpr1
                                        ; implicit-def: $vgpr2
	s_and_saveexec_b64 s[40:41], vcc
	s_xor_b64 s[40:41], exec, s[40:41]
; %bb.6549:                             ;   in Loop: Header=BB6_5679 Depth=3
	v_cmp_lt_u64_e32 vcc, s[88:89], v[52:53]
	v_add_u32_e32 v0, 7, v7
	v_cndmask_b32_e32 v2, v6, v0, vcc
	v_cndmask_b32_e64 v0, 0, 1, vcc
	v_lshrrev_b64 v[0:1], v0, v[52:53]
; %bb.6550:                             ;   in Loop: Header=BB6_5679 Depth=3
	s_andn2_saveexec_b64 s[40:41], s[40:41]
; %bb.6551:                             ;   in Loop: Header=BB6_5679 Depth=3
	v_mov_b32_e32 v0, v52
	v_bfe_u32 v2, v52, 23, 1
	v_mov_b32_e32 v1, v53
; %bb.6552:                             ;   in Loop: Header=BB6_5679 Depth=3
	s_or_b64 exec, exec, s[40:41]
	v_lshrrev_b64 v[0:1], 20, v[0:1]
	v_cmp_gt_i32_e32 vcc, 16, v2
	v_cndmask_b32_e32 v1, 0, v1, vcc
	v_cndmask_b32_e32 v0, 7, v0, vcc
	v_cmp_eq_u64_e64 s[40:41], 0, v[0:1]
	v_min_i32_e32 v1, 15, v2
	v_lshlrev_b32_e32 v1, 3, v1
	v_cmp_eq_u32_e32 vcc, 0, v2
	v_and_b32_e32 v1, 0xf8, v1
	v_and_or_b32 v0, v0, 7, v1
	s_and_b64 s[40:41], vcc, s[40:41]
	v_cndmask_b32_e64 v0, v0, 0, s[40:41]
	v_or_b32_e32 v55, v0, v3
.LBB6_6553:                             ;   in Loop: Header=BB6_5679 Depth=3
	s_or_b64 exec, exec, s[50:51]
                                        ; implicit-def: $vgpr3
.LBB6_6554:                             ;   in Loop: Header=BB6_5679 Depth=3
	s_andn2_saveexec_b64 s[40:41], s[48:49]
; %bb.6555:                             ;   in Loop: Header=BB6_5679 Depth=3
	v_or_b32_e32 v55, 0x7e, v3
; %bb.6556:                             ;   in Loop: Header=BB6_5679 Depth=3
	s_or_b64 exec, exec, s[40:41]
                                        ; implicit-def: $vgpr1
.LBB6_6557:                             ;   in Loop: Header=BB6_5679 Depth=3
	s_andn2_saveexec_b64 s[40:41], s[38:39]
; %bb.6558:                             ;   in Loop: Header=BB6_5679 Depth=3
	v_or_b32_sdwa v55, v1, s83 dst_sel:DWORD dst_unused:UNUSED_PAD src0_sel:BYTE_3 src1_sel:DWORD
; %bb.6559:                             ;   in Loop: Header=BB6_5679 Depth=3
	s_or_b64 exec, exec, s[40:41]
	v_mov_b32_e32 v52, v33
	v_mov_b32_e32 v2, v25
	;; [unrolled: 1-line block ×3, first 2 shown]
	v_cmp_ne_u16_sdwa s[40:41], v33, v53 src0_sel:BYTE_0 src1_sel:DWORD
	s_and_b64 vcc, exec, s[28:29]
	s_mov_b64 s[38:39], -1
                                        ; implicit-def: $vgpr0
	s_cbranch_vccnz .LBB6_6573
; %bb.6560:                             ;   in Loop: Header=BB6_5679 Depth=3
	v_mov_b32_e32 v1, 0
	v_mov_b32_e32 v0, 0
	s_and_saveexec_b64 s[38:39], s[40:41]
	s_cbranch_execz .LBB6_6566
; %bb.6561:                             ;   in Loop: Header=BB6_5679 Depth=3
	v_cmp_ne_u16_sdwa vcc, v33, s82 src0_sel:BYTE_0 src1_sel:DWORD
	v_bfrev_b32_e32 v0, 1
	s_and_saveexec_b64 s[48:49], vcc
	s_cbranch_execz .LBB6_6565
; %bb.6562:                             ;   in Loop: Header=BB6_5679 Depth=3
	v_and_b32_e32 v6, 0x7f, v33
	v_cmp_ne_u32_e32 vcc, s83, v6
	v_mov_b32_e32 v0, 0x7f800001
	s_and_saveexec_b64 s[50:51], vcc
	s_cbranch_execz .LBB6_6564
; %bb.6563:                             ;   in Loop: Header=BB6_5679 Depth=3
	v_and_b32_e32 v0, 7, v33
	v_ffbh_u32_e32 v0, v0
	v_min_u32_e32 v0, 32, v0
	v_lshrrev_b32_e32 v7, 3, v6
	v_cmp_gt_u32_e32 vcc, 8, v6
	v_subrev_u32_e32 v6, 28, v0
	v_sub_u32_e32 v0, 29, v0
	v_cndmask_b32_e32 v6, 0, v6, vcc
	v_cndmask_b32_e32 v0, v7, v0, vcc
	v_lshlrev_b64 v[6:7], v6, v[52:53]
	v_lshlrev_b32_e32 v7, 24, v52
	v_lshlrev_b32_e32 v6, 20, v6
	v_bfrev_b32_e32 v31, 60
	v_and_b32_e32 v6, 0x700000, v6
	v_and_b32_e32 v7, 0x80000000, v7
	v_lshl_add_u32 v0, v0, 23, v31
	v_or3_b32 v0, v7, v0, v6
.LBB6_6564:                             ;   in Loop: Header=BB6_5679 Depth=3
	s_or_b64 exec, exec, s[50:51]
.LBB6_6565:                             ;   in Loop: Header=BB6_5679 Depth=3
	s_or_b64 exec, exec, s[48:49]
.LBB6_6566:                             ;   in Loop: Header=BB6_5679 Depth=3
	s_or_b64 exec, exec, s[38:39]
	v_cmp_ne_u16_sdwa vcc, v25, v53 src0_sel:BYTE_0 src1_sel:DWORD
	s_and_saveexec_b64 s[38:39], vcc
	s_cbranch_execz .LBB6_6572
; %bb.6567:                             ;   in Loop: Header=BB6_5679 Depth=3
	v_cmp_ne_u16_sdwa vcc, v25, s82 src0_sel:BYTE_0 src1_sel:DWORD
	v_bfrev_b32_e32 v1, 1
	s_and_saveexec_b64 s[48:49], vcc
	s_cbranch_execz .LBB6_6571
; %bb.6568:                             ;   in Loop: Header=BB6_5679 Depth=3
	v_and_b32_e32 v6, 0x7f, v25
	v_cmp_ne_u32_e32 vcc, s83, v6
	v_mov_b32_e32 v1, 0x7f800001
	s_and_saveexec_b64 s[50:51], vcc
	s_cbranch_execz .LBB6_6570
; %bb.6569:                             ;   in Loop: Header=BB6_5679 Depth=3
	v_and_b32_e32 v1, 7, v25
	v_ffbh_u32_e32 v1, v1
	v_min_u32_e32 v1, 32, v1
	v_lshrrev_b32_e32 v7, 3, v6
	v_cmp_gt_u32_e32 vcc, 8, v6
	v_subrev_u32_e32 v6, 28, v1
	v_sub_u32_e32 v1, 29, v1
	v_cndmask_b32_e32 v6, 0, v6, vcc
	v_cndmask_b32_e32 v1, v7, v1, vcc
	v_lshlrev_b64 v[6:7], v6, v[2:3]
	v_lshlrev_b32_e32 v7, 24, v2
	v_lshlrev_b32_e32 v6, 20, v6
	v_bfrev_b32_e32 v31, 60
	v_and_b32_e32 v6, 0x700000, v6
	v_and_b32_e32 v7, 0x80000000, v7
	v_lshl_add_u32 v1, v1, 23, v31
	v_or3_b32 v1, v7, v1, v6
.LBB6_6570:                             ;   in Loop: Header=BB6_5679 Depth=3
	s_or_b64 exec, exec, s[50:51]
.LBB6_6571:                             ;   in Loop: Header=BB6_5679 Depth=3
	s_or_b64 exec, exec, s[48:49]
.LBB6_6572:                             ;   in Loop: Header=BB6_5679 Depth=3
	s_or_b64 exec, exec, s[38:39]
	v_max_f32_e32 v1, v1, v1
	v_max_f32_e32 v0, v0, v0
	;; [unrolled: 1-line block ×3, first 2 shown]
	s_mov_b64 s[38:39], 0
.LBB6_6573:                             ;   in Loop: Header=BB6_5679 Depth=3
	s_and_b64 vcc, exec, s[38:39]
	s_cbranch_vccz .LBB6_6587
; %bb.6574:                             ;   in Loop: Header=BB6_5679 Depth=3
	v_mov_b32_e32 v1, 0
	v_mov_b32_e32 v0, 0
	s_and_saveexec_b64 s[38:39], s[40:41]
	s_cbranch_execz .LBB6_6580
; %bb.6575:                             ;   in Loop: Header=BB6_5679 Depth=3
	v_cmp_ne_u16_sdwa vcc, v33, s82 src0_sel:BYTE_0 src1_sel:DWORD
	v_bfrev_b32_e32 v0, 1
	s_and_saveexec_b64 s[40:41], vcc
	s_cbranch_execz .LBB6_6579
; %bb.6576:                             ;   in Loop: Header=BB6_5679 Depth=3
	v_and_b32_e32 v6, 0x7f, v33
	v_cmp_ne_u32_e32 vcc, s83, v6
	v_mov_b32_e32 v0, 0x7f800001
	s_and_saveexec_b64 s[48:49], vcc
	s_cbranch_execz .LBB6_6578
; %bb.6577:                             ;   in Loop: Header=BB6_5679 Depth=3
	v_and_b32_e32 v0, 7, v33
	v_ffbh_u32_e32 v0, v0
	v_min_u32_e32 v0, 32, v0
	v_lshrrev_b32_e32 v7, 3, v6
	v_cmp_gt_u32_e32 vcc, 8, v6
	v_subrev_u32_e32 v6, 28, v0
	v_sub_u32_e32 v0, 29, v0
	v_cndmask_b32_e32 v6, 0, v6, vcc
	v_cndmask_b32_e32 v0, v7, v0, vcc
	v_lshlrev_b64 v[6:7], v6, v[52:53]
	v_lshlrev_b32_e32 v7, 24, v52
	v_lshlrev_b32_e32 v6, 20, v6
	v_bfrev_b32_e32 v31, 60
	v_and_b32_e32 v6, 0x700000, v6
	v_and_b32_e32 v7, 0x80000000, v7
	v_lshl_add_u32 v0, v0, 23, v31
	v_or3_b32 v0, v7, v0, v6
.LBB6_6578:                             ;   in Loop: Header=BB6_5679 Depth=3
	s_or_b64 exec, exec, s[48:49]
.LBB6_6579:                             ;   in Loop: Header=BB6_5679 Depth=3
	s_or_b64 exec, exec, s[40:41]
.LBB6_6580:                             ;   in Loop: Header=BB6_5679 Depth=3
	s_or_b64 exec, exec, s[38:39]
	v_cmp_ne_u16_sdwa vcc, v25, v53 src0_sel:BYTE_0 src1_sel:DWORD
	s_and_saveexec_b64 s[40:41], vcc
	s_cbranch_execz .LBB6_6586
; %bb.6581:                             ;   in Loop: Header=BB6_5679 Depth=3
	v_cmp_ne_u16_sdwa vcc, v25, s82 src0_sel:BYTE_0 src1_sel:DWORD
	v_bfrev_b32_e32 v1, 1
	s_and_saveexec_b64 s[38:39], vcc
	s_cbranch_execz .LBB6_6585
; %bb.6582:                             ;   in Loop: Header=BB6_5679 Depth=3
	v_and_b32_e32 v6, 0x7f, v25
	v_cmp_ne_u32_e32 vcc, s83, v6
	v_mov_b32_e32 v1, 0x7f800001
	s_and_saveexec_b64 s[48:49], vcc
	s_cbranch_execz .LBB6_6584
; %bb.6583:                             ;   in Loop: Header=BB6_5679 Depth=3
	v_and_b32_e32 v1, 7, v25
	v_ffbh_u32_e32 v1, v1
	v_min_u32_e32 v1, 32, v1
	v_lshrrev_b32_e32 v7, 3, v6
	v_cmp_gt_u32_e32 vcc, 8, v6
	v_subrev_u32_e32 v6, 28, v1
	v_sub_u32_e32 v1, 29, v1
	v_cndmask_b32_e32 v6, 0, v6, vcc
	v_cndmask_b32_e32 v1, v7, v1, vcc
	v_lshlrev_b64 v[6:7], v6, v[2:3]
	v_bfrev_b32_e32 v7, 60
	v_lshlrev_b32_e32 v3, 20, v6
	v_lshlrev_b32_e32 v6, 24, v2
	v_and_b32_e32 v3, 0x700000, v3
	v_and_b32_e32 v6, 0x80000000, v6
	v_lshl_add_u32 v1, v1, 23, v7
	v_or3_b32 v1, v6, v1, v3
.LBB6_6584:                             ;   in Loop: Header=BB6_5679 Depth=3
	s_or_b64 exec, exec, s[48:49]
.LBB6_6585:                             ;   in Loop: Header=BB6_5679 Depth=3
	s_or_b64 exec, exec, s[38:39]
.LBB6_6586:                             ;   in Loop: Header=BB6_5679 Depth=3
	s_or_b64 exec, exec, s[40:41]
	v_max_f32_e32 v1, v1, v1
	v_max_f32_e32 v0, v0, v0
	v_min_f32_e32 v0, v0, v1
.LBB6_6587:                             ;   in Loop: Header=BB6_5679 Depth=3
	v_and_b32_e32 v6, 0x7f800000, v0
	v_mov_b32_e32 v7, v53
	v_cmp_ne_u64_e32 vcc, s[76:77], v[6:7]
                                        ; implicit-def: $vgpr56
	s_and_saveexec_b64 s[40:41], vcc
	s_xor_b64 s[38:39], exec, s[40:41]
	s_cbranch_execz .LBB6_6601
; %bb.6588:                             ;   in Loop: Header=BB6_5679 Depth=3
	v_and_b32_e32 v6, 0x7fffffff, v0
	v_mov_b32_e32 v7, v53
	v_cmp_gt_u64_e32 vcc, s[78:79], v[6:7]
	v_and_b32_sdwa v3, v0, s82 dst_sel:DWORD dst_unused:UNUSED_PAD src0_sel:BYTE_3 src1_sel:DWORD
                                        ; implicit-def: $vgpr56
	s_and_saveexec_b64 s[40:41], vcc
	s_xor_b64 s[48:49], exec, s[40:41]
	s_cbranch_execz .LBB6_6598
; %bb.6589:                             ;   in Loop: Header=BB6_5679 Depth=3
	v_mov_b32_e32 v56, 0
	v_cmp_ne_u32_e32 vcc, 0, v0
	s_and_saveexec_b64 s[50:51], vcc
	s_cbranch_execz .LBB6_6597
; %bb.6590:                             ;   in Loop: Header=BB6_5679 Depth=3
	v_bfe_u32 v31, v0, 23, 8
	v_and_b32_e32 v1, 0x7fffff, v0
	v_cmp_gt_u32_e64 s[40:41], s85, v31
	v_sub_u32_e32 v0, 0x79, v31
	v_cmp_eq_u32_e32 vcc, 0, v31
	v_cndmask_b32_e64 v0, 0, v0, s[40:41]
	v_mov_b32_e32 v7, 0x78
	v_or_b32_e32 v6, 0x800000, v1
	v_cndmask_b32_e32 v36, v0, v7, vcc
	v_cndmask_b32_e32 v0, v6, v1, vcc
	v_add_u32_e32 v6, 20, v36
	v_lshlrev_b64 v[6:7], v6, -1
	v_mov_b32_e32 v1, v53
	v_add_u32_e32 v37, 19, v36
	v_bfi_b32 v6, v6, 0, v0
	v_lshlrev_b64 v[37:38], v37, 1
	v_lshrrev_b64 v[0:1], v36, v[0:1]
	v_bfi_b32 v7, v7, 0, 0
	v_cmp_eq_u64_e64 s[40:41], v[6:7], v[37:38]
	v_mov_b32_e32 v7, v1
	v_mov_b32_e32 v6, v0
	s_and_saveexec_b64 s[52:53], s[40:41]
; %bb.6591:                             ;   in Loop: Header=BB6_5679 Depth=3
	v_bfe_u32 v1, v0, 20, 1
	v_add_co_u32_e64 v1, s[40:41], v0, v1
	v_add_co_u32_e64 v6, s[40:41], -1, v1
; %bb.6592:                             ;   in Loop: Header=BB6_5679 Depth=3
	s_or_b64 exec, exec, s[52:53]
	v_add_u32_e32 v1, 0xffffff81, v31
	v_mov_b32_e32 v7, 0xffffff82
	v_cndmask_b32_e32 v1, v1, v7, vcc
	v_lshrrev_b32_e32 v7, 23, v0
	v_add3_u32 v31, v36, v1, v7
	v_add_u32_e32 v7, 6, v31
	v_and_b32_e32 v1, 0xfffff, v6
	v_add_u32_e32 v0, v1, v0
	v_mov_b32_e32 v1, v53
	v_cmp_ne_u32_e32 vcc, 0, v7
                                        ; implicit-def: $vgpr6
	s_and_saveexec_b64 s[40:41], vcc
	s_xor_b64 s[40:41], exec, s[40:41]
; %bb.6593:                             ;   in Loop: Header=BB6_5679 Depth=3
	v_cmp_lt_u64_e32 vcc, s[88:89], v[0:1]
	v_add_u32_e32 v6, 7, v31
	v_cndmask_b32_e32 v6, v7, v6, vcc
	v_cndmask_b32_e64 v7, 0, 1, vcc
	v_lshrrev_b64 v[0:1], v7, v[0:1]
; %bb.6594:                             ;   in Loop: Header=BB6_5679 Depth=3
	s_andn2_saveexec_b64 s[40:41], s[40:41]
; %bb.6595:                             ;   in Loop: Header=BB6_5679 Depth=3
	v_bfe_u32 v6, v0, 23, 1
; %bb.6596:                             ;   in Loop: Header=BB6_5679 Depth=3
	s_or_b64 exec, exec, s[40:41]
	v_lshrrev_b64 v[0:1], 20, v[0:1]
	v_cmp_gt_i32_e32 vcc, 16, v6
	v_cndmask_b32_e32 v1, 0, v1, vcc
	v_cndmask_b32_e32 v0, 7, v0, vcc
	v_cmp_eq_u64_e64 s[40:41], 0, v[0:1]
	v_min_i32_e32 v1, 15, v6
	v_lshlrev_b32_e32 v1, 3, v1
	v_cmp_eq_u32_e32 vcc, 0, v6
	v_and_b32_e32 v1, 0xf8, v1
	v_and_or_b32 v0, v0, 7, v1
	s_and_b64 s[40:41], vcc, s[40:41]
	v_cndmask_b32_e64 v0, v0, 0, s[40:41]
	v_or_b32_e32 v56, v0, v3
.LBB6_6597:                             ;   in Loop: Header=BB6_5679 Depth=3
	s_or_b64 exec, exec, s[50:51]
                                        ; implicit-def: $vgpr3
.LBB6_6598:                             ;   in Loop: Header=BB6_5679 Depth=3
	s_andn2_saveexec_b64 s[40:41], s[48:49]
; %bb.6599:                             ;   in Loop: Header=BB6_5679 Depth=3
	v_or_b32_e32 v56, 0x7e, v3
; %bb.6600:                             ;   in Loop: Header=BB6_5679 Depth=3
	s_or_b64 exec, exec, s[40:41]
                                        ; implicit-def: $vgpr0
.LBB6_6601:                             ;   in Loop: Header=BB6_5679 Depth=3
	s_andn2_saveexec_b64 s[40:41], s[38:39]
; %bb.6602:                             ;   in Loop: Header=BB6_5679 Depth=3
	v_or_b32_sdwa v56, v0, s83 dst_sel:DWORD dst_unused:UNUSED_PAD src0_sel:BYTE_3 src1_sel:DWORD
; %bb.6603:                             ;   in Loop: Header=BB6_5679 Depth=3
	s_or_b64 exec, exec, s[40:41]
	v_lshrrev_b16_e32 v31, 8, v52
	v_lshrrev_b16_e32 v3, 8, v2
	v_cmp_ne_u16_e64 s[40:41], 0, v31
	s_and_b64 vcc, exec, s[28:29]
	s_mov_b64 s[38:39], -1
                                        ; implicit-def: $vgpr0
	s_cbranch_vccnz .LBB6_6617
; %bb.6604:                             ;   in Loop: Header=BB6_5679 Depth=3
	v_mov_b32_e32 v1, 0
	v_mov_b32_e32 v0, 0
	s_and_saveexec_b64 s[38:39], s[40:41]
	s_cbranch_execz .LBB6_6610
; %bb.6605:                             ;   in Loop: Header=BB6_5679 Depth=3
	v_cmp_ne_u16_e32 vcc, s82, v31
	v_bfrev_b32_e32 v0, 1
	s_and_saveexec_b64 s[48:49], vcc
	s_cbranch_execz .LBB6_6609
; %bb.6606:                             ;   in Loop: Header=BB6_5679 Depth=3
	v_and_b32_e32 v6, 0x7f, v31
	v_cmp_ne_u32_e32 vcc, s83, v6
	v_mov_b32_e32 v0, 0x7f800001
	s_and_saveexec_b64 s[50:51], vcc
	s_cbranch_execz .LBB6_6608
; %bb.6607:                             ;   in Loop: Header=BB6_5679 Depth=3
	v_and_b32_e32 v0, 7, v31
	v_lshrrev_b32_e32 v36, 3, v6
	v_cmp_gt_u32_e32 vcc, 8, v6
	v_ffbh_u32_e32 v6, v0
	v_min_u32_e32 v37, 32, v6
	v_subrev_u32_e32 v6, 28, v37
	v_lshlrev_b64 v[6:7], v6, v[31:32]
	v_sub_u32_e32 v7, 29, v37
	v_and_b32_e32 v6, 7, v6
	v_cndmask_b32_e32 v7, v36, v7, vcc
	v_cndmask_b32_e32 v0, v0, v6, vcc
	v_lshlrev_b32_e32 v6, 16, v52
	v_bfrev_b32_e32 v36, 60
	v_lshlrev_b32_e32 v0, 20, v0
	v_and_b32_e32 v6, 0x80000000, v6
	v_lshl_add_u32 v7, v7, 23, v36
	v_or3_b32 v0, v6, v7, v0
.LBB6_6608:                             ;   in Loop: Header=BB6_5679 Depth=3
	s_or_b64 exec, exec, s[50:51]
.LBB6_6609:                             ;   in Loop: Header=BB6_5679 Depth=3
	s_or_b64 exec, exec, s[48:49]
.LBB6_6610:                             ;   in Loop: Header=BB6_5679 Depth=3
	s_or_b64 exec, exec, s[38:39]
	v_cmp_ne_u16_e32 vcc, 0, v3
	s_and_saveexec_b64 s[38:39], vcc
	s_cbranch_execz .LBB6_6616
; %bb.6611:                             ;   in Loop: Header=BB6_5679 Depth=3
	v_cmp_ne_u16_e32 vcc, s82, v3
	v_bfrev_b32_e32 v1, 1
	s_and_saveexec_b64 s[48:49], vcc
	s_cbranch_execz .LBB6_6615
; %bb.6612:                             ;   in Loop: Header=BB6_5679 Depth=3
	v_and_b32_e32 v6, 0x7f, v3
	v_cmp_ne_u32_e32 vcc, s83, v6
	v_mov_b32_e32 v1, 0x7f800001
	s_and_saveexec_b64 s[50:51], vcc
	s_cbranch_execz .LBB6_6614
; %bb.6613:                             ;   in Loop: Header=BB6_5679 Depth=3
	v_and_b32_e32 v1, 7, v3
	v_lshrrev_b32_e32 v36, 3, v6
	v_cmp_gt_u32_e32 vcc, 8, v6
	v_ffbh_u32_e32 v6, v1
	v_min_u32_e32 v37, 32, v6
	v_subrev_u32_e32 v6, 28, v37
	v_lshlrev_b64 v[6:7], v6, v[3:4]
	v_sub_u32_e32 v7, 29, v37
	v_and_b32_e32 v6, 7, v6
	v_cndmask_b32_e32 v7, v36, v7, vcc
	v_cndmask_b32_e32 v1, v1, v6, vcc
	v_lshlrev_b32_e32 v6, 16, v2
	v_bfrev_b32_e32 v36, 60
	v_lshlrev_b32_e32 v1, 20, v1
	v_and_b32_e32 v6, 0x80000000, v6
	v_lshl_add_u32 v7, v7, 23, v36
	v_or3_b32 v1, v6, v7, v1
.LBB6_6614:                             ;   in Loop: Header=BB6_5679 Depth=3
	s_or_b64 exec, exec, s[50:51]
.LBB6_6615:                             ;   in Loop: Header=BB6_5679 Depth=3
	s_or_b64 exec, exec, s[48:49]
.LBB6_6616:                             ;   in Loop: Header=BB6_5679 Depth=3
	s_or_b64 exec, exec, s[38:39]
	v_max_f32_e32 v1, v1, v1
	v_max_f32_e32 v0, v0, v0
	;; [unrolled: 1-line block ×3, first 2 shown]
	s_mov_b64 s[38:39], 0
.LBB6_6617:                             ;   in Loop: Header=BB6_5679 Depth=3
	s_and_b64 vcc, exec, s[38:39]
	s_cbranch_vccz .LBB6_6631
; %bb.6618:                             ;   in Loop: Header=BB6_5679 Depth=3
	v_mov_b32_e32 v1, 0
	v_mov_b32_e32 v0, 0
	s_and_saveexec_b64 s[38:39], s[40:41]
	s_cbranch_execz .LBB6_6624
; %bb.6619:                             ;   in Loop: Header=BB6_5679 Depth=3
	v_cmp_ne_u16_e32 vcc, s82, v31
	v_bfrev_b32_e32 v0, 1
	s_and_saveexec_b64 s[40:41], vcc
	s_cbranch_execz .LBB6_6623
; %bb.6620:                             ;   in Loop: Header=BB6_5679 Depth=3
	v_and_b32_e32 v6, 0x7f, v31
	v_cmp_ne_u32_e32 vcc, s83, v6
	v_mov_b32_e32 v0, 0x7f800001
	s_and_saveexec_b64 s[48:49], vcc
	s_cbranch_execz .LBB6_6622
; %bb.6621:                             ;   in Loop: Header=BB6_5679 Depth=3
	v_and_b32_e32 v0, 7, v31
	v_lshrrev_b32_e32 v36, 3, v6
	v_cmp_gt_u32_e32 vcc, 8, v6
	v_ffbh_u32_e32 v6, v0
	v_min_u32_e32 v37, 32, v6
	v_subrev_u32_e32 v6, 28, v37
	v_lshlrev_b64 v[6:7], v6, v[31:32]
	v_sub_u32_e32 v7, 29, v37
	v_and_b32_e32 v6, 7, v6
	v_cndmask_b32_e32 v7, v36, v7, vcc
	v_cndmask_b32_e32 v0, v0, v6, vcc
	v_lshlrev_b32_e32 v6, 16, v52
	v_bfrev_b32_e32 v31, 60
	v_lshlrev_b32_e32 v0, 20, v0
	v_and_b32_e32 v6, 0x80000000, v6
	v_lshl_add_u32 v7, v7, 23, v31
	v_or3_b32 v0, v6, v7, v0
.LBB6_6622:                             ;   in Loop: Header=BB6_5679 Depth=3
	s_or_b64 exec, exec, s[48:49]
.LBB6_6623:                             ;   in Loop: Header=BB6_5679 Depth=3
	s_or_b64 exec, exec, s[40:41]
.LBB6_6624:                             ;   in Loop: Header=BB6_5679 Depth=3
	s_or_b64 exec, exec, s[38:39]
	v_cmp_ne_u16_e32 vcc, 0, v3
	s_and_saveexec_b64 s[40:41], vcc
	s_cbranch_execz .LBB6_6630
; %bb.6625:                             ;   in Loop: Header=BB6_5679 Depth=3
	v_cmp_ne_u16_e32 vcc, s82, v3
	v_bfrev_b32_e32 v1, 1
	s_and_saveexec_b64 s[38:39], vcc
	s_cbranch_execz .LBB6_6629
; %bb.6626:                             ;   in Loop: Header=BB6_5679 Depth=3
	v_and_b32_e32 v6, 0x7f, v3
	v_cmp_ne_u32_e32 vcc, s83, v6
	v_mov_b32_e32 v1, 0x7f800001
	s_and_saveexec_b64 s[48:49], vcc
	s_cbranch_execz .LBB6_6628
; %bb.6627:                             ;   in Loop: Header=BB6_5679 Depth=3
	v_and_b32_e32 v1, 7, v3
	v_lshrrev_b32_e32 v31, 3, v6
	v_cmp_gt_u32_e32 vcc, 8, v6
	v_ffbh_u32_e32 v6, v1
	v_min_u32_e32 v36, 32, v6
	v_subrev_u32_e32 v6, 28, v36
	v_lshlrev_b64 v[6:7], v6, v[3:4]
	v_sub_u32_e32 v3, 29, v36
	v_and_b32_e32 v6, 7, v6
	v_cndmask_b32_e32 v3, v31, v3, vcc
	v_cndmask_b32_e32 v1, v1, v6, vcc
	v_lshlrev_b32_e32 v2, 16, v2
	v_bfrev_b32_e32 v6, 60
	v_lshlrev_b32_e32 v1, 20, v1
	v_and_b32_e32 v2, 0x80000000, v2
	v_lshl_add_u32 v3, v3, 23, v6
	v_or3_b32 v1, v2, v3, v1
.LBB6_6628:                             ;   in Loop: Header=BB6_5679 Depth=3
	s_or_b64 exec, exec, s[48:49]
.LBB6_6629:                             ;   in Loop: Header=BB6_5679 Depth=3
	s_or_b64 exec, exec, s[38:39]
.LBB6_6630:                             ;   in Loop: Header=BB6_5679 Depth=3
	s_or_b64 exec, exec, s[40:41]
	v_max_f32_e32 v1, v1, v1
	v_max_f32_e32 v0, v0, v0
	v_min_f32_e32 v0, v0, v1
.LBB6_6631:                             ;   in Loop: Header=BB6_5679 Depth=3
	v_and_b32_e32 v52, 0x7f800000, v0
	v_cmp_ne_u64_e32 vcc, s[76:77], v[52:53]
                                        ; implicit-def: $vgpr37
	s_and_saveexec_b64 s[40:41], vcc
	s_xor_b64 s[38:39], exec, s[40:41]
	s_cbranch_execz .LBB6_6645
; %bb.6632:                             ;   in Loop: Header=BB6_5679 Depth=3
	v_and_b32_e32 v52, 0x7fffffff, v0
	v_cmp_gt_u64_e32 vcc, s[78:79], v[52:53]
	v_and_b32_sdwa v3, v0, s82 dst_sel:DWORD dst_unused:UNUSED_PAD src0_sel:BYTE_3 src1_sel:DWORD
                                        ; implicit-def: $vgpr37
	s_and_saveexec_b64 s[40:41], vcc
	s_xor_b64 s[48:49], exec, s[40:41]
	s_cbranch_execz .LBB6_6642
; %bb.6633:                             ;   in Loop: Header=BB6_5679 Depth=3
	v_mov_b32_e32 v37, 0
	v_cmp_ne_u32_e32 vcc, 0, v0
	s_and_saveexec_b64 s[50:51], vcc
	s_cbranch_execz .LBB6_6641
; %bb.6634:                             ;   in Loop: Header=BB6_5679 Depth=3
	v_bfe_u32 v6, v0, 23, 8
	v_and_b32_e32 v1, 0x7fffff, v0
	v_cmp_gt_u32_e64 s[40:41], s85, v6
	v_sub_u32_e32 v0, 0x79, v6
	v_cmp_eq_u32_e32 vcc, 0, v6
	v_cndmask_b32_e64 v0, 0, v0, s[40:41]
	v_mov_b32_e32 v7, 0x78
	v_cndmask_b32_e32 v7, v0, v7, vcc
	v_or_b32_e32 v2, 0x800000, v1
	v_add_u32_e32 v0, 20, v7
	v_cndmask_b32_e32 v52, v2, v1, vcc
	v_lshlrev_b64 v[0:1], v0, -1
	v_add_u32_e32 v2, 19, v7
	v_lshlrev_b64 v[36:37], v2, 1
	v_bfi_b32 v1, v1, 0, 0
	v_bfi_b32 v0, v0, 0, v52
	v_cmp_eq_u64_e64 s[40:41], v[0:1], v[36:37]
	v_lshrrev_b64 v[0:1], v7, v[52:53]
	v_mov_b32_e32 v2, v1
	v_mov_b32_e32 v1, v0
	s_and_saveexec_b64 s[52:53], s[40:41]
; %bb.6635:                             ;   in Loop: Header=BB6_5679 Depth=3
	v_bfe_u32 v1, v0, 20, 1
	v_add_co_u32_e64 v1, s[40:41], v0, v1
	v_add_co_u32_e64 v1, s[40:41], -1, v1
; %bb.6636:                             ;   in Loop: Header=BB6_5679 Depth=3
	s_or_b64 exec, exec, s[52:53]
	v_add_u32_e32 v2, 0xffffff81, v6
	v_mov_b32_e32 v6, 0xffffff82
	v_cndmask_b32_e32 v2, v2, v6, vcc
	v_lshrrev_b32_e32 v6, 23, v0
	v_add3_u32 v7, v7, v2, v6
	v_add_u32_e32 v6, 6, v7
	v_and_b32_e32 v1, 0xfffff, v1
	v_add_u32_e32 v52, v1, v0
	v_cmp_ne_u32_e32 vcc, 0, v6
                                        ; implicit-def: $vgpr0_vgpr1
                                        ; implicit-def: $vgpr2
	s_and_saveexec_b64 s[40:41], vcc
	s_xor_b64 s[40:41], exec, s[40:41]
; %bb.6637:                             ;   in Loop: Header=BB6_5679 Depth=3
	v_cmp_lt_u64_e32 vcc, s[88:89], v[52:53]
	v_add_u32_e32 v0, 7, v7
	v_cndmask_b32_e32 v2, v6, v0, vcc
	v_cndmask_b32_e64 v0, 0, 1, vcc
	v_lshrrev_b64 v[0:1], v0, v[52:53]
; %bb.6638:                             ;   in Loop: Header=BB6_5679 Depth=3
	s_andn2_saveexec_b64 s[40:41], s[40:41]
; %bb.6639:                             ;   in Loop: Header=BB6_5679 Depth=3
	v_mov_b32_e32 v0, v52
	v_bfe_u32 v2, v52, 23, 1
	v_mov_b32_e32 v1, v53
; %bb.6640:                             ;   in Loop: Header=BB6_5679 Depth=3
	s_or_b64 exec, exec, s[40:41]
	v_lshrrev_b64 v[0:1], 20, v[0:1]
	v_cmp_gt_i32_e32 vcc, 16, v2
	v_cndmask_b32_e32 v1, 0, v1, vcc
	v_cndmask_b32_e32 v0, 7, v0, vcc
	v_cmp_eq_u64_e64 s[40:41], 0, v[0:1]
	v_min_i32_e32 v1, 15, v2
	v_lshlrev_b32_e32 v1, 3, v1
	v_cmp_eq_u32_e32 vcc, 0, v2
	v_and_b32_e32 v1, 0xf8, v1
	v_and_or_b32 v0, v0, 7, v1
	s_and_b64 s[40:41], vcc, s[40:41]
	v_cndmask_b32_e64 v0, v0, 0, s[40:41]
	v_or_b32_e32 v37, v0, v3
.LBB6_6641:                             ;   in Loop: Header=BB6_5679 Depth=3
	s_or_b64 exec, exec, s[50:51]
                                        ; implicit-def: $vgpr3
.LBB6_6642:                             ;   in Loop: Header=BB6_5679 Depth=3
	s_andn2_saveexec_b64 s[40:41], s[48:49]
; %bb.6643:                             ;   in Loop: Header=BB6_5679 Depth=3
	v_or_b32_e32 v37, 0x7e, v3
; %bb.6644:                             ;   in Loop: Header=BB6_5679 Depth=3
	s_or_b64 exec, exec, s[40:41]
                                        ; implicit-def: $vgpr0
.LBB6_6645:                             ;   in Loop: Header=BB6_5679 Depth=3
	s_andn2_saveexec_b64 s[40:41], s[38:39]
; %bb.6646:                             ;   in Loop: Header=BB6_5679 Depth=3
	v_or_b32_sdwa v37, v0, s83 dst_sel:DWORD dst_unused:UNUSED_PAD src0_sel:BYTE_3 src1_sel:DWORD
; %bb.6647:                             ;   in Loop: Header=BB6_5679 Depth=3
	s_or_b64 exec, exec, s[40:41]
	v_lshrrev_b32_e32 v2, 16, v33
	v_lshrrev_b32_e32 v0, 16, v25
	v_cmp_ne_u16_sdwa s[40:41], v2, v53 src0_sel:BYTE_0 src1_sel:DWORD
	s_and_b64 vcc, exec, s[28:29]
	s_mov_b64 s[38:39], -1
                                        ; implicit-def: $vgpr1
	s_cbranch_vccnz .LBB6_6661
; %bb.6648:                             ;   in Loop: Header=BB6_5679 Depth=3
	v_mov_b32_e32 v3, 0
	v_mov_b32_e32 v1, 0
	s_and_saveexec_b64 s[38:39], s[40:41]
	s_cbranch_execz .LBB6_6654
; %bb.6649:                             ;   in Loop: Header=BB6_5679 Depth=3
	v_cmp_ne_u16_sdwa vcc, v2, s82 src0_sel:BYTE_0 src1_sel:DWORD
	v_bfrev_b32_e32 v1, 1
	s_and_saveexec_b64 s[48:49], vcc
	s_cbranch_execz .LBB6_6653
; %bb.6650:                             ;   in Loop: Header=BB6_5679 Depth=3
	v_bfe_u32 v6, v33, 16, 7
	v_cmp_ne_u32_e32 vcc, s83, v6
	v_mov_b32_e32 v1, 0x7f800001
	s_and_saveexec_b64 s[50:51], vcc
	s_cbranch_execz .LBB6_6652
; %bb.6651:                             ;   in Loop: Header=BB6_5679 Depth=3
	v_and_b32_e32 v1, 7, v2
	v_lshrrev_b32_e32 v31, 3, v6
	v_cmp_gt_u32_e32 vcc, 8, v6
	v_ffbh_u32_e32 v6, v1
	v_min_u32_e32 v36, 32, v6
	v_subrev_u32_e32 v6, 28, v36
	v_lshlrev_b64 v[6:7], v6, v[2:3]
	v_sub_u32_e32 v7, 29, v36
	v_and_b32_e32 v6, 7, v6
	v_cndmask_b32_e32 v7, v31, v7, vcc
	v_cndmask_b32_e32 v1, v1, v6, vcc
	v_lshlrev_b32_e32 v6, 24, v2
	v_bfrev_b32_e32 v31, 60
	v_lshlrev_b32_e32 v1, 20, v1
	v_and_b32_e32 v6, 0x80000000, v6
	v_lshl_add_u32 v7, v7, 23, v31
	v_or3_b32 v1, v6, v7, v1
.LBB6_6652:                             ;   in Loop: Header=BB6_5679 Depth=3
	s_or_b64 exec, exec, s[50:51]
.LBB6_6653:                             ;   in Loop: Header=BB6_5679 Depth=3
	s_or_b64 exec, exec, s[48:49]
.LBB6_6654:                             ;   in Loop: Header=BB6_5679 Depth=3
	s_or_b64 exec, exec, s[38:39]
	v_cmp_ne_u16_sdwa vcc, v0, v53 src0_sel:BYTE_0 src1_sel:DWORD
	s_and_saveexec_b64 s[38:39], vcc
	s_cbranch_execz .LBB6_6660
; %bb.6655:                             ;   in Loop: Header=BB6_5679 Depth=3
	v_cmp_ne_u16_sdwa vcc, v0, s82 src0_sel:BYTE_0 src1_sel:DWORD
	v_bfrev_b32_e32 v3, 1
	s_and_saveexec_b64 s[48:49], vcc
	s_cbranch_execz .LBB6_6659
; %bb.6656:                             ;   in Loop: Header=BB6_5679 Depth=3
	v_bfe_u32 v6, v25, 16, 7
	v_cmp_ne_u32_e32 vcc, s83, v6
	v_mov_b32_e32 v3, 0x7f800001
	s_and_saveexec_b64 s[50:51], vcc
	s_cbranch_execz .LBB6_6658
; %bb.6657:                             ;   in Loop: Header=BB6_5679 Depth=3
	v_and_b32_e32 v3, 7, v0
	v_lshrrev_b32_e32 v31, 3, v6
	v_cmp_gt_u32_e32 vcc, 8, v6
	v_ffbh_u32_e32 v6, v3
	v_min_u32_e32 v36, 32, v6
	v_subrev_u32_e32 v6, 28, v36
	v_lshlrev_b64 v[6:7], v6, v[0:1]
	v_sub_u32_e32 v7, 29, v36
	v_and_b32_e32 v6, 7, v6
	v_cndmask_b32_e32 v7, v31, v7, vcc
	v_cndmask_b32_e32 v3, v3, v6, vcc
	v_lshlrev_b32_e32 v6, 24, v0
	v_bfrev_b32_e32 v31, 60
	v_lshlrev_b32_e32 v3, 20, v3
	v_and_b32_e32 v6, 0x80000000, v6
	v_lshl_add_u32 v7, v7, 23, v31
	v_or3_b32 v3, v6, v7, v3
.LBB6_6658:                             ;   in Loop: Header=BB6_5679 Depth=3
	s_or_b64 exec, exec, s[50:51]
.LBB6_6659:                             ;   in Loop: Header=BB6_5679 Depth=3
	s_or_b64 exec, exec, s[48:49]
.LBB6_6660:                             ;   in Loop: Header=BB6_5679 Depth=3
	s_or_b64 exec, exec, s[38:39]
	v_max_f32_e32 v3, v3, v3
	v_max_f32_e32 v1, v1, v1
	;; [unrolled: 1-line block ×3, first 2 shown]
	s_mov_b64 s[38:39], 0
.LBB6_6661:                             ;   in Loop: Header=BB6_5679 Depth=3
	s_and_b64 vcc, exec, s[38:39]
	s_cbranch_vccz .LBB6_6675
; %bb.6662:                             ;   in Loop: Header=BB6_5679 Depth=3
	v_mov_b32_e32 v3, 0
	v_mov_b32_e32 v1, 0
	s_and_saveexec_b64 s[38:39], s[40:41]
	s_cbranch_execz .LBB6_6668
; %bb.6663:                             ;   in Loop: Header=BB6_5679 Depth=3
	v_cmp_ne_u16_sdwa vcc, v2, s82 src0_sel:BYTE_0 src1_sel:DWORD
	v_bfrev_b32_e32 v1, 1
	s_and_saveexec_b64 s[40:41], vcc
	s_cbranch_execz .LBB6_6667
; %bb.6664:                             ;   in Loop: Header=BB6_5679 Depth=3
	v_bfe_u32 v6, v33, 16, 7
	v_cmp_ne_u32_e32 vcc, s83, v6
	v_mov_b32_e32 v1, 0x7f800001
	s_and_saveexec_b64 s[48:49], vcc
	s_cbranch_execz .LBB6_6666
; %bb.6665:                             ;   in Loop: Header=BB6_5679 Depth=3
	v_and_b32_e32 v1, 7, v2
	v_lshrrev_b32_e32 v31, 3, v6
	v_cmp_gt_u32_e32 vcc, 8, v6
	v_ffbh_u32_e32 v6, v1
	v_min_u32_e32 v36, 32, v6
	v_subrev_u32_e32 v6, 28, v36
	v_lshlrev_b64 v[6:7], v6, v[2:3]
	v_sub_u32_e32 v7, 29, v36
	v_and_b32_e32 v6, 7, v6
	v_cndmask_b32_e32 v7, v31, v7, vcc
	v_cndmask_b32_e32 v1, v1, v6, vcc
	v_lshlrev_b32_e32 v2, 24, v2
	v_bfrev_b32_e32 v6, 60
	v_lshlrev_b32_e32 v1, 20, v1
	v_and_b32_e32 v2, 0x80000000, v2
	v_lshl_add_u32 v6, v7, 23, v6
	v_or3_b32 v1, v2, v6, v1
.LBB6_6666:                             ;   in Loop: Header=BB6_5679 Depth=3
	s_or_b64 exec, exec, s[48:49]
.LBB6_6667:                             ;   in Loop: Header=BB6_5679 Depth=3
	s_or_b64 exec, exec, s[40:41]
.LBB6_6668:                             ;   in Loop: Header=BB6_5679 Depth=3
	s_or_b64 exec, exec, s[38:39]
	v_cmp_ne_u16_sdwa vcc, v0, v53 src0_sel:BYTE_0 src1_sel:DWORD
	s_and_saveexec_b64 s[40:41], vcc
	s_cbranch_execz .LBB6_6674
; %bb.6669:                             ;   in Loop: Header=BB6_5679 Depth=3
	v_cmp_ne_u16_sdwa vcc, v0, s82 src0_sel:BYTE_0 src1_sel:DWORD
	v_bfrev_b32_e32 v3, 1
	s_and_saveexec_b64 s[38:39], vcc
	s_cbranch_execz .LBB6_6673
; %bb.6670:                             ;   in Loop: Header=BB6_5679 Depth=3
	v_bfe_u32 v2, v25, 16, 7
	v_cmp_ne_u32_e32 vcc, s83, v2
	v_mov_b32_e32 v3, 0x7f800001
	s_and_saveexec_b64 s[48:49], vcc
	s_cbranch_execz .LBB6_6672
; %bb.6671:                             ;   in Loop: Header=BB6_5679 Depth=3
	v_and_b32_e32 v6, 7, v0
	v_lshrrev_b32_e32 v7, 3, v2
	v_cmp_gt_u32_e32 vcc, 8, v2
	v_ffbh_u32_e32 v2, v6
	v_min_u32_e32 v31, 32, v2
	v_subrev_u32_e32 v2, 28, v31
	v_lshlrev_b64 v[2:3], v2, v[0:1]
	v_sub_u32_e32 v3, 29, v31
	v_and_b32_e32 v2, 7, v2
	v_cndmask_b32_e32 v3, v7, v3, vcc
	v_cndmask_b32_e32 v2, v6, v2, vcc
	v_lshlrev_b32_e32 v0, 24, v0
	v_bfrev_b32_e32 v6, 60
	v_lshlrev_b32_e32 v2, 20, v2
	v_and_b32_e32 v0, 0x80000000, v0
	v_lshl_add_u32 v3, v3, 23, v6
	v_or3_b32 v3, v0, v3, v2
.LBB6_6672:                             ;   in Loop: Header=BB6_5679 Depth=3
	s_or_b64 exec, exec, s[48:49]
.LBB6_6673:                             ;   in Loop: Header=BB6_5679 Depth=3
	s_or_b64 exec, exec, s[38:39]
.LBB6_6674:                             ;   in Loop: Header=BB6_5679 Depth=3
	s_or_b64 exec, exec, s[40:41]
	v_max_f32_e32 v0, v3, v3
	v_max_f32_e32 v1, v1, v1
	v_min_f32_e32 v1, v1, v0
.LBB6_6675:                             ;   in Loop: Header=BB6_5679 Depth=3
	v_and_b32_e32 v52, 0x7f800000, v1
	v_cmp_ne_u64_e32 vcc, s[76:77], v[52:53]
	buffer_store_dword v37, off, s[0:3], s33 offset:152 ; 4-byte Folded Spill
                                        ; implicit-def: $vgpr36
	s_and_saveexec_b64 s[40:41], vcc
	s_xor_b64 s[38:39], exec, s[40:41]
	s_cbranch_execz .LBB6_6689
; %bb.6676:                             ;   in Loop: Header=BB6_5679 Depth=3
	v_and_b32_e32 v52, 0x7fffffff, v1
	v_cmp_gt_u64_e32 vcc, s[78:79], v[52:53]
	v_and_b32_sdwa v3, v1, s82 dst_sel:DWORD dst_unused:UNUSED_PAD src0_sel:BYTE_3 src1_sel:DWORD
                                        ; implicit-def: $vgpr36
	s_and_saveexec_b64 s[40:41], vcc
	s_xor_b64 s[48:49], exec, s[40:41]
	s_cbranch_execz .LBB6_6686
; %bb.6677:                             ;   in Loop: Header=BB6_5679 Depth=3
	v_mov_b32_e32 v36, 0
	v_cmp_ne_u32_e32 vcc, 0, v1
	s_and_saveexec_b64 s[50:51], vcc
	s_cbranch_execz .LBB6_6685
; %bb.6678:                             ;   in Loop: Header=BB6_5679 Depth=3
	v_bfe_u32 v6, v1, 23, 8
	v_and_b32_e32 v0, 0x7fffff, v1
	v_cmp_gt_u32_e64 s[40:41], s85, v6
	v_sub_u32_e32 v1, 0x79, v6
	v_cmp_eq_u32_e32 vcc, 0, v6
	v_cndmask_b32_e64 v1, 0, v1, s[40:41]
	v_mov_b32_e32 v7, 0x78
	v_or_b32_e32 v2, 0x800000, v0
	v_cndmask_b32_e32 v7, v1, v7, vcc
	v_cndmask_b32_e32 v52, v2, v0, vcc
	v_add_u32_e32 v0, 20, v7
	v_lshlrev_b64 v[0:1], v0, -1
	v_add_u32_e32 v2, 19, v7
	v_lshlrev_b64 v[36:37], v2, 1
	v_bfi_b32 v1, v1, 0, 0
	v_bfi_b32 v0, v0, 0, v52
	v_cmp_eq_u64_e64 s[40:41], v[0:1], v[36:37]
	v_lshrrev_b64 v[0:1], v7, v[52:53]
	v_mov_b32_e32 v2, v1
	v_mov_b32_e32 v1, v0
	s_and_saveexec_b64 s[52:53], s[40:41]
; %bb.6679:                             ;   in Loop: Header=BB6_5679 Depth=3
	v_bfe_u32 v1, v0, 20, 1
	v_add_co_u32_e64 v1, s[40:41], v0, v1
	v_add_co_u32_e64 v1, s[40:41], -1, v1
; %bb.6680:                             ;   in Loop: Header=BB6_5679 Depth=3
	s_or_b64 exec, exec, s[52:53]
	v_add_u32_e32 v2, 0xffffff81, v6
	v_mov_b32_e32 v6, 0xffffff82
	v_cndmask_b32_e32 v2, v2, v6, vcc
	v_lshrrev_b32_e32 v6, 23, v0
	v_add3_u32 v7, v7, v2, v6
	v_add_u32_e32 v6, 6, v7
	v_and_b32_e32 v1, 0xfffff, v1
	v_add_u32_e32 v52, v1, v0
	v_cmp_ne_u32_e32 vcc, 0, v6
                                        ; implicit-def: $vgpr0_vgpr1
                                        ; implicit-def: $vgpr2
	s_and_saveexec_b64 s[40:41], vcc
	s_xor_b64 s[40:41], exec, s[40:41]
; %bb.6681:                             ;   in Loop: Header=BB6_5679 Depth=3
	v_cmp_lt_u64_e32 vcc, s[88:89], v[52:53]
	v_add_u32_e32 v0, 7, v7
	v_cndmask_b32_e32 v2, v6, v0, vcc
	v_cndmask_b32_e64 v0, 0, 1, vcc
	v_lshrrev_b64 v[0:1], v0, v[52:53]
; %bb.6682:                             ;   in Loop: Header=BB6_5679 Depth=3
	s_andn2_saveexec_b64 s[40:41], s[40:41]
; %bb.6683:                             ;   in Loop: Header=BB6_5679 Depth=3
	v_mov_b32_e32 v0, v52
	v_bfe_u32 v2, v52, 23, 1
	v_mov_b32_e32 v1, v53
; %bb.6684:                             ;   in Loop: Header=BB6_5679 Depth=3
	s_or_b64 exec, exec, s[40:41]
	v_lshrrev_b64 v[0:1], 20, v[0:1]
	v_cmp_gt_i32_e32 vcc, 16, v2
	v_cndmask_b32_e32 v1, 0, v1, vcc
	v_cndmask_b32_e32 v0, 7, v0, vcc
	v_cmp_eq_u64_e64 s[40:41], 0, v[0:1]
	v_min_i32_e32 v1, 15, v2
	v_lshlrev_b32_e32 v1, 3, v1
	v_cmp_eq_u32_e32 vcc, 0, v2
	v_and_b32_e32 v1, 0xf8, v1
	v_and_or_b32 v0, v0, 7, v1
	s_and_b64 s[40:41], vcc, s[40:41]
	v_cndmask_b32_e64 v0, v0, 0, s[40:41]
	v_or_b32_e32 v36, v0, v3
.LBB6_6685:                             ;   in Loop: Header=BB6_5679 Depth=3
	s_or_b64 exec, exec, s[50:51]
                                        ; implicit-def: $vgpr3
.LBB6_6686:                             ;   in Loop: Header=BB6_5679 Depth=3
	s_andn2_saveexec_b64 s[40:41], s[48:49]
; %bb.6687:                             ;   in Loop: Header=BB6_5679 Depth=3
	v_or_b32_e32 v36, 0x7e, v3
; %bb.6688:                             ;   in Loop: Header=BB6_5679 Depth=3
	s_or_b64 exec, exec, s[40:41]
                                        ; implicit-def: $vgpr1
.LBB6_6689:                             ;   in Loop: Header=BB6_5679 Depth=3
	s_andn2_saveexec_b64 s[40:41], s[38:39]
; %bb.6690:                             ;   in Loop: Header=BB6_5679 Depth=3
	v_or_b32_sdwa v36, v1, s83 dst_sel:DWORD dst_unused:UNUSED_PAD src0_sel:BYTE_3 src1_sel:DWORD
; %bb.6691:                             ;   in Loop: Header=BB6_5679 Depth=3
	s_or_b64 exec, exec, s[40:41]
	v_cmp_lt_u64_e64 s[40:41], s[62:63], v[32:33]
	v_lshrrev_b32_e32 v2, 24, v33
	v_lshrrev_b32_e32 v0, 24, v25
	s_and_b64 vcc, exec, s[28:29]
	s_mov_b64 s[38:39], -1
                                        ; implicit-def: $vgpr1
	s_cbranch_vccnz .LBB6_6705
; %bb.6692:                             ;   in Loop: Header=BB6_5679 Depth=3
	v_mov_b32_e32 v3, 0
	v_mov_b32_e32 v1, 0
	s_and_saveexec_b64 s[38:39], s[40:41]
	s_cbranch_execz .LBB6_6698
; %bb.6693:                             ;   in Loop: Header=BB6_5679 Depth=3
	v_cmp_ne_u32_e32 vcc, s82, v2
	v_bfrev_b32_e32 v1, 1
	s_and_saveexec_b64 s[48:49], vcc
	s_cbranch_execz .LBB6_6697
; %bb.6694:                             ;   in Loop: Header=BB6_5679 Depth=3
	v_bfe_u32 v6, v33, 24, 7
	v_cmp_ne_u32_e32 vcc, s83, v6
	v_mov_b32_e32 v1, 0x7f800001
	s_and_saveexec_b64 s[50:51], vcc
	s_cbranch_execz .LBB6_6696
; %bb.6695:                             ;   in Loop: Header=BB6_5679 Depth=3
	v_and_b32_e32 v1, 7, v2
	v_lshrrev_b32_e32 v31, 3, v6
	v_cmp_gt_u32_e32 vcc, 8, v6
	v_ffbh_u32_e32 v6, v1
	v_min_u32_e32 v32, 32, v6
	v_subrev_u32_e32 v6, 28, v32
	v_lshlrev_b64 v[6:7], v6, v[2:3]
	v_sub_u32_e32 v7, 29, v32
	v_and_b32_e32 v6, 7, v6
	v_cndmask_b32_e32 v7, v31, v7, vcc
	v_cndmask_b32_e32 v1, v1, v6, vcc
	v_lshlrev_b32_e32 v6, 24, v2
	v_bfrev_b32_e32 v31, 60
	v_lshlrev_b32_e32 v1, 20, v1
	v_and_b32_e32 v6, 0x80000000, v6
	v_lshl_add_u32 v7, v7, 23, v31
	v_or3_b32 v1, v6, v7, v1
.LBB6_6696:                             ;   in Loop: Header=BB6_5679 Depth=3
	s_or_b64 exec, exec, s[50:51]
.LBB6_6697:                             ;   in Loop: Header=BB6_5679 Depth=3
	s_or_b64 exec, exec, s[48:49]
.LBB6_6698:                             ;   in Loop: Header=BB6_5679 Depth=3
	s_or_b64 exec, exec, s[38:39]
	v_cmp_lt_u64_e32 vcc, s[62:63], v[24:25]
	s_and_saveexec_b64 s[38:39], vcc
	s_cbranch_execz .LBB6_6704
; %bb.6699:                             ;   in Loop: Header=BB6_5679 Depth=3
	v_cmp_ne_u32_e32 vcc, s82, v0
	v_bfrev_b32_e32 v3, 1
	s_and_saveexec_b64 s[48:49], vcc
	s_cbranch_execz .LBB6_6703
; %bb.6700:                             ;   in Loop: Header=BB6_5679 Depth=3
	v_bfe_u32 v6, v25, 24, 7
	v_cmp_ne_u32_e32 vcc, s83, v6
	v_mov_b32_e32 v3, 0x7f800001
	s_and_saveexec_b64 s[50:51], vcc
	s_cbranch_execz .LBB6_6702
; %bb.6701:                             ;   in Loop: Header=BB6_5679 Depth=3
	v_and_b32_e32 v3, 7, v0
	v_lshrrev_b32_e32 v31, 3, v6
	v_cmp_gt_u32_e32 vcc, 8, v6
	v_ffbh_u32_e32 v6, v3
	v_min_u32_e32 v32, 32, v6
	v_subrev_u32_e32 v6, 28, v32
	v_lshlrev_b64 v[6:7], v6, v[0:1]
	v_sub_u32_e32 v7, 29, v32
	v_and_b32_e32 v6, 7, v6
	v_cndmask_b32_e32 v7, v31, v7, vcc
	v_cndmask_b32_e32 v3, v3, v6, vcc
	v_lshlrev_b32_e32 v6, 24, v0
	v_bfrev_b32_e32 v31, 60
	v_lshlrev_b32_e32 v3, 20, v3
	v_and_b32_e32 v6, 0x80000000, v6
	v_lshl_add_u32 v7, v7, 23, v31
	v_or3_b32 v3, v6, v7, v3
.LBB6_6702:                             ;   in Loop: Header=BB6_5679 Depth=3
	s_or_b64 exec, exec, s[50:51]
.LBB6_6703:                             ;   in Loop: Header=BB6_5679 Depth=3
	s_or_b64 exec, exec, s[48:49]
.LBB6_6704:                             ;   in Loop: Header=BB6_5679 Depth=3
	s_or_b64 exec, exec, s[38:39]
	v_max_f32_e32 v3, v3, v3
	v_max_f32_e32 v1, v1, v1
	;; [unrolled: 1-line block ×3, first 2 shown]
	s_mov_b64 s[38:39], 0
.LBB6_6705:                             ;   in Loop: Header=BB6_5679 Depth=3
	s_and_b64 vcc, exec, s[38:39]
	s_cbranch_vccz .LBB6_6719
; %bb.6706:                             ;   in Loop: Header=BB6_5679 Depth=3
	v_mov_b32_e32 v3, 0
	v_mov_b32_e32 v1, 0
	s_and_saveexec_b64 s[38:39], s[40:41]
	s_cbranch_execz .LBB6_6712
; %bb.6707:                             ;   in Loop: Header=BB6_5679 Depth=3
	v_cmp_ne_u32_e32 vcc, s82, v2
	v_bfrev_b32_e32 v1, 1
	s_and_saveexec_b64 s[40:41], vcc
	s_cbranch_execz .LBB6_6711
; %bb.6708:                             ;   in Loop: Header=BB6_5679 Depth=3
	v_bfe_u32 v6, v33, 24, 7
	v_cmp_ne_u32_e32 vcc, s83, v6
	v_mov_b32_e32 v1, 0x7f800001
	s_and_saveexec_b64 s[48:49], vcc
	s_cbranch_execz .LBB6_6710
; %bb.6709:                             ;   in Loop: Header=BB6_5679 Depth=3
	v_and_b32_e32 v1, 7, v2
	v_lshrrev_b32_e32 v31, 3, v6
	v_cmp_gt_u32_e32 vcc, 8, v6
	v_ffbh_u32_e32 v6, v1
	v_min_u32_e32 v32, 32, v6
	v_subrev_u32_e32 v6, 28, v32
	v_lshlrev_b64 v[6:7], v6, v[2:3]
	v_sub_u32_e32 v7, 29, v32
	v_and_b32_e32 v6, 7, v6
	v_cndmask_b32_e32 v7, v31, v7, vcc
	v_cndmask_b32_e32 v1, v1, v6, vcc
	v_lshlrev_b32_e32 v2, 24, v2
	v_bfrev_b32_e32 v6, 60
	v_lshlrev_b32_e32 v1, 20, v1
	v_and_b32_e32 v2, 0x80000000, v2
	v_lshl_add_u32 v6, v7, 23, v6
	v_or3_b32 v1, v2, v6, v1
.LBB6_6710:                             ;   in Loop: Header=BB6_5679 Depth=3
	s_or_b64 exec, exec, s[48:49]
.LBB6_6711:                             ;   in Loop: Header=BB6_5679 Depth=3
	s_or_b64 exec, exec, s[40:41]
.LBB6_6712:                             ;   in Loop: Header=BB6_5679 Depth=3
	s_or_b64 exec, exec, s[38:39]
	v_cmp_lt_u64_e32 vcc, s[62:63], v[24:25]
	s_and_saveexec_b64 s[40:41], vcc
	s_cbranch_execz .LBB6_6718
; %bb.6713:                             ;   in Loop: Header=BB6_5679 Depth=3
	v_cmp_ne_u32_e32 vcc, s82, v0
	v_bfrev_b32_e32 v3, 1
	s_and_saveexec_b64 s[38:39], vcc
	s_cbranch_execz .LBB6_6717
; %bb.6714:                             ;   in Loop: Header=BB6_5679 Depth=3
	v_bfe_u32 v2, v25, 24, 7
	v_cmp_ne_u32_e32 vcc, s83, v2
	v_mov_b32_e32 v3, 0x7f800001
	s_and_saveexec_b64 s[48:49], vcc
	s_cbranch_execz .LBB6_6716
; %bb.6715:                             ;   in Loop: Header=BB6_5679 Depth=3
	v_and_b32_e32 v6, 7, v0
	v_lshrrev_b32_e32 v7, 3, v2
	v_cmp_gt_u32_e32 vcc, 8, v2
	v_ffbh_u32_e32 v2, v6
	v_min_u32_e32 v24, 32, v2
	v_subrev_u32_e32 v2, 28, v24
	v_lshlrev_b64 v[2:3], v2, v[0:1]
	v_sub_u32_e32 v3, 29, v24
	v_and_b32_e32 v2, 7, v2
	v_cndmask_b32_e32 v3, v7, v3, vcc
	v_cndmask_b32_e32 v2, v6, v2, vcc
	v_lshlrev_b32_e32 v0, 24, v0
	v_bfrev_b32_e32 v6, 60
	v_lshlrev_b32_e32 v2, 20, v2
	v_and_b32_e32 v0, 0x80000000, v0
	v_lshl_add_u32 v3, v3, 23, v6
	v_or3_b32 v3, v0, v3, v2
.LBB6_6716:                             ;   in Loop: Header=BB6_5679 Depth=3
	s_or_b64 exec, exec, s[48:49]
.LBB6_6717:                             ;   in Loop: Header=BB6_5679 Depth=3
	s_or_b64 exec, exec, s[38:39]
.LBB6_6718:                             ;   in Loop: Header=BB6_5679 Depth=3
	s_or_b64 exec, exec, s[40:41]
	v_max_f32_e32 v0, v3, v3
	v_max_f32_e32 v1, v1, v1
	v_min_f32_e32 v1, v1, v0
.LBB6_6719:                             ;   in Loop: Header=BB6_5679 Depth=3
	v_and_b32_e32 v52, 0x7f800000, v1
	v_cmp_ne_u64_e32 vcc, s[76:77], v[52:53]
	buffer_store_dword v36, off, s[0:3], s33 offset:156 ; 4-byte Folded Spill
                                        ; implicit-def: $vgpr25
	s_and_saveexec_b64 s[40:41], vcc
	s_xor_b64 s[38:39], exec, s[40:41]
	s_cbranch_execz .LBB6_6733
; %bb.6720:                             ;   in Loop: Header=BB6_5679 Depth=3
	v_and_b32_e32 v52, 0x7fffffff, v1
	v_cmp_gt_u64_e32 vcc, s[78:79], v[52:53]
	v_and_b32_sdwa v3, v1, s82 dst_sel:DWORD dst_unused:UNUSED_PAD src0_sel:BYTE_3 src1_sel:DWORD
                                        ; implicit-def: $vgpr25
	s_and_saveexec_b64 s[40:41], vcc
	s_xor_b64 s[48:49], exec, s[40:41]
	s_cbranch_execz .LBB6_6730
; %bb.6721:                             ;   in Loop: Header=BB6_5679 Depth=3
	v_mov_b32_e32 v25, 0
	v_cmp_ne_u32_e32 vcc, 0, v1
	s_and_saveexec_b64 s[50:51], vcc
	s_cbranch_execz .LBB6_6729
; %bb.6722:                             ;   in Loop: Header=BB6_5679 Depth=3
	v_bfe_u32 v6, v1, 23, 8
	v_and_b32_e32 v0, 0x7fffff, v1
	v_cmp_gt_u32_e64 s[40:41], s85, v6
	v_sub_u32_e32 v1, 0x79, v6
	v_cmp_eq_u32_e32 vcc, 0, v6
	v_cndmask_b32_e64 v1, 0, v1, s[40:41]
	v_mov_b32_e32 v7, 0x78
	v_or_b32_e32 v2, 0x800000, v0
	v_cndmask_b32_e32 v7, v1, v7, vcc
	v_cndmask_b32_e32 v52, v2, v0, vcc
	v_add_u32_e32 v0, 20, v7
	v_lshlrev_b64 v[0:1], v0, -1
	v_add_u32_e32 v2, 19, v7
	v_lshlrev_b64 v[24:25], v2, 1
	v_bfi_b32 v1, v1, 0, 0
	v_bfi_b32 v0, v0, 0, v52
	v_cmp_eq_u64_e64 s[40:41], v[0:1], v[24:25]
	v_lshrrev_b64 v[0:1], v7, v[52:53]
	v_mov_b32_e32 v2, v1
	v_mov_b32_e32 v1, v0
	s_and_saveexec_b64 s[52:53], s[40:41]
; %bb.6723:                             ;   in Loop: Header=BB6_5679 Depth=3
	v_bfe_u32 v1, v0, 20, 1
	v_add_co_u32_e64 v1, s[40:41], v0, v1
	v_add_co_u32_e64 v1, s[40:41], -1, v1
; %bb.6724:                             ;   in Loop: Header=BB6_5679 Depth=3
	s_or_b64 exec, exec, s[52:53]
	v_add_u32_e32 v2, 0xffffff81, v6
	v_mov_b32_e32 v6, 0xffffff82
	v_cndmask_b32_e32 v2, v2, v6, vcc
	v_lshrrev_b32_e32 v6, 23, v0
	v_add3_u32 v7, v7, v2, v6
	v_add_u32_e32 v6, 6, v7
	v_and_b32_e32 v1, 0xfffff, v1
	v_add_u32_e32 v52, v1, v0
	v_cmp_ne_u32_e32 vcc, 0, v6
                                        ; implicit-def: $vgpr0_vgpr1
                                        ; implicit-def: $vgpr2
	s_and_saveexec_b64 s[40:41], vcc
	s_xor_b64 s[40:41], exec, s[40:41]
; %bb.6725:                             ;   in Loop: Header=BB6_5679 Depth=3
	v_cmp_lt_u64_e32 vcc, s[88:89], v[52:53]
	v_add_u32_e32 v0, 7, v7
	v_cndmask_b32_e32 v2, v6, v0, vcc
	v_cndmask_b32_e64 v0, 0, 1, vcc
	v_lshrrev_b64 v[0:1], v0, v[52:53]
; %bb.6726:                             ;   in Loop: Header=BB6_5679 Depth=3
	s_andn2_saveexec_b64 s[40:41], s[40:41]
; %bb.6727:                             ;   in Loop: Header=BB6_5679 Depth=3
	v_mov_b32_e32 v0, v52
	v_bfe_u32 v2, v52, 23, 1
	v_mov_b32_e32 v1, v53
; %bb.6728:                             ;   in Loop: Header=BB6_5679 Depth=3
	s_or_b64 exec, exec, s[40:41]
	v_lshrrev_b64 v[0:1], 20, v[0:1]
	v_cmp_gt_i32_e32 vcc, 16, v2
	v_cndmask_b32_e32 v1, 0, v1, vcc
	v_cndmask_b32_e32 v0, 7, v0, vcc
	v_cmp_eq_u64_e64 s[40:41], 0, v[0:1]
	v_min_i32_e32 v1, 15, v2
	v_lshlrev_b32_e32 v1, 3, v1
	v_cmp_eq_u32_e32 vcc, 0, v2
	v_and_b32_e32 v1, 0xf8, v1
	v_and_or_b32 v0, v0, 7, v1
	s_and_b64 s[40:41], vcc, s[40:41]
	v_cndmask_b32_e64 v0, v0, 0, s[40:41]
	v_or_b32_e32 v25, v0, v3
.LBB6_6729:                             ;   in Loop: Header=BB6_5679 Depth=3
	s_or_b64 exec, exec, s[50:51]
                                        ; implicit-def: $vgpr3
.LBB6_6730:                             ;   in Loop: Header=BB6_5679 Depth=3
	s_andn2_saveexec_b64 s[40:41], s[48:49]
; %bb.6731:                             ;   in Loop: Header=BB6_5679 Depth=3
	v_or_b32_e32 v25, 0x7e, v3
; %bb.6732:                             ;   in Loop: Header=BB6_5679 Depth=3
	s_or_b64 exec, exec, s[40:41]
                                        ; implicit-def: $vgpr1
.LBB6_6733:                             ;   in Loop: Header=BB6_5679 Depth=3
	s_andn2_saveexec_b64 s[40:41], s[38:39]
; %bb.6734:                             ;   in Loop: Header=BB6_5679 Depth=3
	v_or_b32_sdwa v25, v1, s83 dst_sel:DWORD dst_unused:UNUSED_PAD src0_sel:BYTE_3 src1_sel:DWORD
; %bb.6735:                             ;   in Loop: Header=BB6_5679 Depth=3
	s_or_b64 exec, exec, s[40:41]
	v_cmp_ne_u16_sdwa s[40:41], v34, v53 src0_sel:BYTE_0 src1_sel:DWORD
	s_and_b64 vcc, exec, s[28:29]
	s_mov_b64 s[38:39], -1
                                        ; implicit-def: $vgpr0
	s_cbranch_vccnz .LBB6_6749
; %bb.6736:                             ;   in Loop: Header=BB6_5679 Depth=3
	v_mov_b32_e32 v1, 0
	v_mov_b32_e32 v0, 0
	s_and_saveexec_b64 s[38:39], s[40:41]
	s_cbranch_execz .LBB6_6742
; %bb.6737:                             ;   in Loop: Header=BB6_5679 Depth=3
	v_cmp_ne_u16_sdwa vcc, v34, s82 src0_sel:BYTE_0 src1_sel:DWORD
	v_bfrev_b32_e32 v0, 1
	s_and_saveexec_b64 s[48:49], vcc
	s_cbranch_execz .LBB6_6741
; %bb.6738:                             ;   in Loop: Header=BB6_5679 Depth=3
	v_and_b32_e32 v2, 0x7f, v34
	v_cmp_ne_u32_e32 vcc, s83, v2
	v_mov_b32_e32 v0, 0x7f800001
	s_and_saveexec_b64 s[50:51], vcc
	s_cbranch_execz .LBB6_6740
; %bb.6739:                             ;   in Loop: Header=BB6_5679 Depth=3
	v_and_b32_e32 v0, 7, v34
	v_ffbh_u32_e32 v0, v0
	v_min_u32_e32 v0, 32, v0
	v_lshrrev_b32_e32 v3, 3, v2
	v_cmp_gt_u32_e32 vcc, 8, v2
	v_subrev_u32_e32 v2, 28, v0
	v_sub_u32_e32 v0, 29, v0
	v_cndmask_b32_e32 v2, 0, v2, vcc
	v_cndmask_b32_e32 v0, v3, v0, vcc
	v_lshlrev_b64 v[2:3], v2, v[34:35]
	v_lshlrev_b32_e32 v3, 24, v34
	v_lshlrev_b32_e32 v2, 20, v2
	v_bfrev_b32_e32 v6, 60
	v_and_b32_e32 v2, 0x700000, v2
	v_and_b32_e32 v3, 0x80000000, v3
	v_lshl_add_u32 v0, v0, 23, v6
	v_or3_b32 v0, v3, v0, v2
.LBB6_6740:                             ;   in Loop: Header=BB6_5679 Depth=3
	s_or_b64 exec, exec, s[50:51]
.LBB6_6741:                             ;   in Loop: Header=BB6_5679 Depth=3
	s_or_b64 exec, exec, s[48:49]
.LBB6_6742:                             ;   in Loop: Header=BB6_5679 Depth=3
	s_or_b64 exec, exec, s[38:39]
	v_cmp_ne_u16_sdwa vcc, v26, v53 src0_sel:BYTE_0 src1_sel:DWORD
	s_and_saveexec_b64 s[38:39], vcc
	s_cbranch_execz .LBB6_6748
; %bb.6743:                             ;   in Loop: Header=BB6_5679 Depth=3
	v_cmp_ne_u16_sdwa vcc, v26, s82 src0_sel:BYTE_0 src1_sel:DWORD
	v_bfrev_b32_e32 v1, 1
	s_and_saveexec_b64 s[48:49], vcc
	s_cbranch_execz .LBB6_6747
; %bb.6744:                             ;   in Loop: Header=BB6_5679 Depth=3
	v_and_b32_e32 v2, 0x7f, v26
	v_cmp_ne_u32_e32 vcc, s83, v2
	v_mov_b32_e32 v1, 0x7f800001
	s_and_saveexec_b64 s[50:51], vcc
	s_cbranch_execz .LBB6_6746
; %bb.6745:                             ;   in Loop: Header=BB6_5679 Depth=3
	v_and_b32_e32 v1, 7, v26
	v_ffbh_u32_e32 v1, v1
	v_min_u32_e32 v1, 32, v1
	v_lshrrev_b32_e32 v3, 3, v2
	v_cmp_gt_u32_e32 vcc, 8, v2
	v_subrev_u32_e32 v2, 28, v1
	v_sub_u32_e32 v1, 29, v1
	v_cndmask_b32_e32 v3, v3, v1, vcc
	v_cndmask_b32_e32 v1, 0, v2, vcc
	v_lshlrev_b64 v[1:2], v1, v[26:27]
	v_lshlrev_b32_e32 v2, 24, v26
	v_lshlrev_b32_e32 v1, 20, v1
	v_bfrev_b32_e32 v6, 60
	v_and_b32_e32 v1, 0x700000, v1
	v_and_b32_e32 v2, 0x80000000, v2
	v_lshl_add_u32 v3, v3, 23, v6
	v_or3_b32 v1, v2, v3, v1
.LBB6_6746:                             ;   in Loop: Header=BB6_5679 Depth=3
	s_or_b64 exec, exec, s[50:51]
.LBB6_6747:                             ;   in Loop: Header=BB6_5679 Depth=3
	s_or_b64 exec, exec, s[48:49]
.LBB6_6748:                             ;   in Loop: Header=BB6_5679 Depth=3
	s_or_b64 exec, exec, s[38:39]
	v_max_f32_e32 v1, v1, v1
	v_max_f32_e32 v0, v0, v0
	;; [unrolled: 1-line block ×3, first 2 shown]
	s_mov_b64 s[38:39], 0
.LBB6_6749:                             ;   in Loop: Header=BB6_5679 Depth=3
	s_and_b64 vcc, exec, s[38:39]
	s_cbranch_vccz .LBB6_6763
; %bb.6750:                             ;   in Loop: Header=BB6_5679 Depth=3
	v_mov_b32_e32 v1, 0
	v_mov_b32_e32 v0, 0
	s_and_saveexec_b64 s[38:39], s[40:41]
	s_cbranch_execz .LBB6_6756
; %bb.6751:                             ;   in Loop: Header=BB6_5679 Depth=3
	v_cmp_ne_u16_sdwa vcc, v34, s82 src0_sel:BYTE_0 src1_sel:DWORD
	v_bfrev_b32_e32 v0, 1
	s_and_saveexec_b64 s[40:41], vcc
	s_cbranch_execz .LBB6_6755
; %bb.6752:                             ;   in Loop: Header=BB6_5679 Depth=3
	v_and_b32_e32 v2, 0x7f, v34
	v_cmp_ne_u32_e32 vcc, s83, v2
	v_mov_b32_e32 v0, 0x7f800001
	s_and_saveexec_b64 s[48:49], vcc
	s_cbranch_execz .LBB6_6754
; %bb.6753:                             ;   in Loop: Header=BB6_5679 Depth=3
	v_and_b32_e32 v0, 7, v34
	v_ffbh_u32_e32 v0, v0
	v_min_u32_e32 v0, 32, v0
	v_lshrrev_b32_e32 v3, 3, v2
	v_cmp_gt_u32_e32 vcc, 8, v2
	v_subrev_u32_e32 v2, 28, v0
	v_sub_u32_e32 v0, 29, v0
	v_cndmask_b32_e32 v2, 0, v2, vcc
	v_cndmask_b32_e32 v0, v3, v0, vcc
	v_lshlrev_b64 v[2:3], v2, v[34:35]
	v_lshlrev_b32_e32 v3, 24, v34
	v_lshlrev_b32_e32 v2, 20, v2
	v_bfrev_b32_e32 v6, 60
	v_and_b32_e32 v2, 0x700000, v2
	v_and_b32_e32 v3, 0x80000000, v3
	v_lshl_add_u32 v0, v0, 23, v6
	v_or3_b32 v0, v3, v0, v2
.LBB6_6754:                             ;   in Loop: Header=BB6_5679 Depth=3
	s_or_b64 exec, exec, s[48:49]
.LBB6_6755:                             ;   in Loop: Header=BB6_5679 Depth=3
	s_or_b64 exec, exec, s[40:41]
.LBB6_6756:                             ;   in Loop: Header=BB6_5679 Depth=3
	s_or_b64 exec, exec, s[38:39]
	v_cmp_ne_u16_sdwa vcc, v26, v53 src0_sel:BYTE_0 src1_sel:DWORD
	s_and_saveexec_b64 s[40:41], vcc
	s_cbranch_execz .LBB6_6762
; %bb.6757:                             ;   in Loop: Header=BB6_5679 Depth=3
	v_cmp_ne_u16_sdwa vcc, v26, s82 src0_sel:BYTE_0 src1_sel:DWORD
	v_bfrev_b32_e32 v1, 1
	s_and_saveexec_b64 s[38:39], vcc
	s_cbranch_execz .LBB6_6761
; %bb.6758:                             ;   in Loop: Header=BB6_5679 Depth=3
	v_and_b32_e32 v2, 0x7f, v26
	v_cmp_ne_u32_e32 vcc, s83, v2
	v_mov_b32_e32 v1, 0x7f800001
	s_and_saveexec_b64 s[48:49], vcc
	s_cbranch_execz .LBB6_6760
; %bb.6759:                             ;   in Loop: Header=BB6_5679 Depth=3
	v_and_b32_e32 v1, 7, v26
	v_ffbh_u32_e32 v1, v1
	v_min_u32_e32 v1, 32, v1
	v_lshrrev_b32_e32 v3, 3, v2
	v_cmp_gt_u32_e32 vcc, 8, v2
	v_subrev_u32_e32 v2, 28, v1
	v_sub_u32_e32 v1, 29, v1
	v_cndmask_b32_e32 v3, v3, v1, vcc
	v_cndmask_b32_e32 v1, 0, v2, vcc
	v_lshlrev_b64 v[1:2], v1, v[26:27]
	v_lshlrev_b32_e32 v2, 24, v26
	v_lshlrev_b32_e32 v1, 20, v1
	v_bfrev_b32_e32 v6, 60
	v_and_b32_e32 v1, 0x700000, v1
	v_and_b32_e32 v2, 0x80000000, v2
	v_lshl_add_u32 v3, v3, 23, v6
	v_or3_b32 v1, v2, v3, v1
.LBB6_6760:                             ;   in Loop: Header=BB6_5679 Depth=3
	s_or_b64 exec, exec, s[48:49]
.LBB6_6761:                             ;   in Loop: Header=BB6_5679 Depth=3
	s_or_b64 exec, exec, s[38:39]
.LBB6_6762:                             ;   in Loop: Header=BB6_5679 Depth=3
	s_or_b64 exec, exec, s[40:41]
	v_max_f32_e32 v1, v1, v1
	v_max_f32_e32 v0, v0, v0
	v_min_f32_e32 v0, v0, v1
.LBB6_6763:                             ;   in Loop: Header=BB6_5679 Depth=3
	v_and_b32_e32 v52, 0x7f800000, v0
	v_cmp_ne_u64_e32 vcc, s[76:77], v[52:53]
                                        ; implicit-def: $vgpr33
	s_and_saveexec_b64 s[40:41], vcc
	s_xor_b64 s[38:39], exec, s[40:41]
	s_cbranch_execz .LBB6_6777
; %bb.6764:                             ;   in Loop: Header=BB6_5679 Depth=3
	v_and_b32_e32 v52, 0x7fffffff, v0
	v_cmp_gt_u64_e32 vcc, s[78:79], v[52:53]
	v_and_b32_sdwa v3, v0, s82 dst_sel:DWORD dst_unused:UNUSED_PAD src0_sel:BYTE_3 src1_sel:DWORD
                                        ; implicit-def: $vgpr33
	s_and_saveexec_b64 s[40:41], vcc
	s_xor_b64 s[48:49], exec, s[40:41]
	s_cbranch_execz .LBB6_6774
; %bb.6765:                             ;   in Loop: Header=BB6_5679 Depth=3
	v_mov_b32_e32 v33, 0
	v_cmp_ne_u32_e32 vcc, 0, v0
	s_and_saveexec_b64 s[50:51], vcc
	s_cbranch_execz .LBB6_6773
; %bb.6766:                             ;   in Loop: Header=BB6_5679 Depth=3
	v_bfe_u32 v6, v0, 23, 8
	v_and_b32_e32 v1, 0x7fffff, v0
	v_cmp_gt_u32_e64 s[40:41], s85, v6
	v_sub_u32_e32 v0, 0x79, v6
	v_cmp_eq_u32_e32 vcc, 0, v6
	v_cndmask_b32_e64 v0, 0, v0, s[40:41]
	v_mov_b32_e32 v7, 0x78
	v_cndmask_b32_e32 v7, v0, v7, vcc
	v_or_b32_e32 v2, 0x800000, v1
	v_add_u32_e32 v0, 20, v7
	v_cndmask_b32_e32 v52, v2, v1, vcc
	v_lshlrev_b64 v[0:1], v0, -1
	v_add_u32_e32 v2, 19, v7
	v_lshlrev_b64 v[32:33], v2, 1
	v_bfi_b32 v1, v1, 0, 0
	v_bfi_b32 v0, v0, 0, v52
	v_cmp_eq_u64_e64 s[40:41], v[0:1], v[32:33]
	v_lshrrev_b64 v[0:1], v7, v[52:53]
	v_mov_b32_e32 v2, v1
	v_mov_b32_e32 v1, v0
	s_and_saveexec_b64 s[52:53], s[40:41]
; %bb.6767:                             ;   in Loop: Header=BB6_5679 Depth=3
	v_bfe_u32 v1, v0, 20, 1
	v_add_co_u32_e64 v1, s[40:41], v0, v1
	v_add_co_u32_e64 v1, s[40:41], -1, v1
; %bb.6768:                             ;   in Loop: Header=BB6_5679 Depth=3
	s_or_b64 exec, exec, s[52:53]
	v_add_u32_e32 v2, 0xffffff81, v6
	v_mov_b32_e32 v6, 0xffffff82
	v_cndmask_b32_e32 v2, v2, v6, vcc
	v_lshrrev_b32_e32 v6, 23, v0
	v_add3_u32 v7, v7, v2, v6
	v_add_u32_e32 v6, 6, v7
	v_and_b32_e32 v1, 0xfffff, v1
	v_add_u32_e32 v52, v1, v0
	v_cmp_ne_u32_e32 vcc, 0, v6
                                        ; implicit-def: $vgpr0_vgpr1
                                        ; implicit-def: $vgpr2
	s_and_saveexec_b64 s[40:41], vcc
	s_xor_b64 s[40:41], exec, s[40:41]
; %bb.6769:                             ;   in Loop: Header=BB6_5679 Depth=3
	v_cmp_lt_u64_e32 vcc, s[88:89], v[52:53]
	v_add_u32_e32 v0, 7, v7
	v_cndmask_b32_e32 v2, v6, v0, vcc
	v_cndmask_b32_e64 v0, 0, 1, vcc
	v_lshrrev_b64 v[0:1], v0, v[52:53]
; %bb.6770:                             ;   in Loop: Header=BB6_5679 Depth=3
	s_andn2_saveexec_b64 s[40:41], s[40:41]
; %bb.6771:                             ;   in Loop: Header=BB6_5679 Depth=3
	v_mov_b32_e32 v0, v52
	v_bfe_u32 v2, v52, 23, 1
	v_mov_b32_e32 v1, v53
; %bb.6772:                             ;   in Loop: Header=BB6_5679 Depth=3
	s_or_b64 exec, exec, s[40:41]
	v_lshrrev_b64 v[0:1], 20, v[0:1]
	v_cmp_gt_i32_e32 vcc, 16, v2
	v_cndmask_b32_e32 v1, 0, v1, vcc
	v_cndmask_b32_e32 v0, 7, v0, vcc
	v_cmp_eq_u64_e64 s[40:41], 0, v[0:1]
	v_min_i32_e32 v1, 15, v2
	v_lshlrev_b32_e32 v1, 3, v1
	v_cmp_eq_u32_e32 vcc, 0, v2
	v_and_b32_e32 v1, 0xf8, v1
	v_and_or_b32 v0, v0, 7, v1
	s_and_b64 s[40:41], vcc, s[40:41]
	v_cndmask_b32_e64 v0, v0, 0, s[40:41]
	v_or_b32_e32 v33, v0, v3
.LBB6_6773:                             ;   in Loop: Header=BB6_5679 Depth=3
	s_or_b64 exec, exec, s[50:51]
                                        ; implicit-def: $vgpr3
.LBB6_6774:                             ;   in Loop: Header=BB6_5679 Depth=3
	s_andn2_saveexec_b64 s[40:41], s[48:49]
; %bb.6775:                             ;   in Loop: Header=BB6_5679 Depth=3
	v_or_b32_e32 v33, 0x7e, v3
; %bb.6776:                             ;   in Loop: Header=BB6_5679 Depth=3
	s_or_b64 exec, exec, s[40:41]
                                        ; implicit-def: $vgpr0
.LBB6_6777:                             ;   in Loop: Header=BB6_5679 Depth=3
	s_andn2_saveexec_b64 s[40:41], s[38:39]
; %bb.6778:                             ;   in Loop: Header=BB6_5679 Depth=3
	v_or_b32_sdwa v33, v0, s83 dst_sel:DWORD dst_unused:UNUSED_PAD src0_sel:BYTE_3 src1_sel:DWORD
; %bb.6779:                             ;   in Loop: Header=BB6_5679 Depth=3
	s_or_b64 exec, exec, s[40:41]
	v_lshrrev_b16_e32 v2, 8, v34
	v_lshrrev_b16_e32 v0, 8, v26
	v_cmp_ne_u16_e64 s[40:41], 0, v2
	s_and_b64 vcc, exec, s[28:29]
	s_mov_b64 s[38:39], -1
                                        ; implicit-def: $vgpr1
	s_cbranch_vccnz .LBB6_6793
; %bb.6780:                             ;   in Loop: Header=BB6_5679 Depth=3
	v_mov_b32_e32 v3, 0
	v_mov_b32_e32 v1, 0
	s_and_saveexec_b64 s[38:39], s[40:41]
	s_cbranch_execz .LBB6_6786
; %bb.6781:                             ;   in Loop: Header=BB6_5679 Depth=3
	v_cmp_ne_u16_e32 vcc, s82, v2
	v_bfrev_b32_e32 v1, 1
	s_and_saveexec_b64 s[48:49], vcc
	s_cbranch_execz .LBB6_6785
; %bb.6782:                             ;   in Loop: Header=BB6_5679 Depth=3
	v_and_b32_e32 v6, 0x7f, v2
	v_cmp_ne_u32_e32 vcc, s83, v6
	v_mov_b32_e32 v1, 0x7f800001
	s_and_saveexec_b64 s[50:51], vcc
	s_cbranch_execz .LBB6_6784
; %bb.6783:                             ;   in Loop: Header=BB6_5679 Depth=3
	v_and_b32_e32 v1, 7, v2
	v_lshrrev_b32_e32 v24, 3, v6
	v_cmp_gt_u32_e32 vcc, 8, v6
	v_ffbh_u32_e32 v6, v1
	v_min_u32_e32 v31, 32, v6
	v_subrev_u32_e32 v6, 28, v31
	v_lshlrev_b64 v[6:7], v6, v[2:3]
	v_sub_u32_e32 v7, 29, v31
	v_and_b32_e32 v6, 7, v6
	v_cndmask_b32_e32 v7, v24, v7, vcc
	v_cndmask_b32_e32 v1, v1, v6, vcc
	v_lshlrev_b32_e32 v6, 16, v34
	v_bfrev_b32_e32 v24, 60
	v_lshlrev_b32_e32 v1, 20, v1
	v_and_b32_e32 v6, 0x80000000, v6
	v_lshl_add_u32 v7, v7, 23, v24
	v_or3_b32 v1, v6, v7, v1
.LBB6_6784:                             ;   in Loop: Header=BB6_5679 Depth=3
	s_or_b64 exec, exec, s[50:51]
.LBB6_6785:                             ;   in Loop: Header=BB6_5679 Depth=3
	s_or_b64 exec, exec, s[48:49]
.LBB6_6786:                             ;   in Loop: Header=BB6_5679 Depth=3
	s_or_b64 exec, exec, s[38:39]
	v_cmp_ne_u16_e32 vcc, 0, v0
	s_and_saveexec_b64 s[38:39], vcc
	s_cbranch_execz .LBB6_6792
; %bb.6787:                             ;   in Loop: Header=BB6_5679 Depth=3
	v_cmp_ne_u16_e32 vcc, s82, v0
	v_bfrev_b32_e32 v3, 1
	s_and_saveexec_b64 s[48:49], vcc
	s_cbranch_execz .LBB6_6791
; %bb.6788:                             ;   in Loop: Header=BB6_5679 Depth=3
	v_and_b32_e32 v6, 0x7f, v0
	v_cmp_ne_u32_e32 vcc, s83, v6
	v_mov_b32_e32 v3, 0x7f800001
	s_and_saveexec_b64 s[50:51], vcc
	s_cbranch_execz .LBB6_6790
; %bb.6789:                             ;   in Loop: Header=BB6_5679 Depth=3
	v_and_b32_e32 v3, 7, v0
	v_lshrrev_b32_e32 v24, 3, v6
	v_cmp_gt_u32_e32 vcc, 8, v6
	v_ffbh_u32_e32 v6, v3
	v_min_u32_e32 v31, 32, v6
	v_subrev_u32_e32 v6, 28, v31
	v_lshlrev_b64 v[6:7], v6, v[0:1]
	v_sub_u32_e32 v7, 29, v31
	v_and_b32_e32 v6, 7, v6
	v_cndmask_b32_e32 v7, v24, v7, vcc
	v_cndmask_b32_e32 v3, v3, v6, vcc
	v_lshlrev_b32_e32 v6, 16, v26
	v_bfrev_b32_e32 v24, 60
	v_lshlrev_b32_e32 v3, 20, v3
	v_and_b32_e32 v6, 0x80000000, v6
	v_lshl_add_u32 v7, v7, 23, v24
	v_or3_b32 v3, v6, v7, v3
.LBB6_6790:                             ;   in Loop: Header=BB6_5679 Depth=3
	s_or_b64 exec, exec, s[50:51]
.LBB6_6791:                             ;   in Loop: Header=BB6_5679 Depth=3
	s_or_b64 exec, exec, s[48:49]
.LBB6_6792:                             ;   in Loop: Header=BB6_5679 Depth=3
	s_or_b64 exec, exec, s[38:39]
	v_max_f32_e32 v3, v3, v3
	v_max_f32_e32 v1, v1, v1
	;; [unrolled: 1-line block ×3, first 2 shown]
	s_mov_b64 s[38:39], 0
.LBB6_6793:                             ;   in Loop: Header=BB6_5679 Depth=3
	s_and_b64 vcc, exec, s[38:39]
	s_cbranch_vccz .LBB6_6807
; %bb.6794:                             ;   in Loop: Header=BB6_5679 Depth=3
	v_mov_b32_e32 v3, 0
	v_mov_b32_e32 v1, 0
	s_and_saveexec_b64 s[38:39], s[40:41]
	s_cbranch_execz .LBB6_6800
; %bb.6795:                             ;   in Loop: Header=BB6_5679 Depth=3
	v_cmp_ne_u16_e32 vcc, s82, v2
	v_bfrev_b32_e32 v1, 1
	s_and_saveexec_b64 s[40:41], vcc
	s_cbranch_execz .LBB6_6799
; %bb.6796:                             ;   in Loop: Header=BB6_5679 Depth=3
	v_and_b32_e32 v6, 0x7f, v2
	v_cmp_ne_u32_e32 vcc, s83, v6
	v_mov_b32_e32 v1, 0x7f800001
	s_and_saveexec_b64 s[48:49], vcc
	s_cbranch_execz .LBB6_6798
; %bb.6797:                             ;   in Loop: Header=BB6_5679 Depth=3
	v_and_b32_e32 v7, 7, v2
	v_ffbh_u32_e32 v1, v7
	v_lshrrev_b32_e32 v24, 3, v6
	v_cmp_gt_u32_e32 vcc, 8, v6
	v_min_u32_e32 v6, 32, v1
	v_subrev_u32_e32 v1, 28, v6
	v_lshlrev_b64 v[1:2], v1, v[2:3]
	v_sub_u32_e32 v2, 29, v6
	v_and_b32_e32 v1, 7, v1
	v_cndmask_b32_e32 v2, v24, v2, vcc
	v_cndmask_b32_e32 v1, v7, v1, vcc
	v_lshlrev_b32_e32 v6, 16, v34
	v_bfrev_b32_e32 v7, 60
	v_lshlrev_b32_e32 v1, 20, v1
	v_and_b32_e32 v6, 0x80000000, v6
	v_lshl_add_u32 v2, v2, 23, v7
	v_or3_b32 v1, v6, v2, v1
.LBB6_6798:                             ;   in Loop: Header=BB6_5679 Depth=3
	s_or_b64 exec, exec, s[48:49]
.LBB6_6799:                             ;   in Loop: Header=BB6_5679 Depth=3
	s_or_b64 exec, exec, s[40:41]
.LBB6_6800:                             ;   in Loop: Header=BB6_5679 Depth=3
	s_or_b64 exec, exec, s[38:39]
	v_cmp_ne_u16_e32 vcc, 0, v0
	s_and_saveexec_b64 s[40:41], vcc
	s_cbranch_execz .LBB6_6806
; %bb.6801:                             ;   in Loop: Header=BB6_5679 Depth=3
	v_cmp_ne_u16_e32 vcc, s82, v0
	v_bfrev_b32_e32 v3, 1
	s_and_saveexec_b64 s[38:39], vcc
	s_cbranch_execz .LBB6_6805
; %bb.6802:                             ;   in Loop: Header=BB6_5679 Depth=3
	v_and_b32_e32 v2, 0x7f, v0
	v_cmp_ne_u32_e32 vcc, s83, v2
	v_mov_b32_e32 v3, 0x7f800001
	s_and_saveexec_b64 s[48:49], vcc
	s_cbranch_execz .LBB6_6804
; %bb.6803:                             ;   in Loop: Header=BB6_5679 Depth=3
	v_and_b32_e32 v6, 7, v0
	v_lshrrev_b32_e32 v7, 3, v2
	v_cmp_gt_u32_e32 vcc, 8, v2
	v_ffbh_u32_e32 v2, v6
	v_min_u32_e32 v24, 32, v2
	v_subrev_u32_e32 v2, 28, v24
	v_lshlrev_b64 v[2:3], v2, v[0:1]
	v_sub_u32_e32 v0, 29, v24
	v_and_b32_e32 v2, 7, v2
	v_cndmask_b32_e32 v0, v7, v0, vcc
	v_cndmask_b32_e32 v2, v6, v2, vcc
	v_lshlrev_b32_e32 v3, 16, v26
	v_bfrev_b32_e32 v6, 60
	v_lshlrev_b32_e32 v2, 20, v2
	v_and_b32_e32 v3, 0x80000000, v3
	v_lshl_add_u32 v0, v0, 23, v6
	v_or3_b32 v3, v3, v0, v2
.LBB6_6804:                             ;   in Loop: Header=BB6_5679 Depth=3
	s_or_b64 exec, exec, s[48:49]
.LBB6_6805:                             ;   in Loop: Header=BB6_5679 Depth=3
	s_or_b64 exec, exec, s[38:39]
.LBB6_6806:                             ;   in Loop: Header=BB6_5679 Depth=3
	s_or_b64 exec, exec, s[40:41]
	v_max_f32_e32 v0, v3, v3
	v_max_f32_e32 v1, v1, v1
	v_min_f32_e32 v1, v1, v0
.LBB6_6807:                             ;   in Loop: Header=BB6_5679 Depth=3
	v_and_b32_e32 v52, 0x7f800000, v1
	v_cmp_ne_u64_e32 vcc, s[76:77], v[52:53]
                                        ; implicit-def: $vgpr32
	s_and_saveexec_b64 s[40:41], vcc
	s_xor_b64 s[38:39], exec, s[40:41]
	s_cbranch_execz .LBB6_6821
; %bb.6808:                             ;   in Loop: Header=BB6_5679 Depth=3
	v_and_b32_e32 v52, 0x7fffffff, v1
	v_cmp_gt_u64_e32 vcc, s[78:79], v[52:53]
	v_and_b32_sdwa v3, v1, s82 dst_sel:DWORD dst_unused:UNUSED_PAD src0_sel:BYTE_3 src1_sel:DWORD
                                        ; implicit-def: $vgpr32
	s_and_saveexec_b64 s[40:41], vcc
	s_xor_b64 s[48:49], exec, s[40:41]
	s_cbranch_execz .LBB6_6818
; %bb.6809:                             ;   in Loop: Header=BB6_5679 Depth=3
	v_mov_b32_e32 v32, 0
	v_cmp_ne_u32_e32 vcc, 0, v1
	s_and_saveexec_b64 s[50:51], vcc
	s_cbranch_execz .LBB6_6817
; %bb.6810:                             ;   in Loop: Header=BB6_5679 Depth=3
	v_bfe_u32 v6, v1, 23, 8
	v_and_b32_e32 v0, 0x7fffff, v1
	v_cmp_gt_u32_e64 s[40:41], s85, v6
	v_sub_u32_e32 v1, 0x79, v6
	v_cmp_eq_u32_e32 vcc, 0, v6
	v_cndmask_b32_e64 v1, 0, v1, s[40:41]
	v_mov_b32_e32 v7, 0x78
	v_or_b32_e32 v2, 0x800000, v0
	v_cndmask_b32_e32 v7, v1, v7, vcc
	v_cndmask_b32_e32 v52, v2, v0, vcc
	v_add_u32_e32 v0, 20, v7
	v_lshlrev_b64 v[0:1], v0, -1
	v_add_u32_e32 v2, 19, v7
	v_lshlrev_b64 v[36:37], v2, 1
	v_bfi_b32 v1, v1, 0, 0
	v_bfi_b32 v0, v0, 0, v52
	v_cmp_eq_u64_e64 s[40:41], v[0:1], v[36:37]
	v_lshrrev_b64 v[0:1], v7, v[52:53]
	v_mov_b32_e32 v2, v1
	v_mov_b32_e32 v1, v0
	s_and_saveexec_b64 s[52:53], s[40:41]
; %bb.6811:                             ;   in Loop: Header=BB6_5679 Depth=3
	v_bfe_u32 v1, v0, 20, 1
	v_add_co_u32_e64 v1, s[40:41], v0, v1
	v_add_co_u32_e64 v1, s[40:41], -1, v1
; %bb.6812:                             ;   in Loop: Header=BB6_5679 Depth=3
	s_or_b64 exec, exec, s[52:53]
	v_add_u32_e32 v2, 0xffffff81, v6
	v_mov_b32_e32 v6, 0xffffff82
	v_cndmask_b32_e32 v2, v2, v6, vcc
	v_lshrrev_b32_e32 v6, 23, v0
	v_add3_u32 v7, v7, v2, v6
	v_add_u32_e32 v6, 6, v7
	v_and_b32_e32 v1, 0xfffff, v1
	v_add_u32_e32 v52, v1, v0
	v_cmp_ne_u32_e32 vcc, 0, v6
                                        ; implicit-def: $vgpr0_vgpr1
                                        ; implicit-def: $vgpr2
	s_and_saveexec_b64 s[40:41], vcc
	s_xor_b64 s[40:41], exec, s[40:41]
; %bb.6813:                             ;   in Loop: Header=BB6_5679 Depth=3
	v_cmp_lt_u64_e32 vcc, s[88:89], v[52:53]
	v_add_u32_e32 v0, 7, v7
	v_cndmask_b32_e32 v2, v6, v0, vcc
	v_cndmask_b32_e64 v0, 0, 1, vcc
	v_lshrrev_b64 v[0:1], v0, v[52:53]
; %bb.6814:                             ;   in Loop: Header=BB6_5679 Depth=3
	s_andn2_saveexec_b64 s[40:41], s[40:41]
; %bb.6815:                             ;   in Loop: Header=BB6_5679 Depth=3
	v_mov_b32_e32 v0, v52
	v_bfe_u32 v2, v52, 23, 1
	v_mov_b32_e32 v1, v53
; %bb.6816:                             ;   in Loop: Header=BB6_5679 Depth=3
	s_or_b64 exec, exec, s[40:41]
	v_lshrrev_b64 v[0:1], 20, v[0:1]
	v_cmp_gt_i32_e32 vcc, 16, v2
	v_cndmask_b32_e32 v1, 0, v1, vcc
	v_cndmask_b32_e32 v0, 7, v0, vcc
	v_cmp_eq_u64_e64 s[40:41], 0, v[0:1]
	v_min_i32_e32 v1, 15, v2
	v_lshlrev_b32_e32 v1, 3, v1
	v_cmp_eq_u32_e32 vcc, 0, v2
	v_and_b32_e32 v1, 0xf8, v1
	v_and_or_b32 v0, v0, 7, v1
	s_and_b64 s[40:41], vcc, s[40:41]
	v_cndmask_b32_e64 v0, v0, 0, s[40:41]
	v_or_b32_e32 v32, v0, v3
.LBB6_6817:                             ;   in Loop: Header=BB6_5679 Depth=3
	s_or_b64 exec, exec, s[50:51]
                                        ; implicit-def: $vgpr3
.LBB6_6818:                             ;   in Loop: Header=BB6_5679 Depth=3
	s_andn2_saveexec_b64 s[40:41], s[48:49]
; %bb.6819:                             ;   in Loop: Header=BB6_5679 Depth=3
	v_or_b32_e32 v32, 0x7e, v3
; %bb.6820:                             ;   in Loop: Header=BB6_5679 Depth=3
	s_or_b64 exec, exec, s[40:41]
                                        ; implicit-def: $vgpr1
.LBB6_6821:                             ;   in Loop: Header=BB6_5679 Depth=3
	s_andn2_saveexec_b64 s[40:41], s[38:39]
; %bb.6822:                             ;   in Loop: Header=BB6_5679 Depth=3
	v_or_b32_sdwa v32, v1, s83 dst_sel:DWORD dst_unused:UNUSED_PAD src0_sel:BYTE_3 src1_sel:DWORD
; %bb.6823:                             ;   in Loop: Header=BB6_5679 Depth=3
	s_or_b64 exec, exec, s[40:41]
	v_lshrrev_b32_e32 v2, 16, v34
	v_lshrrev_b32_e32 v0, 16, v26
	v_cmp_ne_u16_sdwa s[40:41], v2, v53 src0_sel:BYTE_0 src1_sel:DWORD
	s_and_b64 vcc, exec, s[28:29]
	s_mov_b64 s[38:39], -1
                                        ; implicit-def: $vgpr1
	s_cbranch_vccnz .LBB6_6837
; %bb.6824:                             ;   in Loop: Header=BB6_5679 Depth=3
	v_mov_b32_e32 v3, 0
	v_mov_b32_e32 v1, 0
	s_and_saveexec_b64 s[38:39], s[40:41]
	s_cbranch_execz .LBB6_6830
; %bb.6825:                             ;   in Loop: Header=BB6_5679 Depth=3
	v_cmp_ne_u16_sdwa vcc, v2, s82 src0_sel:BYTE_0 src1_sel:DWORD
	v_bfrev_b32_e32 v1, 1
	s_and_saveexec_b64 s[48:49], vcc
	s_cbranch_execz .LBB6_6829
; %bb.6826:                             ;   in Loop: Header=BB6_5679 Depth=3
	v_bfe_u32 v6, v34, 16, 7
	v_cmp_ne_u32_e32 vcc, s83, v6
	v_mov_b32_e32 v1, 0x7f800001
	s_and_saveexec_b64 s[50:51], vcc
	s_cbranch_execz .LBB6_6828
; %bb.6827:                             ;   in Loop: Header=BB6_5679 Depth=3
	v_and_b32_e32 v1, 7, v2
	v_lshrrev_b32_e32 v24, 3, v6
	v_cmp_gt_u32_e32 vcc, 8, v6
	v_ffbh_u32_e32 v6, v1
	v_min_u32_e32 v31, 32, v6
	v_subrev_u32_e32 v6, 28, v31
	v_lshlrev_b64 v[6:7], v6, v[2:3]
	v_sub_u32_e32 v7, 29, v31
	v_and_b32_e32 v6, 7, v6
	v_cndmask_b32_e32 v7, v24, v7, vcc
	v_cndmask_b32_e32 v1, v1, v6, vcc
	v_lshlrev_b32_e32 v6, 24, v2
	v_bfrev_b32_e32 v24, 60
	v_lshlrev_b32_e32 v1, 20, v1
	v_and_b32_e32 v6, 0x80000000, v6
	v_lshl_add_u32 v7, v7, 23, v24
	v_or3_b32 v1, v6, v7, v1
.LBB6_6828:                             ;   in Loop: Header=BB6_5679 Depth=3
	s_or_b64 exec, exec, s[50:51]
.LBB6_6829:                             ;   in Loop: Header=BB6_5679 Depth=3
	s_or_b64 exec, exec, s[48:49]
.LBB6_6830:                             ;   in Loop: Header=BB6_5679 Depth=3
	s_or_b64 exec, exec, s[38:39]
	v_cmp_ne_u16_sdwa vcc, v0, v53 src0_sel:BYTE_0 src1_sel:DWORD
	s_and_saveexec_b64 s[38:39], vcc
	s_cbranch_execz .LBB6_6836
; %bb.6831:                             ;   in Loop: Header=BB6_5679 Depth=3
	v_cmp_ne_u16_sdwa vcc, v0, s82 src0_sel:BYTE_0 src1_sel:DWORD
	v_bfrev_b32_e32 v3, 1
	s_and_saveexec_b64 s[48:49], vcc
	s_cbranch_execz .LBB6_6835
; %bb.6832:                             ;   in Loop: Header=BB6_5679 Depth=3
	v_bfe_u32 v6, v26, 16, 7
	v_cmp_ne_u32_e32 vcc, s83, v6
	v_mov_b32_e32 v3, 0x7f800001
	s_and_saveexec_b64 s[50:51], vcc
	s_cbranch_execz .LBB6_6834
; %bb.6833:                             ;   in Loop: Header=BB6_5679 Depth=3
	v_and_b32_e32 v3, 7, v0
	v_lshrrev_b32_e32 v24, 3, v6
	v_cmp_gt_u32_e32 vcc, 8, v6
	v_ffbh_u32_e32 v6, v3
	v_min_u32_e32 v31, 32, v6
	v_subrev_u32_e32 v6, 28, v31
	v_lshlrev_b64 v[6:7], v6, v[0:1]
	v_sub_u32_e32 v7, 29, v31
	v_and_b32_e32 v6, 7, v6
	v_cndmask_b32_e32 v7, v24, v7, vcc
	v_cndmask_b32_e32 v3, v3, v6, vcc
	v_lshlrev_b32_e32 v6, 24, v0
	v_bfrev_b32_e32 v24, 60
	v_lshlrev_b32_e32 v3, 20, v3
	v_and_b32_e32 v6, 0x80000000, v6
	v_lshl_add_u32 v7, v7, 23, v24
	v_or3_b32 v3, v6, v7, v3
.LBB6_6834:                             ;   in Loop: Header=BB6_5679 Depth=3
	s_or_b64 exec, exec, s[50:51]
.LBB6_6835:                             ;   in Loop: Header=BB6_5679 Depth=3
	s_or_b64 exec, exec, s[48:49]
.LBB6_6836:                             ;   in Loop: Header=BB6_5679 Depth=3
	s_or_b64 exec, exec, s[38:39]
	v_max_f32_e32 v3, v3, v3
	v_max_f32_e32 v1, v1, v1
	;; [unrolled: 1-line block ×3, first 2 shown]
	s_mov_b64 s[38:39], 0
.LBB6_6837:                             ;   in Loop: Header=BB6_5679 Depth=3
	s_and_b64 vcc, exec, s[38:39]
	s_cbranch_vccz .LBB6_6851
; %bb.6838:                             ;   in Loop: Header=BB6_5679 Depth=3
	v_mov_b32_e32 v3, 0
	v_mov_b32_e32 v1, 0
	s_and_saveexec_b64 s[38:39], s[40:41]
	s_cbranch_execz .LBB6_6844
; %bb.6839:                             ;   in Loop: Header=BB6_5679 Depth=3
	v_cmp_ne_u16_sdwa vcc, v2, s82 src0_sel:BYTE_0 src1_sel:DWORD
	v_bfrev_b32_e32 v1, 1
	s_and_saveexec_b64 s[40:41], vcc
	s_cbranch_execz .LBB6_6843
; %bb.6840:                             ;   in Loop: Header=BB6_5679 Depth=3
	v_bfe_u32 v6, v34, 16, 7
	v_cmp_ne_u32_e32 vcc, s83, v6
	v_mov_b32_e32 v1, 0x7f800001
	s_and_saveexec_b64 s[48:49], vcc
	s_cbranch_execz .LBB6_6842
; %bb.6841:                             ;   in Loop: Header=BB6_5679 Depth=3
	v_and_b32_e32 v1, 7, v2
	v_lshrrev_b32_e32 v24, 3, v6
	v_cmp_gt_u32_e32 vcc, 8, v6
	v_ffbh_u32_e32 v6, v1
	v_min_u32_e32 v31, 32, v6
	v_subrev_u32_e32 v6, 28, v31
	v_lshlrev_b64 v[6:7], v6, v[2:3]
	v_sub_u32_e32 v7, 29, v31
	v_and_b32_e32 v6, 7, v6
	v_cndmask_b32_e32 v7, v24, v7, vcc
	v_cndmask_b32_e32 v1, v1, v6, vcc
	v_lshlrev_b32_e32 v2, 24, v2
	v_bfrev_b32_e32 v6, 60
	v_lshlrev_b32_e32 v1, 20, v1
	v_and_b32_e32 v2, 0x80000000, v2
	v_lshl_add_u32 v6, v7, 23, v6
	v_or3_b32 v1, v2, v6, v1
.LBB6_6842:                             ;   in Loop: Header=BB6_5679 Depth=3
	s_or_b64 exec, exec, s[48:49]
.LBB6_6843:                             ;   in Loop: Header=BB6_5679 Depth=3
	s_or_b64 exec, exec, s[40:41]
.LBB6_6844:                             ;   in Loop: Header=BB6_5679 Depth=3
	s_or_b64 exec, exec, s[38:39]
	v_cmp_ne_u16_sdwa vcc, v0, v53 src0_sel:BYTE_0 src1_sel:DWORD
	s_and_saveexec_b64 s[40:41], vcc
	s_cbranch_execz .LBB6_6850
; %bb.6845:                             ;   in Loop: Header=BB6_5679 Depth=3
	v_cmp_ne_u16_sdwa vcc, v0, s82 src0_sel:BYTE_0 src1_sel:DWORD
	v_bfrev_b32_e32 v3, 1
	s_and_saveexec_b64 s[38:39], vcc
	s_cbranch_execz .LBB6_6849
; %bb.6846:                             ;   in Loop: Header=BB6_5679 Depth=3
	v_bfe_u32 v2, v26, 16, 7
	v_cmp_ne_u32_e32 vcc, s83, v2
	v_mov_b32_e32 v3, 0x7f800001
	s_and_saveexec_b64 s[48:49], vcc
	s_cbranch_execz .LBB6_6848
; %bb.6847:                             ;   in Loop: Header=BB6_5679 Depth=3
	v_and_b32_e32 v6, 7, v0
	v_lshrrev_b32_e32 v7, 3, v2
	v_cmp_gt_u32_e32 vcc, 8, v2
	v_ffbh_u32_e32 v2, v6
	v_min_u32_e32 v24, 32, v2
	v_subrev_u32_e32 v2, 28, v24
	v_lshlrev_b64 v[2:3], v2, v[0:1]
	v_sub_u32_e32 v3, 29, v24
	v_and_b32_e32 v2, 7, v2
	v_cndmask_b32_e32 v3, v7, v3, vcc
	v_cndmask_b32_e32 v2, v6, v2, vcc
	v_lshlrev_b32_e32 v0, 24, v0
	v_bfrev_b32_e32 v6, 60
	v_lshlrev_b32_e32 v2, 20, v2
	v_and_b32_e32 v0, 0x80000000, v0
	v_lshl_add_u32 v3, v3, 23, v6
	v_or3_b32 v3, v0, v3, v2
.LBB6_6848:                             ;   in Loop: Header=BB6_5679 Depth=3
	s_or_b64 exec, exec, s[48:49]
.LBB6_6849:                             ;   in Loop: Header=BB6_5679 Depth=3
	s_or_b64 exec, exec, s[38:39]
.LBB6_6850:                             ;   in Loop: Header=BB6_5679 Depth=3
	s_or_b64 exec, exec, s[40:41]
	v_max_f32_e32 v0, v3, v3
	v_max_f32_e32 v1, v1, v1
	v_min_f32_e32 v1, v1, v0
.LBB6_6851:                             ;   in Loop: Header=BB6_5679 Depth=3
	v_and_b32_e32 v52, 0x7f800000, v1
	v_cmp_ne_u64_e32 vcc, s[76:77], v[52:53]
	buffer_store_dword v32, off, s[0:3], s33 offset:164 ; 4-byte Folded Spill
                                        ; implicit-def: $vgpr32
	s_and_saveexec_b64 s[40:41], vcc
	s_xor_b64 s[38:39], exec, s[40:41]
	s_cbranch_execz .LBB6_6865
; %bb.6852:                             ;   in Loop: Header=BB6_5679 Depth=3
	v_and_b32_e32 v52, 0x7fffffff, v1
	v_cmp_gt_u64_e32 vcc, s[78:79], v[52:53]
	v_and_b32_sdwa v3, v1, s82 dst_sel:DWORD dst_unused:UNUSED_PAD src0_sel:BYTE_3 src1_sel:DWORD
                                        ; implicit-def: $vgpr32
	s_and_saveexec_b64 s[40:41], vcc
	s_xor_b64 s[48:49], exec, s[40:41]
	s_cbranch_execz .LBB6_6862
; %bb.6853:                             ;   in Loop: Header=BB6_5679 Depth=3
	v_mov_b32_e32 v32, 0
	v_cmp_ne_u32_e32 vcc, 0, v1
	s_and_saveexec_b64 s[50:51], vcc
	s_cbranch_execz .LBB6_6861
; %bb.6854:                             ;   in Loop: Header=BB6_5679 Depth=3
	v_bfe_u32 v6, v1, 23, 8
	v_and_b32_e32 v0, 0x7fffff, v1
	v_cmp_gt_u32_e64 s[40:41], s85, v6
	v_sub_u32_e32 v1, 0x79, v6
	v_cmp_eq_u32_e32 vcc, 0, v6
	v_cndmask_b32_e64 v1, 0, v1, s[40:41]
	v_mov_b32_e32 v7, 0x78
	v_or_b32_e32 v2, 0x800000, v0
	v_cndmask_b32_e32 v7, v1, v7, vcc
	v_cndmask_b32_e32 v52, v2, v0, vcc
	v_add_u32_e32 v0, 20, v7
	v_lshlrev_b64 v[0:1], v0, -1
	v_add_u32_e32 v2, 19, v7
	v_lshlrev_b64 v[36:37], v2, 1
	v_bfi_b32 v1, v1, 0, 0
	v_bfi_b32 v0, v0, 0, v52
	v_cmp_eq_u64_e64 s[40:41], v[0:1], v[36:37]
	v_lshrrev_b64 v[0:1], v7, v[52:53]
	v_mov_b32_e32 v2, v1
	v_mov_b32_e32 v1, v0
	s_and_saveexec_b64 s[52:53], s[40:41]
; %bb.6855:                             ;   in Loop: Header=BB6_5679 Depth=3
	v_bfe_u32 v1, v0, 20, 1
	v_add_co_u32_e64 v1, s[40:41], v0, v1
	v_add_co_u32_e64 v1, s[40:41], -1, v1
; %bb.6856:                             ;   in Loop: Header=BB6_5679 Depth=3
	s_or_b64 exec, exec, s[52:53]
	v_add_u32_e32 v2, 0xffffff81, v6
	v_mov_b32_e32 v6, 0xffffff82
	v_cndmask_b32_e32 v2, v2, v6, vcc
	v_lshrrev_b32_e32 v6, 23, v0
	v_add3_u32 v7, v7, v2, v6
	v_add_u32_e32 v6, 6, v7
	v_and_b32_e32 v1, 0xfffff, v1
	v_add_u32_e32 v52, v1, v0
	v_cmp_ne_u32_e32 vcc, 0, v6
                                        ; implicit-def: $vgpr0_vgpr1
                                        ; implicit-def: $vgpr2
	s_and_saveexec_b64 s[40:41], vcc
	s_xor_b64 s[40:41], exec, s[40:41]
; %bb.6857:                             ;   in Loop: Header=BB6_5679 Depth=3
	v_cmp_lt_u64_e32 vcc, s[88:89], v[52:53]
	v_add_u32_e32 v0, 7, v7
	v_cndmask_b32_e32 v2, v6, v0, vcc
	v_cndmask_b32_e64 v0, 0, 1, vcc
	v_lshrrev_b64 v[0:1], v0, v[52:53]
; %bb.6858:                             ;   in Loop: Header=BB6_5679 Depth=3
	s_andn2_saveexec_b64 s[40:41], s[40:41]
; %bb.6859:                             ;   in Loop: Header=BB6_5679 Depth=3
	v_mov_b32_e32 v0, v52
	v_bfe_u32 v2, v52, 23, 1
	v_mov_b32_e32 v1, v53
; %bb.6860:                             ;   in Loop: Header=BB6_5679 Depth=3
	s_or_b64 exec, exec, s[40:41]
	v_lshrrev_b64 v[0:1], 20, v[0:1]
	v_cmp_gt_i32_e32 vcc, 16, v2
	v_cndmask_b32_e32 v1, 0, v1, vcc
	v_cndmask_b32_e32 v0, 7, v0, vcc
	v_cmp_eq_u64_e64 s[40:41], 0, v[0:1]
	v_min_i32_e32 v1, 15, v2
	v_lshlrev_b32_e32 v1, 3, v1
	v_cmp_eq_u32_e32 vcc, 0, v2
	v_and_b32_e32 v1, 0xf8, v1
	v_and_or_b32 v0, v0, 7, v1
	s_and_b64 s[40:41], vcc, s[40:41]
	v_cndmask_b32_e64 v0, v0, 0, s[40:41]
	v_or_b32_e32 v32, v0, v3
.LBB6_6861:                             ;   in Loop: Header=BB6_5679 Depth=3
	s_or_b64 exec, exec, s[50:51]
                                        ; implicit-def: $vgpr3
.LBB6_6862:                             ;   in Loop: Header=BB6_5679 Depth=3
	s_andn2_saveexec_b64 s[40:41], s[48:49]
; %bb.6863:                             ;   in Loop: Header=BB6_5679 Depth=3
	v_or_b32_e32 v32, 0x7e, v3
; %bb.6864:                             ;   in Loop: Header=BB6_5679 Depth=3
	s_or_b64 exec, exec, s[40:41]
                                        ; implicit-def: $vgpr1
.LBB6_6865:                             ;   in Loop: Header=BB6_5679 Depth=3
	s_andn2_saveexec_b64 s[40:41], s[38:39]
; %bb.6866:                             ;   in Loop: Header=BB6_5679 Depth=3
	v_or_b32_sdwa v32, v1, s83 dst_sel:DWORD dst_unused:UNUSED_PAD src0_sel:BYTE_3 src1_sel:DWORD
; %bb.6867:                             ;   in Loop: Header=BB6_5679 Depth=3
	s_or_b64 exec, exec, s[40:41]
	v_lshrrev_b32_e32 v2, 24, v34
	v_lshrrev_b32_e32 v0, 24, v26
	v_cmp_lt_u32_e64 s[40:41], s63, v34
	s_and_b64 vcc, exec, s[28:29]
	s_mov_b64 s[38:39], -1
                                        ; implicit-def: $vgpr1
	s_cbranch_vccnz .LBB6_6881
; %bb.6868:                             ;   in Loop: Header=BB6_5679 Depth=3
	v_mov_b32_e32 v3, 0
	v_mov_b32_e32 v1, 0
	s_and_saveexec_b64 s[38:39], s[40:41]
	s_cbranch_execz .LBB6_6874
; %bb.6869:                             ;   in Loop: Header=BB6_5679 Depth=3
	v_cmp_ne_u32_e32 vcc, s82, v2
	v_bfrev_b32_e32 v1, 1
	s_and_saveexec_b64 s[48:49], vcc
	s_cbranch_execz .LBB6_6873
; %bb.6870:                             ;   in Loop: Header=BB6_5679 Depth=3
	v_bfe_u32 v6, v34, 24, 7
	v_cmp_ne_u32_e32 vcc, s83, v6
	v_mov_b32_e32 v1, 0x7f800001
	s_and_saveexec_b64 s[50:51], vcc
	s_cbranch_execz .LBB6_6872
; %bb.6871:                             ;   in Loop: Header=BB6_5679 Depth=3
	v_and_b32_e32 v1, 7, v2
	v_lshrrev_b32_e32 v24, 3, v6
	v_cmp_gt_u32_e32 vcc, 8, v6
	v_ffbh_u32_e32 v6, v1
	v_min_u32_e32 v31, 32, v6
	v_subrev_u32_e32 v6, 28, v31
	v_lshlrev_b64 v[6:7], v6, v[2:3]
	v_sub_u32_e32 v7, 29, v31
	v_and_b32_e32 v6, 7, v6
	v_cndmask_b32_e32 v7, v24, v7, vcc
	v_cndmask_b32_e32 v1, v1, v6, vcc
	v_lshlrev_b32_e32 v6, 24, v2
	v_bfrev_b32_e32 v24, 60
	v_lshlrev_b32_e32 v1, 20, v1
	v_and_b32_e32 v6, 0x80000000, v6
	v_lshl_add_u32 v7, v7, 23, v24
	v_or3_b32 v1, v6, v7, v1
.LBB6_6872:                             ;   in Loop: Header=BB6_5679 Depth=3
	s_or_b64 exec, exec, s[50:51]
.LBB6_6873:                             ;   in Loop: Header=BB6_5679 Depth=3
	s_or_b64 exec, exec, s[48:49]
.LBB6_6874:                             ;   in Loop: Header=BB6_5679 Depth=3
	s_or_b64 exec, exec, s[38:39]
	v_cmp_lt_u32_e32 vcc, s63, v26
	s_and_saveexec_b64 s[38:39], vcc
	s_cbranch_execz .LBB6_6880
; %bb.6875:                             ;   in Loop: Header=BB6_5679 Depth=3
	v_cmp_ne_u32_e32 vcc, s82, v0
	v_bfrev_b32_e32 v3, 1
	s_and_saveexec_b64 s[48:49], vcc
	s_cbranch_execz .LBB6_6879
; %bb.6876:                             ;   in Loop: Header=BB6_5679 Depth=3
	v_bfe_u32 v6, v26, 24, 7
	v_cmp_ne_u32_e32 vcc, s83, v6
	v_mov_b32_e32 v3, 0x7f800001
	s_and_saveexec_b64 s[50:51], vcc
	s_cbranch_execz .LBB6_6878
; %bb.6877:                             ;   in Loop: Header=BB6_5679 Depth=3
	v_and_b32_e32 v3, 7, v0
	v_lshrrev_b32_e32 v24, 3, v6
	v_cmp_gt_u32_e32 vcc, 8, v6
	v_ffbh_u32_e32 v6, v3
	v_min_u32_e32 v31, 32, v6
	v_subrev_u32_e32 v6, 28, v31
	v_lshlrev_b64 v[6:7], v6, v[0:1]
	v_sub_u32_e32 v7, 29, v31
	v_and_b32_e32 v6, 7, v6
	v_cndmask_b32_e32 v7, v24, v7, vcc
	v_cndmask_b32_e32 v3, v3, v6, vcc
	v_lshlrev_b32_e32 v6, 24, v0
	v_bfrev_b32_e32 v24, 60
	v_lshlrev_b32_e32 v3, 20, v3
	v_and_b32_e32 v6, 0x80000000, v6
	v_lshl_add_u32 v7, v7, 23, v24
	v_or3_b32 v3, v6, v7, v3
.LBB6_6878:                             ;   in Loop: Header=BB6_5679 Depth=3
	s_or_b64 exec, exec, s[50:51]
.LBB6_6879:                             ;   in Loop: Header=BB6_5679 Depth=3
	s_or_b64 exec, exec, s[48:49]
.LBB6_6880:                             ;   in Loop: Header=BB6_5679 Depth=3
	s_or_b64 exec, exec, s[38:39]
	v_max_f32_e32 v3, v3, v3
	v_max_f32_e32 v1, v1, v1
	;; [unrolled: 1-line block ×3, first 2 shown]
	s_mov_b64 s[38:39], 0
.LBB6_6881:                             ;   in Loop: Header=BB6_5679 Depth=3
	s_and_b64 vcc, exec, s[38:39]
	s_cbranch_vccz .LBB6_6895
; %bb.6882:                             ;   in Loop: Header=BB6_5679 Depth=3
	v_mov_b32_e32 v3, 0
	v_mov_b32_e32 v1, 0
	s_and_saveexec_b64 s[38:39], s[40:41]
	s_cbranch_execz .LBB6_6888
; %bb.6883:                             ;   in Loop: Header=BB6_5679 Depth=3
	v_cmp_ne_u32_e32 vcc, s82, v2
	v_bfrev_b32_e32 v1, 1
	s_and_saveexec_b64 s[40:41], vcc
	s_cbranch_execz .LBB6_6887
; %bb.6884:                             ;   in Loop: Header=BB6_5679 Depth=3
	v_bfe_u32 v6, v34, 24, 7
	v_cmp_ne_u32_e32 vcc, s83, v6
	v_mov_b32_e32 v1, 0x7f800001
	s_and_saveexec_b64 s[48:49], vcc
	s_cbranch_execz .LBB6_6886
; %bb.6885:                             ;   in Loop: Header=BB6_5679 Depth=3
	v_and_b32_e32 v1, 7, v2
	v_lshrrev_b32_e32 v24, 3, v6
	v_cmp_gt_u32_e32 vcc, 8, v6
	v_ffbh_u32_e32 v6, v1
	v_min_u32_e32 v31, 32, v6
	v_subrev_u32_e32 v6, 28, v31
	v_lshlrev_b64 v[6:7], v6, v[2:3]
	v_sub_u32_e32 v7, 29, v31
	v_and_b32_e32 v6, 7, v6
	v_cndmask_b32_e32 v7, v24, v7, vcc
	v_cndmask_b32_e32 v1, v1, v6, vcc
	v_lshlrev_b32_e32 v2, 24, v2
	v_bfrev_b32_e32 v6, 60
	v_lshlrev_b32_e32 v1, 20, v1
	v_and_b32_e32 v2, 0x80000000, v2
	v_lshl_add_u32 v6, v7, 23, v6
	v_or3_b32 v1, v2, v6, v1
.LBB6_6886:                             ;   in Loop: Header=BB6_5679 Depth=3
	s_or_b64 exec, exec, s[48:49]
.LBB6_6887:                             ;   in Loop: Header=BB6_5679 Depth=3
	s_or_b64 exec, exec, s[40:41]
.LBB6_6888:                             ;   in Loop: Header=BB6_5679 Depth=3
	s_or_b64 exec, exec, s[38:39]
	v_cmp_lt_u32_e32 vcc, s63, v26
	s_and_saveexec_b64 s[40:41], vcc
	s_cbranch_execz .LBB6_6894
; %bb.6889:                             ;   in Loop: Header=BB6_5679 Depth=3
	v_cmp_ne_u32_e32 vcc, s82, v0
	v_bfrev_b32_e32 v3, 1
	s_and_saveexec_b64 s[38:39], vcc
	s_cbranch_execz .LBB6_6893
; %bb.6890:                             ;   in Loop: Header=BB6_5679 Depth=3
	v_bfe_u32 v2, v26, 24, 7
	v_cmp_ne_u32_e32 vcc, s83, v2
	v_mov_b32_e32 v3, 0x7f800001
	s_and_saveexec_b64 s[48:49], vcc
	s_cbranch_execz .LBB6_6892
; %bb.6891:                             ;   in Loop: Header=BB6_5679 Depth=3
	v_and_b32_e32 v6, 7, v0
	v_lshrrev_b32_e32 v7, 3, v2
	v_cmp_gt_u32_e32 vcc, 8, v2
	v_ffbh_u32_e32 v2, v6
	v_min_u32_e32 v24, 32, v2
	v_subrev_u32_e32 v2, 28, v24
	v_lshlrev_b64 v[2:3], v2, v[0:1]
	v_sub_u32_e32 v3, 29, v24
	v_and_b32_e32 v2, 7, v2
	v_cndmask_b32_e32 v3, v7, v3, vcc
	v_cndmask_b32_e32 v2, v6, v2, vcc
	v_lshlrev_b32_e32 v0, 24, v0
	v_bfrev_b32_e32 v6, 60
	v_lshlrev_b32_e32 v2, 20, v2
	v_and_b32_e32 v0, 0x80000000, v0
	v_lshl_add_u32 v3, v3, 23, v6
	v_or3_b32 v3, v0, v3, v2
.LBB6_6892:                             ;   in Loop: Header=BB6_5679 Depth=3
	s_or_b64 exec, exec, s[48:49]
.LBB6_6893:                             ;   in Loop: Header=BB6_5679 Depth=3
	s_or_b64 exec, exec, s[38:39]
.LBB6_6894:                             ;   in Loop: Header=BB6_5679 Depth=3
	s_or_b64 exec, exec, s[40:41]
	v_max_f32_e32 v0, v3, v3
	v_max_f32_e32 v1, v1, v1
	v_min_f32_e32 v1, v1, v0
.LBB6_6895:                             ;   in Loop: Header=BB6_5679 Depth=3
	v_and_b32_e32 v52, 0x7f800000, v1
	v_cmp_ne_u64_e32 vcc, s[76:77], v[52:53]
	buffer_store_dword v32, off, s[0:3], s33 offset:168 ; 4-byte Folded Spill
                                        ; implicit-def: $vgpr57
	s_and_saveexec_b64 s[40:41], vcc
	s_xor_b64 s[38:39], exec, s[40:41]
	s_cbranch_execz .LBB6_6909
; %bb.6896:                             ;   in Loop: Header=BB6_5679 Depth=3
	v_and_b32_e32 v52, 0x7fffffff, v1
	v_cmp_gt_u64_e32 vcc, s[78:79], v[52:53]
	v_and_b32_sdwa v3, v1, s82 dst_sel:DWORD dst_unused:UNUSED_PAD src0_sel:BYTE_3 src1_sel:DWORD
                                        ; implicit-def: $vgpr57
	s_and_saveexec_b64 s[40:41], vcc
	s_xor_b64 s[48:49], exec, s[40:41]
	s_cbranch_execz .LBB6_6906
; %bb.6897:                             ;   in Loop: Header=BB6_5679 Depth=3
	v_mov_b32_e32 v57, 0
	v_cmp_ne_u32_e32 vcc, 0, v1
	s_and_saveexec_b64 s[50:51], vcc
	s_cbranch_execz .LBB6_6905
; %bb.6898:                             ;   in Loop: Header=BB6_5679 Depth=3
	v_bfe_u32 v6, v1, 23, 8
	v_and_b32_e32 v0, 0x7fffff, v1
	v_cmp_gt_u32_e64 s[40:41], s85, v6
	v_sub_u32_e32 v1, 0x79, v6
	v_cmp_eq_u32_e32 vcc, 0, v6
	v_cndmask_b32_e64 v1, 0, v1, s[40:41]
	v_mov_b32_e32 v7, 0x78
	v_or_b32_e32 v2, 0x800000, v0
	v_cndmask_b32_e32 v7, v1, v7, vcc
	v_cndmask_b32_e32 v52, v2, v0, vcc
	v_add_u32_e32 v0, 20, v7
	v_lshlrev_b64 v[0:1], v0, -1
	v_add_u32_e32 v2, 19, v7
	v_lshlrev_b64 v[36:37], v2, 1
	v_bfi_b32 v1, v1, 0, 0
	v_bfi_b32 v0, v0, 0, v52
	v_cmp_eq_u64_e64 s[40:41], v[0:1], v[36:37]
	v_lshrrev_b64 v[0:1], v7, v[52:53]
	v_mov_b32_e32 v2, v1
	v_mov_b32_e32 v1, v0
	s_and_saveexec_b64 s[52:53], s[40:41]
; %bb.6899:                             ;   in Loop: Header=BB6_5679 Depth=3
	v_bfe_u32 v1, v0, 20, 1
	v_add_co_u32_e64 v1, s[40:41], v0, v1
	v_add_co_u32_e64 v1, s[40:41], -1, v1
; %bb.6900:                             ;   in Loop: Header=BB6_5679 Depth=3
	s_or_b64 exec, exec, s[52:53]
	v_add_u32_e32 v2, 0xffffff81, v6
	v_mov_b32_e32 v6, 0xffffff82
	v_cndmask_b32_e32 v2, v2, v6, vcc
	v_lshrrev_b32_e32 v6, 23, v0
	v_add3_u32 v7, v7, v2, v6
	v_add_u32_e32 v6, 6, v7
	v_and_b32_e32 v1, 0xfffff, v1
	v_add_u32_e32 v52, v1, v0
	v_cmp_ne_u32_e32 vcc, 0, v6
                                        ; implicit-def: $vgpr0_vgpr1
                                        ; implicit-def: $vgpr2
	s_and_saveexec_b64 s[40:41], vcc
	s_xor_b64 s[40:41], exec, s[40:41]
; %bb.6901:                             ;   in Loop: Header=BB6_5679 Depth=3
	v_cmp_lt_u64_e32 vcc, s[88:89], v[52:53]
	v_add_u32_e32 v0, 7, v7
	v_cndmask_b32_e32 v2, v6, v0, vcc
	v_cndmask_b32_e64 v0, 0, 1, vcc
	v_lshrrev_b64 v[0:1], v0, v[52:53]
; %bb.6902:                             ;   in Loop: Header=BB6_5679 Depth=3
	s_andn2_saveexec_b64 s[40:41], s[40:41]
; %bb.6903:                             ;   in Loop: Header=BB6_5679 Depth=3
	v_mov_b32_e32 v0, v52
	v_bfe_u32 v2, v52, 23, 1
	v_mov_b32_e32 v1, v53
; %bb.6904:                             ;   in Loop: Header=BB6_5679 Depth=3
	s_or_b64 exec, exec, s[40:41]
	v_lshrrev_b64 v[0:1], 20, v[0:1]
	v_cmp_gt_i32_e32 vcc, 16, v2
	v_cndmask_b32_e32 v1, 0, v1, vcc
	v_cndmask_b32_e32 v0, 7, v0, vcc
	v_cmp_eq_u64_e64 s[40:41], 0, v[0:1]
	v_min_i32_e32 v1, 15, v2
	v_lshlrev_b32_e32 v1, 3, v1
	v_cmp_eq_u32_e32 vcc, 0, v2
	v_and_b32_e32 v1, 0xf8, v1
	v_and_or_b32 v0, v0, 7, v1
	s_and_b64 s[40:41], vcc, s[40:41]
	v_cndmask_b32_e64 v0, v0, 0, s[40:41]
	v_or_b32_e32 v57, v0, v3
.LBB6_6905:                             ;   in Loop: Header=BB6_5679 Depth=3
	s_or_b64 exec, exec, s[50:51]
                                        ; implicit-def: $vgpr3
.LBB6_6906:                             ;   in Loop: Header=BB6_5679 Depth=3
	s_andn2_saveexec_b64 s[40:41], s[48:49]
; %bb.6907:                             ;   in Loop: Header=BB6_5679 Depth=3
	v_or_b32_e32 v57, 0x7e, v3
; %bb.6908:                             ;   in Loop: Header=BB6_5679 Depth=3
	s_or_b64 exec, exec, s[40:41]
                                        ; implicit-def: $vgpr1
.LBB6_6909:                             ;   in Loop: Header=BB6_5679 Depth=3
	s_andn2_saveexec_b64 s[40:41], s[38:39]
; %bb.6910:                             ;   in Loop: Header=BB6_5679 Depth=3
	v_or_b32_sdwa v57, v1, s83 dst_sel:DWORD dst_unused:UNUSED_PAD src0_sel:BYTE_3 src1_sel:DWORD
; %bb.6911:                             ;   in Loop: Header=BB6_5679 Depth=3
	s_or_b64 exec, exec, s[40:41]
	v_mov_b32_e32 v52, v35
	v_mov_b32_e32 v2, v27
	;; [unrolled: 1-line block ×3, first 2 shown]
	v_cmp_ne_u16_sdwa s[40:41], v35, v53 src0_sel:BYTE_0 src1_sel:DWORD
	s_and_b64 vcc, exec, s[28:29]
	s_mov_b64 s[38:39], -1
                                        ; implicit-def: $vgpr0
	s_cbranch_vccnz .LBB6_6925
; %bb.6912:                             ;   in Loop: Header=BB6_5679 Depth=3
	v_mov_b32_e32 v1, 0
	v_mov_b32_e32 v0, 0
	s_and_saveexec_b64 s[38:39], s[40:41]
	s_cbranch_execz .LBB6_6918
; %bb.6913:                             ;   in Loop: Header=BB6_5679 Depth=3
	v_cmp_ne_u16_sdwa vcc, v35, s82 src0_sel:BYTE_0 src1_sel:DWORD
	v_bfrev_b32_e32 v0, 1
	s_and_saveexec_b64 s[48:49], vcc
	s_cbranch_execz .LBB6_6917
; %bb.6914:                             ;   in Loop: Header=BB6_5679 Depth=3
	v_and_b32_e32 v6, 0x7f, v35
	v_cmp_ne_u32_e32 vcc, s83, v6
	v_mov_b32_e32 v0, 0x7f800001
	s_and_saveexec_b64 s[50:51], vcc
	s_cbranch_execz .LBB6_6916
; %bb.6915:                             ;   in Loop: Header=BB6_5679 Depth=3
	v_and_b32_e32 v0, 7, v35
	v_ffbh_u32_e32 v0, v0
	v_min_u32_e32 v0, 32, v0
	v_lshrrev_b32_e32 v7, 3, v6
	v_cmp_gt_u32_e32 vcc, 8, v6
	v_subrev_u32_e32 v6, 28, v0
	v_sub_u32_e32 v0, 29, v0
	v_cndmask_b32_e32 v6, 0, v6, vcc
	v_cndmask_b32_e32 v0, v7, v0, vcc
	v_lshlrev_b64 v[6:7], v6, v[52:53]
	v_lshlrev_b32_e32 v7, 24, v52
	v_lshlrev_b32_e32 v6, 20, v6
	v_bfrev_b32_e32 v24, 60
	v_and_b32_e32 v6, 0x700000, v6
	v_and_b32_e32 v7, 0x80000000, v7
	v_lshl_add_u32 v0, v0, 23, v24
	v_or3_b32 v0, v7, v0, v6
.LBB6_6916:                             ;   in Loop: Header=BB6_5679 Depth=3
	s_or_b64 exec, exec, s[50:51]
.LBB6_6917:                             ;   in Loop: Header=BB6_5679 Depth=3
	s_or_b64 exec, exec, s[48:49]
.LBB6_6918:                             ;   in Loop: Header=BB6_5679 Depth=3
	s_or_b64 exec, exec, s[38:39]
	v_cmp_ne_u16_sdwa vcc, v27, v53 src0_sel:BYTE_0 src1_sel:DWORD
	s_and_saveexec_b64 s[38:39], vcc
	s_cbranch_execz .LBB6_6924
; %bb.6919:                             ;   in Loop: Header=BB6_5679 Depth=3
	v_cmp_ne_u16_sdwa vcc, v27, s82 src0_sel:BYTE_0 src1_sel:DWORD
	v_bfrev_b32_e32 v1, 1
	s_and_saveexec_b64 s[48:49], vcc
	s_cbranch_execz .LBB6_6923
; %bb.6920:                             ;   in Loop: Header=BB6_5679 Depth=3
	v_and_b32_e32 v6, 0x7f, v27
	v_cmp_ne_u32_e32 vcc, s83, v6
	v_mov_b32_e32 v1, 0x7f800001
	s_and_saveexec_b64 s[50:51], vcc
	s_cbranch_execz .LBB6_6922
; %bb.6921:                             ;   in Loop: Header=BB6_5679 Depth=3
	v_and_b32_e32 v1, 7, v27
	v_ffbh_u32_e32 v1, v1
	v_min_u32_e32 v1, 32, v1
	v_lshrrev_b32_e32 v7, 3, v6
	v_cmp_gt_u32_e32 vcc, 8, v6
	v_subrev_u32_e32 v6, 28, v1
	v_sub_u32_e32 v1, 29, v1
	v_cndmask_b32_e32 v6, 0, v6, vcc
	v_cndmask_b32_e32 v1, v7, v1, vcc
	v_lshlrev_b64 v[6:7], v6, v[2:3]
	v_lshlrev_b32_e32 v7, 24, v2
	v_lshlrev_b32_e32 v6, 20, v6
	v_bfrev_b32_e32 v24, 60
	v_and_b32_e32 v6, 0x700000, v6
	v_and_b32_e32 v7, 0x80000000, v7
	v_lshl_add_u32 v1, v1, 23, v24
	v_or3_b32 v1, v7, v1, v6
.LBB6_6922:                             ;   in Loop: Header=BB6_5679 Depth=3
	s_or_b64 exec, exec, s[50:51]
.LBB6_6923:                             ;   in Loop: Header=BB6_5679 Depth=3
	s_or_b64 exec, exec, s[48:49]
.LBB6_6924:                             ;   in Loop: Header=BB6_5679 Depth=3
	s_or_b64 exec, exec, s[38:39]
	v_max_f32_e32 v1, v1, v1
	v_max_f32_e32 v0, v0, v0
	;; [unrolled: 1-line block ×3, first 2 shown]
	s_mov_b64 s[38:39], 0
.LBB6_6925:                             ;   in Loop: Header=BB6_5679 Depth=3
	s_and_b64 vcc, exec, s[38:39]
	s_cbranch_vccz .LBB6_6939
; %bb.6926:                             ;   in Loop: Header=BB6_5679 Depth=3
	v_mov_b32_e32 v1, 0
	v_mov_b32_e32 v0, 0
	s_and_saveexec_b64 s[38:39], s[40:41]
	s_cbranch_execz .LBB6_6932
; %bb.6927:                             ;   in Loop: Header=BB6_5679 Depth=3
	v_cmp_ne_u16_sdwa vcc, v35, s82 src0_sel:BYTE_0 src1_sel:DWORD
	v_bfrev_b32_e32 v0, 1
	s_and_saveexec_b64 s[40:41], vcc
	s_cbranch_execz .LBB6_6931
; %bb.6928:                             ;   in Loop: Header=BB6_5679 Depth=3
	v_and_b32_e32 v6, 0x7f, v35
	v_cmp_ne_u32_e32 vcc, s83, v6
	v_mov_b32_e32 v0, 0x7f800001
	s_and_saveexec_b64 s[48:49], vcc
	s_cbranch_execz .LBB6_6930
; %bb.6929:                             ;   in Loop: Header=BB6_5679 Depth=3
	v_and_b32_e32 v0, 7, v35
	v_ffbh_u32_e32 v0, v0
	v_min_u32_e32 v0, 32, v0
	v_lshrrev_b32_e32 v7, 3, v6
	v_cmp_gt_u32_e32 vcc, 8, v6
	v_subrev_u32_e32 v6, 28, v0
	v_sub_u32_e32 v0, 29, v0
	v_cndmask_b32_e32 v6, 0, v6, vcc
	v_cndmask_b32_e32 v0, v7, v0, vcc
	v_lshlrev_b64 v[6:7], v6, v[52:53]
	v_lshlrev_b32_e32 v7, 24, v52
	v_lshlrev_b32_e32 v6, 20, v6
	v_bfrev_b32_e32 v24, 60
	v_and_b32_e32 v6, 0x700000, v6
	v_and_b32_e32 v7, 0x80000000, v7
	v_lshl_add_u32 v0, v0, 23, v24
	v_or3_b32 v0, v7, v0, v6
.LBB6_6930:                             ;   in Loop: Header=BB6_5679 Depth=3
	s_or_b64 exec, exec, s[48:49]
.LBB6_6931:                             ;   in Loop: Header=BB6_5679 Depth=3
	s_or_b64 exec, exec, s[40:41]
.LBB6_6932:                             ;   in Loop: Header=BB6_5679 Depth=3
	s_or_b64 exec, exec, s[38:39]
	v_cmp_ne_u16_sdwa vcc, v27, v53 src0_sel:BYTE_0 src1_sel:DWORD
	s_and_saveexec_b64 s[40:41], vcc
	s_cbranch_execz .LBB6_6938
; %bb.6933:                             ;   in Loop: Header=BB6_5679 Depth=3
	v_cmp_ne_u16_sdwa vcc, v27, s82 src0_sel:BYTE_0 src1_sel:DWORD
	v_bfrev_b32_e32 v1, 1
	s_and_saveexec_b64 s[38:39], vcc
	s_cbranch_execz .LBB6_6937
; %bb.6934:                             ;   in Loop: Header=BB6_5679 Depth=3
	v_and_b32_e32 v6, 0x7f, v27
	v_cmp_ne_u32_e32 vcc, s83, v6
	v_mov_b32_e32 v1, 0x7f800001
	s_and_saveexec_b64 s[48:49], vcc
	s_cbranch_execz .LBB6_6936
; %bb.6935:                             ;   in Loop: Header=BB6_5679 Depth=3
	v_and_b32_e32 v1, 7, v27
	v_ffbh_u32_e32 v1, v1
	v_min_u32_e32 v1, 32, v1
	v_lshrrev_b32_e32 v7, 3, v6
	v_cmp_gt_u32_e32 vcc, 8, v6
	v_subrev_u32_e32 v6, 28, v1
	v_sub_u32_e32 v1, 29, v1
	v_cndmask_b32_e32 v6, 0, v6, vcc
	v_cndmask_b32_e32 v1, v7, v1, vcc
	v_lshlrev_b64 v[6:7], v6, v[2:3]
	v_bfrev_b32_e32 v7, 60
	v_lshlrev_b32_e32 v3, 20, v6
	v_lshlrev_b32_e32 v6, 24, v2
	v_and_b32_e32 v3, 0x700000, v3
	v_and_b32_e32 v6, 0x80000000, v6
	v_lshl_add_u32 v1, v1, 23, v7
	v_or3_b32 v1, v6, v1, v3
.LBB6_6936:                             ;   in Loop: Header=BB6_5679 Depth=3
	s_or_b64 exec, exec, s[48:49]
.LBB6_6937:                             ;   in Loop: Header=BB6_5679 Depth=3
	s_or_b64 exec, exec, s[38:39]
.LBB6_6938:                             ;   in Loop: Header=BB6_5679 Depth=3
	s_or_b64 exec, exec, s[40:41]
	v_max_f32_e32 v1, v1, v1
	v_max_f32_e32 v0, v0, v0
	v_min_f32_e32 v0, v0, v1
.LBB6_6939:                             ;   in Loop: Header=BB6_5679 Depth=3
	v_and_b32_e32 v6, 0x7f800000, v0
	v_mov_b32_e32 v7, v53
	v_cmp_ne_u64_e32 vcc, s[76:77], v[6:7]
                                        ; implicit-def: $vgpr58
	s_and_saveexec_b64 s[40:41], vcc
	s_xor_b64 s[38:39], exec, s[40:41]
	s_cbranch_execz .LBB6_6953
; %bb.6940:                             ;   in Loop: Header=BB6_5679 Depth=3
	v_and_b32_e32 v6, 0x7fffffff, v0
	v_mov_b32_e32 v7, v53
	v_cmp_gt_u64_e32 vcc, s[78:79], v[6:7]
	v_and_b32_sdwa v3, v0, s82 dst_sel:DWORD dst_unused:UNUSED_PAD src0_sel:BYTE_3 src1_sel:DWORD
                                        ; implicit-def: $vgpr58
	s_and_saveexec_b64 s[40:41], vcc
	s_xor_b64 s[48:49], exec, s[40:41]
	s_cbranch_execz .LBB6_6950
; %bb.6941:                             ;   in Loop: Header=BB6_5679 Depth=3
	v_mov_b32_e32 v58, 0
	v_cmp_ne_u32_e32 vcc, 0, v0
	s_and_saveexec_b64 s[50:51], vcc
	s_cbranch_execz .LBB6_6949
; %bb.6942:                             ;   in Loop: Header=BB6_5679 Depth=3
	v_bfe_u32 v24, v0, 23, 8
	v_and_b32_e32 v1, 0x7fffff, v0
	v_cmp_gt_u32_e64 s[40:41], s85, v24
	v_sub_u32_e32 v0, 0x79, v24
	v_cmp_eq_u32_e32 vcc, 0, v24
	v_cndmask_b32_e64 v0, 0, v0, s[40:41]
	v_mov_b32_e32 v7, 0x78
	v_or_b32_e32 v6, 0x800000, v1
	v_cndmask_b32_e32 v36, v0, v7, vcc
	v_cndmask_b32_e32 v0, v6, v1, vcc
	v_add_u32_e32 v6, 20, v36
	v_lshlrev_b64 v[6:7], v6, -1
	v_mov_b32_e32 v1, v53
	v_add_u32_e32 v31, 19, v36
	v_bfi_b32 v6, v6, 0, v0
	v_lshlrev_b64 v[37:38], v31, 1
	v_lshrrev_b64 v[0:1], v36, v[0:1]
	v_bfi_b32 v7, v7, 0, 0
	v_cmp_eq_u64_e64 s[40:41], v[6:7], v[37:38]
	v_mov_b32_e32 v7, v1
	v_mov_b32_e32 v6, v0
	s_and_saveexec_b64 s[52:53], s[40:41]
; %bb.6943:                             ;   in Loop: Header=BB6_5679 Depth=3
	v_bfe_u32 v1, v0, 20, 1
	v_add_co_u32_e64 v1, s[40:41], v0, v1
	v_add_co_u32_e64 v6, s[40:41], -1, v1
; %bb.6944:                             ;   in Loop: Header=BB6_5679 Depth=3
	s_or_b64 exec, exec, s[52:53]
	v_add_u32_e32 v1, 0xffffff81, v24
	v_mov_b32_e32 v7, 0xffffff82
	v_cndmask_b32_e32 v1, v1, v7, vcc
	v_lshrrev_b32_e32 v7, 23, v0
	v_add3_u32 v24, v36, v1, v7
	v_add_u32_e32 v7, 6, v24
	v_and_b32_e32 v1, 0xfffff, v6
	v_add_u32_e32 v0, v1, v0
	v_mov_b32_e32 v1, v53
	v_cmp_ne_u32_e32 vcc, 0, v7
                                        ; implicit-def: $vgpr6
	s_and_saveexec_b64 s[40:41], vcc
	s_xor_b64 s[40:41], exec, s[40:41]
; %bb.6945:                             ;   in Loop: Header=BB6_5679 Depth=3
	v_cmp_lt_u64_e32 vcc, s[88:89], v[0:1]
	v_add_u32_e32 v6, 7, v24
	v_cndmask_b32_e32 v6, v7, v6, vcc
	v_cndmask_b32_e64 v7, 0, 1, vcc
	v_lshrrev_b64 v[0:1], v7, v[0:1]
; %bb.6946:                             ;   in Loop: Header=BB6_5679 Depth=3
	s_andn2_saveexec_b64 s[40:41], s[40:41]
; %bb.6947:                             ;   in Loop: Header=BB6_5679 Depth=3
	v_bfe_u32 v6, v0, 23, 1
; %bb.6948:                             ;   in Loop: Header=BB6_5679 Depth=3
	s_or_b64 exec, exec, s[40:41]
	v_lshrrev_b64 v[0:1], 20, v[0:1]
	v_cmp_gt_i32_e32 vcc, 16, v6
	v_cndmask_b32_e32 v1, 0, v1, vcc
	v_cndmask_b32_e32 v0, 7, v0, vcc
	v_cmp_eq_u64_e64 s[40:41], 0, v[0:1]
	v_min_i32_e32 v1, 15, v6
	v_lshlrev_b32_e32 v1, 3, v1
	v_cmp_eq_u32_e32 vcc, 0, v6
	v_and_b32_e32 v1, 0xf8, v1
	v_and_or_b32 v0, v0, 7, v1
	s_and_b64 s[40:41], vcc, s[40:41]
	v_cndmask_b32_e64 v0, v0, 0, s[40:41]
	v_or_b32_e32 v58, v0, v3
.LBB6_6949:                             ;   in Loop: Header=BB6_5679 Depth=3
	s_or_b64 exec, exec, s[50:51]
                                        ; implicit-def: $vgpr3
.LBB6_6950:                             ;   in Loop: Header=BB6_5679 Depth=3
	s_andn2_saveexec_b64 s[40:41], s[48:49]
; %bb.6951:                             ;   in Loop: Header=BB6_5679 Depth=3
	v_or_b32_e32 v58, 0x7e, v3
; %bb.6952:                             ;   in Loop: Header=BB6_5679 Depth=3
	s_or_b64 exec, exec, s[40:41]
                                        ; implicit-def: $vgpr0
.LBB6_6953:                             ;   in Loop: Header=BB6_5679 Depth=3
	s_andn2_saveexec_b64 s[40:41], s[38:39]
; %bb.6954:                             ;   in Loop: Header=BB6_5679 Depth=3
	v_or_b32_sdwa v58, v0, s83 dst_sel:DWORD dst_unused:UNUSED_PAD src0_sel:BYTE_3 src1_sel:DWORD
; %bb.6955:                             ;   in Loop: Header=BB6_5679 Depth=3
	s_or_b64 exec, exec, s[40:41]
	v_lshrrev_b16_e32 v24, 8, v52
	v_lshrrev_b16_e32 v3, 8, v2
	v_cmp_ne_u16_e64 s[40:41], 0, v24
	s_and_b64 vcc, exec, s[28:29]
	s_mov_b64 s[38:39], -1
                                        ; implicit-def: $vgpr0
	s_cbranch_vccnz .LBB6_6969
; %bb.6956:                             ;   in Loop: Header=BB6_5679 Depth=3
	v_mov_b32_e32 v1, 0
	v_mov_b32_e32 v0, 0
	s_and_saveexec_b64 s[38:39], s[40:41]
	s_cbranch_execz .LBB6_6962
; %bb.6957:                             ;   in Loop: Header=BB6_5679 Depth=3
	v_cmp_ne_u16_e32 vcc, s82, v24
	v_bfrev_b32_e32 v0, 1
	s_and_saveexec_b64 s[48:49], vcc
	s_cbranch_execz .LBB6_6961
; %bb.6958:                             ;   in Loop: Header=BB6_5679 Depth=3
	v_and_b32_e32 v6, 0x7f, v24
	v_cmp_ne_u32_e32 vcc, s83, v6
	v_mov_b32_e32 v0, 0x7f800001
	s_and_saveexec_b64 s[50:51], vcc
	s_cbranch_execz .LBB6_6960
; %bb.6959:                             ;   in Loop: Header=BB6_5679 Depth=3
	v_and_b32_e32 v0, 7, v24
	v_lshrrev_b32_e32 v31, 3, v6
	v_cmp_gt_u32_e32 vcc, 8, v6
	v_ffbh_u32_e32 v6, v0
	v_min_u32_e32 v32, 32, v6
	v_subrev_u32_e32 v6, 28, v32
	v_lshlrev_b64 v[6:7], v6, v[24:25]
	v_sub_u32_e32 v7, 29, v32
	v_and_b32_e32 v6, 7, v6
	v_cndmask_b32_e32 v7, v31, v7, vcc
	v_cndmask_b32_e32 v0, v0, v6, vcc
	v_lshlrev_b32_e32 v6, 16, v52
	v_bfrev_b32_e32 v31, 60
	v_lshlrev_b32_e32 v0, 20, v0
	v_and_b32_e32 v6, 0x80000000, v6
	v_lshl_add_u32 v7, v7, 23, v31
	v_or3_b32 v0, v6, v7, v0
.LBB6_6960:                             ;   in Loop: Header=BB6_5679 Depth=3
	s_or_b64 exec, exec, s[50:51]
.LBB6_6961:                             ;   in Loop: Header=BB6_5679 Depth=3
	s_or_b64 exec, exec, s[48:49]
.LBB6_6962:                             ;   in Loop: Header=BB6_5679 Depth=3
	s_or_b64 exec, exec, s[38:39]
	v_cmp_ne_u16_e32 vcc, 0, v3
	s_and_saveexec_b64 s[38:39], vcc
	s_cbranch_execz .LBB6_6968
; %bb.6963:                             ;   in Loop: Header=BB6_5679 Depth=3
	v_cmp_ne_u16_e32 vcc, s82, v3
	v_bfrev_b32_e32 v1, 1
	s_and_saveexec_b64 s[48:49], vcc
	s_cbranch_execz .LBB6_6967
; %bb.6964:                             ;   in Loop: Header=BB6_5679 Depth=3
	v_and_b32_e32 v6, 0x7f, v3
	v_cmp_ne_u32_e32 vcc, s83, v6
	v_mov_b32_e32 v1, 0x7f800001
	s_and_saveexec_b64 s[50:51], vcc
	s_cbranch_execz .LBB6_6966
; %bb.6965:                             ;   in Loop: Header=BB6_5679 Depth=3
	v_and_b32_e32 v1, 7, v3
	v_lshrrev_b32_e32 v31, 3, v6
	v_cmp_gt_u32_e32 vcc, 8, v6
	v_ffbh_u32_e32 v6, v1
	v_min_u32_e32 v32, 32, v6
	v_subrev_u32_e32 v6, 28, v32
	v_lshlrev_b64 v[6:7], v6, v[3:4]
	v_sub_u32_e32 v7, 29, v32
	v_and_b32_e32 v6, 7, v6
	v_cndmask_b32_e32 v7, v31, v7, vcc
	v_cndmask_b32_e32 v1, v1, v6, vcc
	v_lshlrev_b32_e32 v6, 16, v2
	v_bfrev_b32_e32 v31, 60
	v_lshlrev_b32_e32 v1, 20, v1
	v_and_b32_e32 v6, 0x80000000, v6
	v_lshl_add_u32 v7, v7, 23, v31
	v_or3_b32 v1, v6, v7, v1
.LBB6_6966:                             ;   in Loop: Header=BB6_5679 Depth=3
	s_or_b64 exec, exec, s[50:51]
.LBB6_6967:                             ;   in Loop: Header=BB6_5679 Depth=3
	s_or_b64 exec, exec, s[48:49]
.LBB6_6968:                             ;   in Loop: Header=BB6_5679 Depth=3
	s_or_b64 exec, exec, s[38:39]
	v_max_f32_e32 v1, v1, v1
	v_max_f32_e32 v0, v0, v0
	;; [unrolled: 1-line block ×3, first 2 shown]
	s_mov_b64 s[38:39], 0
.LBB6_6969:                             ;   in Loop: Header=BB6_5679 Depth=3
	s_and_b64 vcc, exec, s[38:39]
	s_cbranch_vccz .LBB6_6983
; %bb.6970:                             ;   in Loop: Header=BB6_5679 Depth=3
	v_mov_b32_e32 v1, 0
	v_mov_b32_e32 v0, 0
	s_and_saveexec_b64 s[38:39], s[40:41]
	s_cbranch_execz .LBB6_6976
; %bb.6971:                             ;   in Loop: Header=BB6_5679 Depth=3
	v_cmp_ne_u16_e32 vcc, s82, v24
	v_bfrev_b32_e32 v0, 1
	s_and_saveexec_b64 s[40:41], vcc
	s_cbranch_execz .LBB6_6975
; %bb.6972:                             ;   in Loop: Header=BB6_5679 Depth=3
	v_and_b32_e32 v6, 0x7f, v24
	v_cmp_ne_u32_e32 vcc, s83, v6
	v_mov_b32_e32 v0, 0x7f800001
	s_and_saveexec_b64 s[48:49], vcc
	s_cbranch_execz .LBB6_6974
; %bb.6973:                             ;   in Loop: Header=BB6_5679 Depth=3
	v_and_b32_e32 v0, 7, v24
	v_lshrrev_b32_e32 v31, 3, v6
	v_cmp_gt_u32_e32 vcc, 8, v6
	v_ffbh_u32_e32 v6, v0
	v_min_u32_e32 v32, 32, v6
	v_subrev_u32_e32 v6, 28, v32
	v_lshlrev_b64 v[6:7], v6, v[24:25]
	v_sub_u32_e32 v7, 29, v32
	v_and_b32_e32 v6, 7, v6
	v_cndmask_b32_e32 v7, v31, v7, vcc
	v_cndmask_b32_e32 v0, v0, v6, vcc
	v_lshlrev_b32_e32 v6, 16, v52
	v_bfrev_b32_e32 v24, 60
	v_lshlrev_b32_e32 v0, 20, v0
	v_and_b32_e32 v6, 0x80000000, v6
	v_lshl_add_u32 v7, v7, 23, v24
	v_or3_b32 v0, v6, v7, v0
.LBB6_6974:                             ;   in Loop: Header=BB6_5679 Depth=3
	s_or_b64 exec, exec, s[48:49]
.LBB6_6975:                             ;   in Loop: Header=BB6_5679 Depth=3
	s_or_b64 exec, exec, s[40:41]
.LBB6_6976:                             ;   in Loop: Header=BB6_5679 Depth=3
	s_or_b64 exec, exec, s[38:39]
	v_cmp_ne_u16_e32 vcc, 0, v3
	s_and_saveexec_b64 s[40:41], vcc
	s_cbranch_execz .LBB6_6982
; %bb.6977:                             ;   in Loop: Header=BB6_5679 Depth=3
	v_cmp_ne_u16_e32 vcc, s82, v3
	v_bfrev_b32_e32 v1, 1
	s_and_saveexec_b64 s[38:39], vcc
	s_cbranch_execz .LBB6_6981
; %bb.6978:                             ;   in Loop: Header=BB6_5679 Depth=3
	v_and_b32_e32 v6, 0x7f, v3
	v_cmp_ne_u32_e32 vcc, s83, v6
	v_mov_b32_e32 v1, 0x7f800001
	s_and_saveexec_b64 s[48:49], vcc
	s_cbranch_execz .LBB6_6980
; %bb.6979:                             ;   in Loop: Header=BB6_5679 Depth=3
	v_and_b32_e32 v1, 7, v3
	v_lshrrev_b32_e32 v24, 3, v6
	v_cmp_gt_u32_e32 vcc, 8, v6
	v_ffbh_u32_e32 v6, v1
	v_min_u32_e32 v31, 32, v6
	v_subrev_u32_e32 v6, 28, v31
	v_lshlrev_b64 v[6:7], v6, v[3:4]
	v_sub_u32_e32 v3, 29, v31
	v_and_b32_e32 v6, 7, v6
	v_cndmask_b32_e32 v3, v24, v3, vcc
	v_cndmask_b32_e32 v1, v1, v6, vcc
	v_lshlrev_b32_e32 v2, 16, v2
	v_bfrev_b32_e32 v6, 60
	v_lshlrev_b32_e32 v1, 20, v1
	v_and_b32_e32 v2, 0x80000000, v2
	v_lshl_add_u32 v3, v3, 23, v6
	v_or3_b32 v1, v2, v3, v1
.LBB6_6980:                             ;   in Loop: Header=BB6_5679 Depth=3
	s_or_b64 exec, exec, s[48:49]
.LBB6_6981:                             ;   in Loop: Header=BB6_5679 Depth=3
	s_or_b64 exec, exec, s[38:39]
.LBB6_6982:                             ;   in Loop: Header=BB6_5679 Depth=3
	s_or_b64 exec, exec, s[40:41]
	v_max_f32_e32 v1, v1, v1
	v_max_f32_e32 v0, v0, v0
	v_min_f32_e32 v0, v0, v1
.LBB6_6983:                             ;   in Loop: Header=BB6_5679 Depth=3
	v_and_b32_e32 v52, 0x7f800000, v0
	v_cmp_ne_u64_e32 vcc, s[76:77], v[52:53]
	buffer_store_dword v42, off, s[0:3], s33 offset:104 ; 4-byte Folded Spill
                                        ; implicit-def: $vgpr32
	s_and_saveexec_b64 s[40:41], vcc
	s_xor_b64 s[38:39], exec, s[40:41]
	s_cbranch_execz .LBB6_6997
; %bb.6984:                             ;   in Loop: Header=BB6_5679 Depth=3
	v_and_b32_e32 v52, 0x7fffffff, v0
	v_cmp_gt_u64_e32 vcc, s[78:79], v[52:53]
	v_and_b32_sdwa v3, v0, s82 dst_sel:DWORD dst_unused:UNUSED_PAD src0_sel:BYTE_3 src1_sel:DWORD
                                        ; implicit-def: $vgpr32
	s_and_saveexec_b64 s[40:41], vcc
	s_xor_b64 s[48:49], exec, s[40:41]
	s_cbranch_execz .LBB6_6994
; %bb.6985:                             ;   in Loop: Header=BB6_5679 Depth=3
	v_mov_b32_e32 v32, 0
	v_cmp_ne_u32_e32 vcc, 0, v0
	s_and_saveexec_b64 s[50:51], vcc
	s_cbranch_execz .LBB6_6993
; %bb.6986:                             ;   in Loop: Header=BB6_5679 Depth=3
	v_bfe_u32 v6, v0, 23, 8
	v_and_b32_e32 v1, 0x7fffff, v0
	v_cmp_gt_u32_e64 s[40:41], s85, v6
	v_sub_u32_e32 v0, 0x79, v6
	v_cmp_eq_u32_e32 vcc, 0, v6
	v_cndmask_b32_e64 v0, 0, v0, s[40:41]
	v_mov_b32_e32 v7, 0x78
	v_cndmask_b32_e32 v7, v0, v7, vcc
	v_or_b32_e32 v2, 0x800000, v1
	v_add_u32_e32 v0, 20, v7
	v_cndmask_b32_e32 v52, v2, v1, vcc
	v_lshlrev_b64 v[0:1], v0, -1
	v_add_u32_e32 v2, 19, v7
	v_lshlrev_b64 v[36:37], v2, 1
	v_bfi_b32 v1, v1, 0, 0
	v_bfi_b32 v0, v0, 0, v52
	v_cmp_eq_u64_e64 s[40:41], v[0:1], v[36:37]
	v_lshrrev_b64 v[0:1], v7, v[52:53]
	v_mov_b32_e32 v2, v1
	v_mov_b32_e32 v1, v0
	s_and_saveexec_b64 s[52:53], s[40:41]
; %bb.6987:                             ;   in Loop: Header=BB6_5679 Depth=3
	v_bfe_u32 v1, v0, 20, 1
	v_add_co_u32_e64 v1, s[40:41], v0, v1
	v_add_co_u32_e64 v1, s[40:41], -1, v1
; %bb.6988:                             ;   in Loop: Header=BB6_5679 Depth=3
	s_or_b64 exec, exec, s[52:53]
	v_add_u32_e32 v2, 0xffffff81, v6
	v_mov_b32_e32 v6, 0xffffff82
	v_cndmask_b32_e32 v2, v2, v6, vcc
	v_lshrrev_b32_e32 v6, 23, v0
	v_add3_u32 v7, v7, v2, v6
	v_add_u32_e32 v6, 6, v7
	v_and_b32_e32 v1, 0xfffff, v1
	v_add_u32_e32 v52, v1, v0
	v_cmp_ne_u32_e32 vcc, 0, v6
                                        ; implicit-def: $vgpr0_vgpr1
                                        ; implicit-def: $vgpr2
	s_and_saveexec_b64 s[40:41], vcc
	s_xor_b64 s[40:41], exec, s[40:41]
; %bb.6989:                             ;   in Loop: Header=BB6_5679 Depth=3
	v_cmp_lt_u64_e32 vcc, s[88:89], v[52:53]
	v_add_u32_e32 v0, 7, v7
	v_cndmask_b32_e32 v2, v6, v0, vcc
	v_cndmask_b32_e64 v0, 0, 1, vcc
	v_lshrrev_b64 v[0:1], v0, v[52:53]
; %bb.6990:                             ;   in Loop: Header=BB6_5679 Depth=3
	s_andn2_saveexec_b64 s[40:41], s[40:41]
; %bb.6991:                             ;   in Loop: Header=BB6_5679 Depth=3
	v_mov_b32_e32 v0, v52
	v_mov_b32_e32 v1, v53
	v_bfe_u32 v2, v52, 23, 1
; %bb.6992:                             ;   in Loop: Header=BB6_5679 Depth=3
	s_or_b64 exec, exec, s[40:41]
	v_lshrrev_b64 v[0:1], 20, v[0:1]
	v_cmp_gt_i32_e32 vcc, 16, v2
	v_cndmask_b32_e32 v1, 0, v1, vcc
	v_cndmask_b32_e32 v0, 7, v0, vcc
	v_cmp_eq_u64_e64 s[40:41], 0, v[0:1]
	v_min_i32_e32 v1, 15, v2
	v_lshlrev_b32_e32 v1, 3, v1
	v_cmp_eq_u32_e32 vcc, 0, v2
	v_and_b32_e32 v1, 0xf8, v1
	v_and_or_b32 v0, v0, 7, v1
	s_and_b64 s[40:41], vcc, s[40:41]
	v_cndmask_b32_e64 v0, v0, 0, s[40:41]
	v_or_b32_e32 v32, v0, v3
.LBB6_6993:                             ;   in Loop: Header=BB6_5679 Depth=3
	s_or_b64 exec, exec, s[50:51]
                                        ; implicit-def: $vgpr3
.LBB6_6994:                             ;   in Loop: Header=BB6_5679 Depth=3
	s_andn2_saveexec_b64 s[40:41], s[48:49]
; %bb.6995:                             ;   in Loop: Header=BB6_5679 Depth=3
	v_or_b32_e32 v32, 0x7e, v3
; %bb.6996:                             ;   in Loop: Header=BB6_5679 Depth=3
	s_or_b64 exec, exec, s[40:41]
                                        ; implicit-def: $vgpr0
.LBB6_6997:                             ;   in Loop: Header=BB6_5679 Depth=3
	s_andn2_saveexec_b64 s[40:41], s[38:39]
; %bb.6998:                             ;   in Loop: Header=BB6_5679 Depth=3
	v_or_b32_sdwa v32, v0, s83 dst_sel:DWORD dst_unused:UNUSED_PAD src0_sel:BYTE_3 src1_sel:DWORD
; %bb.6999:                             ;   in Loop: Header=BB6_5679 Depth=3
	s_or_b64 exec, exec, s[40:41]
	v_lshrrev_b32_e32 v2, 16, v35
	v_lshrrev_b32_e32 v0, 16, v27
	v_cmp_ne_u16_sdwa s[40:41], v2, v53 src0_sel:BYTE_0 src1_sel:DWORD
	s_and_b64 vcc, exec, s[28:29]
	s_mov_b64 s[38:39], -1
                                        ; implicit-def: $vgpr1
	s_cbranch_vccnz .LBB6_7013
; %bb.7000:                             ;   in Loop: Header=BB6_5679 Depth=3
	v_mov_b32_e32 v3, 0
	v_mov_b32_e32 v1, 0
	s_and_saveexec_b64 s[38:39], s[40:41]
	s_cbranch_execz .LBB6_7006
; %bb.7001:                             ;   in Loop: Header=BB6_5679 Depth=3
	v_cmp_ne_u16_sdwa vcc, v2, s82 src0_sel:BYTE_0 src1_sel:DWORD
	v_bfrev_b32_e32 v1, 1
	s_and_saveexec_b64 s[48:49], vcc
	s_cbranch_execz .LBB6_7005
; %bb.7002:                             ;   in Loop: Header=BB6_5679 Depth=3
	v_bfe_u32 v6, v35, 16, 7
	v_cmp_ne_u32_e32 vcc, s83, v6
	v_mov_b32_e32 v1, 0x7f800001
	s_and_saveexec_b64 s[50:51], vcc
	s_cbranch_execz .LBB6_7004
; %bb.7003:                             ;   in Loop: Header=BB6_5679 Depth=3
	v_and_b32_e32 v1, 7, v2
	v_lshrrev_b32_e32 v24, 3, v6
	v_cmp_gt_u32_e32 vcc, 8, v6
	v_ffbh_u32_e32 v6, v1
	v_min_u32_e32 v31, 32, v6
	v_subrev_u32_e32 v6, 28, v31
	v_lshlrev_b64 v[6:7], v6, v[2:3]
	v_sub_u32_e32 v7, 29, v31
	v_and_b32_e32 v6, 7, v6
	v_cndmask_b32_e32 v7, v24, v7, vcc
	v_cndmask_b32_e32 v1, v1, v6, vcc
	v_lshlrev_b32_e32 v6, 24, v2
	v_bfrev_b32_e32 v24, 60
	v_lshlrev_b32_e32 v1, 20, v1
	v_and_b32_e32 v6, 0x80000000, v6
	v_lshl_add_u32 v7, v7, 23, v24
	v_or3_b32 v1, v6, v7, v1
.LBB6_7004:                             ;   in Loop: Header=BB6_5679 Depth=3
	s_or_b64 exec, exec, s[50:51]
.LBB6_7005:                             ;   in Loop: Header=BB6_5679 Depth=3
	s_or_b64 exec, exec, s[48:49]
.LBB6_7006:                             ;   in Loop: Header=BB6_5679 Depth=3
	s_or_b64 exec, exec, s[38:39]
	v_cmp_ne_u16_sdwa vcc, v0, v53 src0_sel:BYTE_0 src1_sel:DWORD
	s_and_saveexec_b64 s[38:39], vcc
	s_cbranch_execz .LBB6_7012
; %bb.7007:                             ;   in Loop: Header=BB6_5679 Depth=3
	v_cmp_ne_u16_sdwa vcc, v0, s82 src0_sel:BYTE_0 src1_sel:DWORD
	v_bfrev_b32_e32 v3, 1
	s_and_saveexec_b64 s[48:49], vcc
	s_cbranch_execz .LBB6_7011
; %bb.7008:                             ;   in Loop: Header=BB6_5679 Depth=3
	v_bfe_u32 v6, v27, 16, 7
	v_cmp_ne_u32_e32 vcc, s83, v6
	v_mov_b32_e32 v3, 0x7f800001
	s_and_saveexec_b64 s[50:51], vcc
	s_cbranch_execz .LBB6_7010
; %bb.7009:                             ;   in Loop: Header=BB6_5679 Depth=3
	v_and_b32_e32 v3, 7, v0
	v_lshrrev_b32_e32 v24, 3, v6
	v_cmp_gt_u32_e32 vcc, 8, v6
	v_ffbh_u32_e32 v6, v3
	v_min_u32_e32 v31, 32, v6
	v_subrev_u32_e32 v6, 28, v31
	v_lshlrev_b64 v[6:7], v6, v[0:1]
	v_sub_u32_e32 v7, 29, v31
	v_and_b32_e32 v6, 7, v6
	v_cndmask_b32_e32 v7, v24, v7, vcc
	v_cndmask_b32_e32 v3, v3, v6, vcc
	v_lshlrev_b32_e32 v6, 24, v0
	v_bfrev_b32_e32 v24, 60
	v_lshlrev_b32_e32 v3, 20, v3
	v_and_b32_e32 v6, 0x80000000, v6
	v_lshl_add_u32 v7, v7, 23, v24
	v_or3_b32 v3, v6, v7, v3
.LBB6_7010:                             ;   in Loop: Header=BB6_5679 Depth=3
	s_or_b64 exec, exec, s[50:51]
.LBB6_7011:                             ;   in Loop: Header=BB6_5679 Depth=3
	s_or_b64 exec, exec, s[48:49]
.LBB6_7012:                             ;   in Loop: Header=BB6_5679 Depth=3
	s_or_b64 exec, exec, s[38:39]
	v_max_f32_e32 v3, v3, v3
	v_max_f32_e32 v1, v1, v1
	;; [unrolled: 1-line block ×3, first 2 shown]
	s_mov_b64 s[38:39], 0
.LBB6_7013:                             ;   in Loop: Header=BB6_5679 Depth=3
	s_and_b64 vcc, exec, s[38:39]
	s_cbranch_vccz .LBB6_7027
; %bb.7014:                             ;   in Loop: Header=BB6_5679 Depth=3
	v_mov_b32_e32 v3, 0
	v_mov_b32_e32 v1, 0
	s_and_saveexec_b64 s[38:39], s[40:41]
	s_cbranch_execz .LBB6_7020
; %bb.7015:                             ;   in Loop: Header=BB6_5679 Depth=3
	v_cmp_ne_u16_sdwa vcc, v2, s82 src0_sel:BYTE_0 src1_sel:DWORD
	v_bfrev_b32_e32 v1, 1
	s_and_saveexec_b64 s[40:41], vcc
	s_cbranch_execz .LBB6_7019
; %bb.7016:                             ;   in Loop: Header=BB6_5679 Depth=3
	v_bfe_u32 v6, v35, 16, 7
	v_cmp_ne_u32_e32 vcc, s83, v6
	v_mov_b32_e32 v1, 0x7f800001
	s_and_saveexec_b64 s[48:49], vcc
	s_cbranch_execz .LBB6_7018
; %bb.7017:                             ;   in Loop: Header=BB6_5679 Depth=3
	v_and_b32_e32 v1, 7, v2
	v_lshrrev_b32_e32 v24, 3, v6
	v_cmp_gt_u32_e32 vcc, 8, v6
	v_ffbh_u32_e32 v6, v1
	v_min_u32_e32 v31, 32, v6
	v_subrev_u32_e32 v6, 28, v31
	v_lshlrev_b64 v[6:7], v6, v[2:3]
	v_sub_u32_e32 v7, 29, v31
	v_and_b32_e32 v6, 7, v6
	v_cndmask_b32_e32 v7, v24, v7, vcc
	v_cndmask_b32_e32 v1, v1, v6, vcc
	v_lshlrev_b32_e32 v2, 24, v2
	v_bfrev_b32_e32 v6, 60
	v_lshlrev_b32_e32 v1, 20, v1
	v_and_b32_e32 v2, 0x80000000, v2
	v_lshl_add_u32 v6, v7, 23, v6
	v_or3_b32 v1, v2, v6, v1
.LBB6_7018:                             ;   in Loop: Header=BB6_5679 Depth=3
	s_or_b64 exec, exec, s[48:49]
.LBB6_7019:                             ;   in Loop: Header=BB6_5679 Depth=3
	s_or_b64 exec, exec, s[40:41]
.LBB6_7020:                             ;   in Loop: Header=BB6_5679 Depth=3
	s_or_b64 exec, exec, s[38:39]
	v_cmp_ne_u16_sdwa vcc, v0, v53 src0_sel:BYTE_0 src1_sel:DWORD
	s_and_saveexec_b64 s[40:41], vcc
	s_cbranch_execz .LBB6_7026
; %bb.7021:                             ;   in Loop: Header=BB6_5679 Depth=3
	v_cmp_ne_u16_sdwa vcc, v0, s82 src0_sel:BYTE_0 src1_sel:DWORD
	v_bfrev_b32_e32 v3, 1
	s_and_saveexec_b64 s[38:39], vcc
	s_cbranch_execz .LBB6_7025
; %bb.7022:                             ;   in Loop: Header=BB6_5679 Depth=3
	v_bfe_u32 v2, v27, 16, 7
	v_cmp_ne_u32_e32 vcc, s83, v2
	v_mov_b32_e32 v3, 0x7f800001
	s_and_saveexec_b64 s[48:49], vcc
	s_cbranch_execz .LBB6_7024
; %bb.7023:                             ;   in Loop: Header=BB6_5679 Depth=3
	v_and_b32_e32 v6, 7, v0
	v_lshrrev_b32_e32 v7, 3, v2
	v_cmp_gt_u32_e32 vcc, 8, v2
	v_ffbh_u32_e32 v2, v6
	v_min_u32_e32 v24, 32, v2
	v_subrev_u32_e32 v2, 28, v24
	v_lshlrev_b64 v[2:3], v2, v[0:1]
	v_sub_u32_e32 v3, 29, v24
	v_and_b32_e32 v2, 7, v2
	v_cndmask_b32_e32 v3, v7, v3, vcc
	v_cndmask_b32_e32 v2, v6, v2, vcc
	v_lshlrev_b32_e32 v0, 24, v0
	v_bfrev_b32_e32 v6, 60
	v_lshlrev_b32_e32 v2, 20, v2
	v_and_b32_e32 v0, 0x80000000, v0
	v_lshl_add_u32 v3, v3, 23, v6
	v_or3_b32 v3, v0, v3, v2
.LBB6_7024:                             ;   in Loop: Header=BB6_5679 Depth=3
	s_or_b64 exec, exec, s[48:49]
.LBB6_7025:                             ;   in Loop: Header=BB6_5679 Depth=3
	s_or_b64 exec, exec, s[38:39]
.LBB6_7026:                             ;   in Loop: Header=BB6_5679 Depth=3
	s_or_b64 exec, exec, s[40:41]
	v_max_f32_e32 v0, v3, v3
	v_max_f32_e32 v1, v1, v1
	v_min_f32_e32 v1, v1, v0
.LBB6_7027:                             ;   in Loop: Header=BB6_5679 Depth=3
	v_and_b32_e32 v52, 0x7f800000, v1
	v_cmp_ne_u64_e32 vcc, s[76:77], v[52:53]
	buffer_store_dword v32, off, s[0:3], s33 offset:176 ; 4-byte Folded Spill
	buffer_store_dword v43, off, s[0:3], s33 offset:128 ; 4-byte Folded Spill
                                        ; implicit-def: $vgpr32
	s_and_saveexec_b64 s[40:41], vcc
	s_xor_b64 s[38:39], exec, s[40:41]
	s_cbranch_execz .LBB6_7041
; %bb.7028:                             ;   in Loop: Header=BB6_5679 Depth=3
	v_and_b32_e32 v52, 0x7fffffff, v1
	v_cmp_gt_u64_e32 vcc, s[78:79], v[52:53]
	v_and_b32_sdwa v3, v1, s82 dst_sel:DWORD dst_unused:UNUSED_PAD src0_sel:BYTE_3 src1_sel:DWORD
                                        ; implicit-def: $vgpr32
	s_and_saveexec_b64 s[40:41], vcc
	s_xor_b64 s[48:49], exec, s[40:41]
	s_cbranch_execz .LBB6_7038
; %bb.7029:                             ;   in Loop: Header=BB6_5679 Depth=3
	v_mov_b32_e32 v32, 0
	v_cmp_ne_u32_e32 vcc, 0, v1
	s_and_saveexec_b64 s[50:51], vcc
	s_cbranch_execz .LBB6_7037
; %bb.7030:                             ;   in Loop: Header=BB6_5679 Depth=3
	v_bfe_u32 v6, v1, 23, 8
	v_and_b32_e32 v0, 0x7fffff, v1
	v_cmp_gt_u32_e64 s[40:41], s85, v6
	v_sub_u32_e32 v1, 0x79, v6
	v_cmp_eq_u32_e32 vcc, 0, v6
	v_cndmask_b32_e64 v1, 0, v1, s[40:41]
	v_mov_b32_e32 v7, 0x78
	v_or_b32_e32 v2, 0x800000, v0
	v_cndmask_b32_e32 v7, v1, v7, vcc
	v_cndmask_b32_e32 v52, v2, v0, vcc
	v_add_u32_e32 v0, 20, v7
	v_lshlrev_b64 v[0:1], v0, -1
	v_add_u32_e32 v2, 19, v7
	v_lshlrev_b64 v[36:37], v2, 1
	v_bfi_b32 v1, v1, 0, 0
	v_bfi_b32 v0, v0, 0, v52
	v_cmp_eq_u64_e64 s[40:41], v[0:1], v[36:37]
	v_lshrrev_b64 v[0:1], v7, v[52:53]
	v_mov_b32_e32 v2, v1
	v_mov_b32_e32 v1, v0
	s_and_saveexec_b64 s[52:53], s[40:41]
; %bb.7031:                             ;   in Loop: Header=BB6_5679 Depth=3
	v_bfe_u32 v1, v0, 20, 1
	v_add_co_u32_e64 v1, s[40:41], v0, v1
	v_add_co_u32_e64 v1, s[40:41], -1, v1
; %bb.7032:                             ;   in Loop: Header=BB6_5679 Depth=3
	s_or_b64 exec, exec, s[52:53]
	v_add_u32_e32 v2, 0xffffff81, v6
	v_mov_b32_e32 v6, 0xffffff82
	v_cndmask_b32_e32 v2, v2, v6, vcc
	v_lshrrev_b32_e32 v6, 23, v0
	v_add3_u32 v7, v7, v2, v6
	v_add_u32_e32 v6, 6, v7
	v_and_b32_e32 v1, 0xfffff, v1
	v_add_u32_e32 v52, v1, v0
	v_cmp_ne_u32_e32 vcc, 0, v6
                                        ; implicit-def: $vgpr0_vgpr1
                                        ; implicit-def: $vgpr2
	s_and_saveexec_b64 s[40:41], vcc
	s_xor_b64 s[40:41], exec, s[40:41]
; %bb.7033:                             ;   in Loop: Header=BB6_5679 Depth=3
	v_cmp_lt_u64_e32 vcc, s[88:89], v[52:53]
	v_add_u32_e32 v0, 7, v7
	v_cndmask_b32_e32 v2, v6, v0, vcc
	v_cndmask_b32_e64 v0, 0, 1, vcc
	v_lshrrev_b64 v[0:1], v0, v[52:53]
; %bb.7034:                             ;   in Loop: Header=BB6_5679 Depth=3
	s_andn2_saveexec_b64 s[40:41], s[40:41]
; %bb.7035:                             ;   in Loop: Header=BB6_5679 Depth=3
	v_mov_b32_e32 v0, v52
	v_mov_b32_e32 v1, v53
	v_bfe_u32 v2, v52, 23, 1
; %bb.7036:                             ;   in Loop: Header=BB6_5679 Depth=3
	s_or_b64 exec, exec, s[40:41]
	v_lshrrev_b64 v[0:1], 20, v[0:1]
	v_cmp_gt_i32_e32 vcc, 16, v2
	v_cndmask_b32_e32 v1, 0, v1, vcc
	v_cndmask_b32_e32 v0, 7, v0, vcc
	v_cmp_eq_u64_e64 s[40:41], 0, v[0:1]
	v_min_i32_e32 v1, 15, v2
	v_lshlrev_b32_e32 v1, 3, v1
	v_cmp_eq_u32_e32 vcc, 0, v2
	v_and_b32_e32 v1, 0xf8, v1
	v_and_or_b32 v0, v0, 7, v1
	s_and_b64 s[40:41], vcc, s[40:41]
	v_cndmask_b32_e64 v0, v0, 0, s[40:41]
	v_or_b32_e32 v32, v0, v3
.LBB6_7037:                             ;   in Loop: Header=BB6_5679 Depth=3
	s_or_b64 exec, exec, s[50:51]
                                        ; implicit-def: $vgpr3
.LBB6_7038:                             ;   in Loop: Header=BB6_5679 Depth=3
	s_andn2_saveexec_b64 s[40:41], s[48:49]
; %bb.7039:                             ;   in Loop: Header=BB6_5679 Depth=3
	v_or_b32_e32 v32, 0x7e, v3
; %bb.7040:                             ;   in Loop: Header=BB6_5679 Depth=3
	s_or_b64 exec, exec, s[40:41]
                                        ; implicit-def: $vgpr1
.LBB6_7041:                             ;   in Loop: Header=BB6_5679 Depth=3
	s_andn2_saveexec_b64 s[40:41], s[38:39]
; %bb.7042:                             ;   in Loop: Header=BB6_5679 Depth=3
	v_or_b32_sdwa v32, v1, s83 dst_sel:DWORD dst_unused:UNUSED_PAD src0_sel:BYTE_3 src1_sel:DWORD
; %bb.7043:                             ;   in Loop: Header=BB6_5679 Depth=3
	s_or_b64 exec, exec, s[40:41]
	v_cmp_lt_u64_e64 s[40:41], s[62:63], v[34:35]
	v_lshrrev_b32_e32 v2, 24, v35
	v_lshrrev_b32_e32 v0, 24, v27
	s_and_b64 vcc, exec, s[28:29]
	s_mov_b64 s[38:39], -1
                                        ; implicit-def: $vgpr1
	s_cbranch_vccnz .LBB6_7057
; %bb.7044:                             ;   in Loop: Header=BB6_5679 Depth=3
	v_mov_b32_e32 v3, 0
	v_mov_b32_e32 v1, 0
	s_and_saveexec_b64 s[38:39], s[40:41]
	s_cbranch_execz .LBB6_7050
; %bb.7045:                             ;   in Loop: Header=BB6_5679 Depth=3
	v_cmp_ne_u32_e32 vcc, s82, v2
	v_bfrev_b32_e32 v1, 1
	s_and_saveexec_b64 s[48:49], vcc
	s_cbranch_execz .LBB6_7049
; %bb.7046:                             ;   in Loop: Header=BB6_5679 Depth=3
	v_bfe_u32 v6, v35, 24, 7
	v_cmp_ne_u32_e32 vcc, s83, v6
	v_mov_b32_e32 v1, 0x7f800001
	s_and_saveexec_b64 s[50:51], vcc
	s_cbranch_execz .LBB6_7048
; %bb.7047:                             ;   in Loop: Header=BB6_5679 Depth=3
	v_and_b32_e32 v1, 7, v2
	v_lshrrev_b32_e32 v24, 3, v6
	v_cmp_gt_u32_e32 vcc, 8, v6
	v_ffbh_u32_e32 v6, v1
	v_min_u32_e32 v31, 32, v6
	v_subrev_u32_e32 v6, 28, v31
	v_lshlrev_b64 v[6:7], v6, v[2:3]
	v_sub_u32_e32 v7, 29, v31
	v_and_b32_e32 v6, 7, v6
	v_cndmask_b32_e32 v7, v24, v7, vcc
	v_cndmask_b32_e32 v1, v1, v6, vcc
	v_lshlrev_b32_e32 v6, 24, v2
	v_bfrev_b32_e32 v24, 60
	v_lshlrev_b32_e32 v1, 20, v1
	v_and_b32_e32 v6, 0x80000000, v6
	v_lshl_add_u32 v7, v7, 23, v24
	v_or3_b32 v1, v6, v7, v1
.LBB6_7048:                             ;   in Loop: Header=BB6_5679 Depth=3
	s_or_b64 exec, exec, s[50:51]
.LBB6_7049:                             ;   in Loop: Header=BB6_5679 Depth=3
	s_or_b64 exec, exec, s[48:49]
.LBB6_7050:                             ;   in Loop: Header=BB6_5679 Depth=3
	s_or_b64 exec, exec, s[38:39]
	v_cmp_lt_u64_e32 vcc, s[62:63], v[26:27]
	s_and_saveexec_b64 s[38:39], vcc
	s_cbranch_execz .LBB6_7056
; %bb.7051:                             ;   in Loop: Header=BB6_5679 Depth=3
	v_cmp_ne_u32_e32 vcc, s82, v0
	v_bfrev_b32_e32 v3, 1
	s_and_saveexec_b64 s[48:49], vcc
	s_cbranch_execz .LBB6_7055
; %bb.7052:                             ;   in Loop: Header=BB6_5679 Depth=3
	v_bfe_u32 v6, v27, 24, 7
	v_cmp_ne_u32_e32 vcc, s83, v6
	v_mov_b32_e32 v3, 0x7f800001
	s_and_saveexec_b64 s[50:51], vcc
	s_cbranch_execz .LBB6_7054
; %bb.7053:                             ;   in Loop: Header=BB6_5679 Depth=3
	v_and_b32_e32 v3, 7, v0
	v_lshrrev_b32_e32 v24, 3, v6
	v_cmp_gt_u32_e32 vcc, 8, v6
	v_ffbh_u32_e32 v6, v3
	v_min_u32_e32 v31, 32, v6
	v_subrev_u32_e32 v6, 28, v31
	v_lshlrev_b64 v[6:7], v6, v[0:1]
	v_sub_u32_e32 v7, 29, v31
	v_and_b32_e32 v6, 7, v6
	v_cndmask_b32_e32 v7, v24, v7, vcc
	v_cndmask_b32_e32 v3, v3, v6, vcc
	v_lshlrev_b32_e32 v6, 24, v0
	v_bfrev_b32_e32 v24, 60
	v_lshlrev_b32_e32 v3, 20, v3
	v_and_b32_e32 v6, 0x80000000, v6
	v_lshl_add_u32 v7, v7, 23, v24
	v_or3_b32 v3, v6, v7, v3
.LBB6_7054:                             ;   in Loop: Header=BB6_5679 Depth=3
	s_or_b64 exec, exec, s[50:51]
.LBB6_7055:                             ;   in Loop: Header=BB6_5679 Depth=3
	s_or_b64 exec, exec, s[48:49]
.LBB6_7056:                             ;   in Loop: Header=BB6_5679 Depth=3
	s_or_b64 exec, exec, s[38:39]
	v_max_f32_e32 v3, v3, v3
	v_max_f32_e32 v1, v1, v1
	;; [unrolled: 1-line block ×3, first 2 shown]
	s_mov_b64 s[38:39], 0
.LBB6_7057:                             ;   in Loop: Header=BB6_5679 Depth=3
	s_and_b64 vcc, exec, s[38:39]
	s_cbranch_vccz .LBB6_7071
; %bb.7058:                             ;   in Loop: Header=BB6_5679 Depth=3
	v_mov_b32_e32 v3, 0
	v_mov_b32_e32 v1, 0
	s_and_saveexec_b64 s[38:39], s[40:41]
	s_cbranch_execz .LBB6_7064
; %bb.7059:                             ;   in Loop: Header=BB6_5679 Depth=3
	v_cmp_ne_u32_e32 vcc, s82, v2
	v_bfrev_b32_e32 v1, 1
	s_and_saveexec_b64 s[40:41], vcc
	s_cbranch_execz .LBB6_7063
; %bb.7060:                             ;   in Loop: Header=BB6_5679 Depth=3
	v_bfe_u32 v6, v35, 24, 7
	v_cmp_ne_u32_e32 vcc, s83, v6
	v_mov_b32_e32 v1, 0x7f800001
	s_and_saveexec_b64 s[48:49], vcc
	s_cbranch_execz .LBB6_7062
; %bb.7061:                             ;   in Loop: Header=BB6_5679 Depth=3
	v_and_b32_e32 v1, 7, v2
	v_lshrrev_b32_e32 v24, 3, v6
	v_cmp_gt_u32_e32 vcc, 8, v6
	v_ffbh_u32_e32 v6, v1
	v_min_u32_e32 v31, 32, v6
	v_subrev_u32_e32 v6, 28, v31
	v_lshlrev_b64 v[6:7], v6, v[2:3]
	v_sub_u32_e32 v7, 29, v31
	v_and_b32_e32 v6, 7, v6
	v_cndmask_b32_e32 v7, v24, v7, vcc
	v_cndmask_b32_e32 v1, v1, v6, vcc
	v_lshlrev_b32_e32 v2, 24, v2
	v_bfrev_b32_e32 v6, 60
	v_lshlrev_b32_e32 v1, 20, v1
	v_and_b32_e32 v2, 0x80000000, v2
	v_lshl_add_u32 v6, v7, 23, v6
	v_or3_b32 v1, v2, v6, v1
.LBB6_7062:                             ;   in Loop: Header=BB6_5679 Depth=3
	s_or_b64 exec, exec, s[48:49]
.LBB6_7063:                             ;   in Loop: Header=BB6_5679 Depth=3
	s_or_b64 exec, exec, s[40:41]
.LBB6_7064:                             ;   in Loop: Header=BB6_5679 Depth=3
	s_or_b64 exec, exec, s[38:39]
	v_cmp_lt_u64_e32 vcc, s[62:63], v[26:27]
	s_and_saveexec_b64 s[40:41], vcc
	s_cbranch_execz .LBB6_7070
; %bb.7065:                             ;   in Loop: Header=BB6_5679 Depth=3
	v_cmp_ne_u32_e32 vcc, s82, v0
	v_bfrev_b32_e32 v3, 1
	s_and_saveexec_b64 s[38:39], vcc
	s_cbranch_execz .LBB6_7069
; %bb.7066:                             ;   in Loop: Header=BB6_5679 Depth=3
	v_bfe_u32 v2, v27, 24, 7
	v_cmp_ne_u32_e32 vcc, s83, v2
	v_mov_b32_e32 v3, 0x7f800001
	s_and_saveexec_b64 s[48:49], vcc
	s_cbranch_execz .LBB6_7068
; %bb.7067:                             ;   in Loop: Header=BB6_5679 Depth=3
	v_and_b32_e32 v6, 7, v0
	v_lshrrev_b32_e32 v7, 3, v2
	v_cmp_gt_u32_e32 vcc, 8, v2
	v_ffbh_u32_e32 v2, v6
	v_min_u32_e32 v24, 32, v2
	v_subrev_u32_e32 v2, 28, v24
	v_lshlrev_b64 v[2:3], v2, v[0:1]
	v_sub_u32_e32 v3, 29, v24
	v_and_b32_e32 v2, 7, v2
	v_cndmask_b32_e32 v3, v7, v3, vcc
	v_cndmask_b32_e32 v2, v6, v2, vcc
	v_lshlrev_b32_e32 v0, 24, v0
	v_bfrev_b32_e32 v6, 60
	v_lshlrev_b32_e32 v2, 20, v2
	v_and_b32_e32 v0, 0x80000000, v0
	v_lshl_add_u32 v3, v3, 23, v6
	v_or3_b32 v3, v0, v3, v2
.LBB6_7068:                             ;   in Loop: Header=BB6_5679 Depth=3
	s_or_b64 exec, exec, s[48:49]
.LBB6_7069:                             ;   in Loop: Header=BB6_5679 Depth=3
	s_or_b64 exec, exec, s[38:39]
.LBB6_7070:                             ;   in Loop: Header=BB6_5679 Depth=3
	s_or_b64 exec, exec, s[40:41]
	v_max_f32_e32 v0, v3, v3
	v_max_f32_e32 v1, v1, v1
	v_min_f32_e32 v1, v1, v0
.LBB6_7071:                             ;   in Loop: Header=BB6_5679 Depth=3
	v_and_b32_e32 v52, 0x7f800000, v1
	v_cmp_ne_u64_e32 vcc, s[76:77], v[52:53]
	buffer_store_dword v32, off, s[0:3], s33 offset:292 ; 4-byte Folded Spill
                                        ; implicit-def: $vgpr26
	s_and_saveexec_b64 s[40:41], vcc
	s_xor_b64 s[38:39], exec, s[40:41]
	s_cbranch_execz .LBB6_7085
; %bb.7072:                             ;   in Loop: Header=BB6_5679 Depth=3
	v_and_b32_e32 v52, 0x7fffffff, v1
	v_cmp_gt_u64_e32 vcc, s[78:79], v[52:53]
	v_and_b32_sdwa v3, v1, s82 dst_sel:DWORD dst_unused:UNUSED_PAD src0_sel:BYTE_3 src1_sel:DWORD
                                        ; implicit-def: $vgpr26
	s_and_saveexec_b64 s[40:41], vcc
	s_xor_b64 s[48:49], exec, s[40:41]
	s_cbranch_execz .LBB6_7082
; %bb.7073:                             ;   in Loop: Header=BB6_5679 Depth=3
	v_mov_b32_e32 v26, 0
	v_cmp_ne_u32_e32 vcc, 0, v1
	s_and_saveexec_b64 s[50:51], vcc
	s_cbranch_execz .LBB6_7081
; %bb.7074:                             ;   in Loop: Header=BB6_5679 Depth=3
	v_bfe_u32 v6, v1, 23, 8
	v_and_b32_e32 v0, 0x7fffff, v1
	v_cmp_gt_u32_e64 s[40:41], s85, v6
	v_sub_u32_e32 v1, 0x79, v6
	v_cmp_eq_u32_e32 vcc, 0, v6
	v_cndmask_b32_e64 v1, 0, v1, s[40:41]
	v_mov_b32_e32 v7, 0x78
	v_or_b32_e32 v2, 0x800000, v0
	v_cndmask_b32_e32 v7, v1, v7, vcc
	v_cndmask_b32_e32 v52, v2, v0, vcc
	v_add_u32_e32 v0, 20, v7
	v_lshlrev_b64 v[0:1], v0, -1
	v_add_u32_e32 v2, 19, v7
	v_lshlrev_b64 v[26:27], v2, 1
	v_bfi_b32 v1, v1, 0, 0
	v_bfi_b32 v0, v0, 0, v52
	v_cmp_eq_u64_e64 s[40:41], v[0:1], v[26:27]
	v_lshrrev_b64 v[0:1], v7, v[52:53]
	v_mov_b32_e32 v2, v1
	v_mov_b32_e32 v1, v0
	s_and_saveexec_b64 s[52:53], s[40:41]
; %bb.7075:                             ;   in Loop: Header=BB6_5679 Depth=3
	v_bfe_u32 v1, v0, 20, 1
	v_add_co_u32_e64 v1, s[40:41], v0, v1
	v_add_co_u32_e64 v1, s[40:41], -1, v1
; %bb.7076:                             ;   in Loop: Header=BB6_5679 Depth=3
	s_or_b64 exec, exec, s[52:53]
	v_add_u32_e32 v2, 0xffffff81, v6
	v_mov_b32_e32 v6, 0xffffff82
	v_cndmask_b32_e32 v2, v2, v6, vcc
	v_lshrrev_b32_e32 v6, 23, v0
	v_add3_u32 v7, v7, v2, v6
	v_add_u32_e32 v6, 6, v7
	v_and_b32_e32 v1, 0xfffff, v1
	v_add_u32_e32 v52, v1, v0
	v_cmp_ne_u32_e32 vcc, 0, v6
                                        ; implicit-def: $vgpr0_vgpr1
                                        ; implicit-def: $vgpr2
	s_and_saveexec_b64 s[40:41], vcc
	s_xor_b64 s[40:41], exec, s[40:41]
; %bb.7077:                             ;   in Loop: Header=BB6_5679 Depth=3
	v_cmp_lt_u64_e32 vcc, s[88:89], v[52:53]
	v_add_u32_e32 v0, 7, v7
	v_cndmask_b32_e32 v2, v6, v0, vcc
	v_cndmask_b32_e64 v0, 0, 1, vcc
	v_lshrrev_b64 v[0:1], v0, v[52:53]
; %bb.7078:                             ;   in Loop: Header=BB6_5679 Depth=3
	s_andn2_saveexec_b64 s[40:41], s[40:41]
; %bb.7079:                             ;   in Loop: Header=BB6_5679 Depth=3
	v_mov_b32_e32 v0, v52
	v_mov_b32_e32 v1, v53
	v_bfe_u32 v2, v52, 23, 1
; %bb.7080:                             ;   in Loop: Header=BB6_5679 Depth=3
	s_or_b64 exec, exec, s[40:41]
	v_lshrrev_b64 v[0:1], 20, v[0:1]
	v_cmp_gt_i32_e32 vcc, 16, v2
	v_cndmask_b32_e32 v1, 0, v1, vcc
	v_cndmask_b32_e32 v0, 7, v0, vcc
	v_cmp_eq_u64_e64 s[40:41], 0, v[0:1]
	v_min_i32_e32 v1, 15, v2
	v_lshlrev_b32_e32 v1, 3, v1
	v_cmp_eq_u32_e32 vcc, 0, v2
	v_and_b32_e32 v1, 0xf8, v1
	v_and_or_b32 v0, v0, 7, v1
	s_and_b64 s[40:41], vcc, s[40:41]
	v_cndmask_b32_e64 v0, v0, 0, s[40:41]
	v_or_b32_e32 v26, v0, v3
.LBB6_7081:                             ;   in Loop: Header=BB6_5679 Depth=3
	s_or_b64 exec, exec, s[50:51]
                                        ; implicit-def: $vgpr3
.LBB6_7082:                             ;   in Loop: Header=BB6_5679 Depth=3
	s_andn2_saveexec_b64 s[40:41], s[48:49]
; %bb.7083:                             ;   in Loop: Header=BB6_5679 Depth=3
	v_or_b32_e32 v26, 0x7e, v3
; %bb.7084:                             ;   in Loop: Header=BB6_5679 Depth=3
	s_or_b64 exec, exec, s[40:41]
                                        ; implicit-def: $vgpr1
.LBB6_7085:                             ;   in Loop: Header=BB6_5679 Depth=3
	s_andn2_saveexec_b64 s[40:41], s[38:39]
; %bb.7086:                             ;   in Loop: Header=BB6_5679 Depth=3
	v_or_b32_sdwa v26, v1, s83 dst_sel:DWORD dst_unused:UNUSED_PAD src0_sel:BYTE_3 src1_sel:DWORD
; %bb.7087:                             ;   in Loop: Header=BB6_5679 Depth=3
	s_or_b64 exec, exec, s[40:41]
	v_cmp_ne_u16_sdwa s[40:41], v20, v53 src0_sel:BYTE_0 src1_sel:DWORD
	s_and_b64 vcc, exec, s[28:29]
	s_mov_b64 s[38:39], -1
                                        ; implicit-def: $vgpr0
	s_cbranch_vccnz .LBB6_7101
; %bb.7088:                             ;   in Loop: Header=BB6_5679 Depth=3
	v_mov_b32_e32 v1, 0
	v_mov_b32_e32 v0, 0
	s_and_saveexec_b64 s[38:39], s[40:41]
	s_cbranch_execz .LBB6_7094
; %bb.7089:                             ;   in Loop: Header=BB6_5679 Depth=3
	v_cmp_ne_u16_sdwa vcc, v20, s82 src0_sel:BYTE_0 src1_sel:DWORD
	v_bfrev_b32_e32 v0, 1
	s_and_saveexec_b64 s[48:49], vcc
	s_cbranch_execz .LBB6_7093
; %bb.7090:                             ;   in Loop: Header=BB6_5679 Depth=3
	v_and_b32_e32 v2, 0x7f, v20
	v_cmp_ne_u32_e32 vcc, s83, v2
	v_mov_b32_e32 v0, 0x7f800001
	s_and_saveexec_b64 s[50:51], vcc
	s_cbranch_execz .LBB6_7092
; %bb.7091:                             ;   in Loop: Header=BB6_5679 Depth=3
	v_and_b32_e32 v0, 7, v20
	v_ffbh_u32_e32 v0, v0
	v_min_u32_e32 v0, 32, v0
	v_lshrrev_b32_e32 v3, 3, v2
	v_cmp_gt_u32_e32 vcc, 8, v2
	v_subrev_u32_e32 v2, 28, v0
	v_sub_u32_e32 v0, 29, v0
	v_cndmask_b32_e32 v2, 0, v2, vcc
	v_cndmask_b32_e32 v0, v3, v0, vcc
	v_lshlrev_b64 v[2:3], v2, v[20:21]
	v_lshlrev_b32_e32 v3, 24, v20
	v_lshlrev_b32_e32 v2, 20, v2
	v_bfrev_b32_e32 v6, 60
	v_and_b32_e32 v2, 0x700000, v2
	v_and_b32_e32 v3, 0x80000000, v3
	v_lshl_add_u32 v0, v0, 23, v6
	v_or3_b32 v0, v3, v0, v2
.LBB6_7092:                             ;   in Loop: Header=BB6_5679 Depth=3
	s_or_b64 exec, exec, s[50:51]
.LBB6_7093:                             ;   in Loop: Header=BB6_5679 Depth=3
	s_or_b64 exec, exec, s[48:49]
.LBB6_7094:                             ;   in Loop: Header=BB6_5679 Depth=3
	s_or_b64 exec, exec, s[38:39]
	s_waitcnt vmcnt(19)
	v_cmp_ne_u16_sdwa vcc, v16, v53 src0_sel:BYTE_0 src1_sel:DWORD
	s_and_saveexec_b64 s[38:39], vcc
	s_cbranch_execz .LBB6_7100
; %bb.7095:                             ;   in Loop: Header=BB6_5679 Depth=3
	v_cmp_ne_u16_sdwa vcc, v16, s82 src0_sel:BYTE_0 src1_sel:DWORD
	v_bfrev_b32_e32 v1, 1
	s_and_saveexec_b64 s[48:49], vcc
	s_cbranch_execz .LBB6_7099
; %bb.7096:                             ;   in Loop: Header=BB6_5679 Depth=3
	v_and_b32_e32 v2, 0x7f, v16
	v_cmp_ne_u32_e32 vcc, s83, v2
	v_mov_b32_e32 v1, 0x7f800001
	s_and_saveexec_b64 s[50:51], vcc
	s_cbranch_execz .LBB6_7098
; %bb.7097:                             ;   in Loop: Header=BB6_5679 Depth=3
	v_and_b32_e32 v1, 7, v16
	v_ffbh_u32_e32 v1, v1
	v_min_u32_e32 v1, 32, v1
	v_lshrrev_b32_e32 v3, 3, v2
	v_cmp_gt_u32_e32 vcc, 8, v2
	v_subrev_u32_e32 v2, 28, v1
	v_sub_u32_e32 v1, 29, v1
	v_cndmask_b32_e32 v3, v3, v1, vcc
	v_cndmask_b32_e32 v1, 0, v2, vcc
	v_lshlrev_b64 v[1:2], v1, v[16:17]
	v_lshlrev_b32_e32 v2, 24, v16
	v_lshlrev_b32_e32 v1, 20, v1
	v_bfrev_b32_e32 v6, 60
	v_and_b32_e32 v1, 0x700000, v1
	v_and_b32_e32 v2, 0x80000000, v2
	v_lshl_add_u32 v3, v3, 23, v6
	v_or3_b32 v1, v2, v3, v1
.LBB6_7098:                             ;   in Loop: Header=BB6_5679 Depth=3
	s_or_b64 exec, exec, s[50:51]
.LBB6_7099:                             ;   in Loop: Header=BB6_5679 Depth=3
	s_or_b64 exec, exec, s[48:49]
.LBB6_7100:                             ;   in Loop: Header=BB6_5679 Depth=3
	s_or_b64 exec, exec, s[38:39]
	v_max_f32_e32 v1, v1, v1
	v_max_f32_e32 v0, v0, v0
	;; [unrolled: 1-line block ×3, first 2 shown]
	s_mov_b64 s[38:39], 0
.LBB6_7101:                             ;   in Loop: Header=BB6_5679 Depth=3
	s_and_b64 vcc, exec, s[38:39]
	s_cbranch_vccz .LBB6_7115
; %bb.7102:                             ;   in Loop: Header=BB6_5679 Depth=3
	v_mov_b32_e32 v1, 0
	v_mov_b32_e32 v0, 0
	s_and_saveexec_b64 s[38:39], s[40:41]
	s_cbranch_execz .LBB6_7108
; %bb.7103:                             ;   in Loop: Header=BB6_5679 Depth=3
	v_cmp_ne_u16_sdwa vcc, v20, s82 src0_sel:BYTE_0 src1_sel:DWORD
	v_bfrev_b32_e32 v0, 1
	s_and_saveexec_b64 s[40:41], vcc
	s_cbranch_execz .LBB6_7107
; %bb.7104:                             ;   in Loop: Header=BB6_5679 Depth=3
	v_and_b32_e32 v2, 0x7f, v20
	v_cmp_ne_u32_e32 vcc, s83, v2
	v_mov_b32_e32 v0, 0x7f800001
	s_and_saveexec_b64 s[48:49], vcc
	s_cbranch_execz .LBB6_7106
; %bb.7105:                             ;   in Loop: Header=BB6_5679 Depth=3
	v_and_b32_e32 v0, 7, v20
	v_ffbh_u32_e32 v0, v0
	v_min_u32_e32 v0, 32, v0
	v_lshrrev_b32_e32 v3, 3, v2
	v_cmp_gt_u32_e32 vcc, 8, v2
	v_subrev_u32_e32 v2, 28, v0
	v_sub_u32_e32 v0, 29, v0
	v_cndmask_b32_e32 v2, 0, v2, vcc
	v_cndmask_b32_e32 v0, v3, v0, vcc
	v_lshlrev_b64 v[2:3], v2, v[20:21]
	v_lshlrev_b32_e32 v3, 24, v20
	v_lshlrev_b32_e32 v2, 20, v2
	v_bfrev_b32_e32 v6, 60
	v_and_b32_e32 v2, 0x700000, v2
	v_and_b32_e32 v3, 0x80000000, v3
	v_lshl_add_u32 v0, v0, 23, v6
	v_or3_b32 v0, v3, v0, v2
.LBB6_7106:                             ;   in Loop: Header=BB6_5679 Depth=3
	s_or_b64 exec, exec, s[48:49]
.LBB6_7107:                             ;   in Loop: Header=BB6_5679 Depth=3
	s_or_b64 exec, exec, s[40:41]
.LBB6_7108:                             ;   in Loop: Header=BB6_5679 Depth=3
	s_or_b64 exec, exec, s[38:39]
	s_waitcnt vmcnt(19)
	v_cmp_ne_u16_sdwa vcc, v16, v53 src0_sel:BYTE_0 src1_sel:DWORD
	s_and_saveexec_b64 s[40:41], vcc
	s_cbranch_execz .LBB6_7114
; %bb.7109:                             ;   in Loop: Header=BB6_5679 Depth=3
	v_cmp_ne_u16_sdwa vcc, v16, s82 src0_sel:BYTE_0 src1_sel:DWORD
	v_bfrev_b32_e32 v1, 1
	s_and_saveexec_b64 s[38:39], vcc
	s_cbranch_execz .LBB6_7113
; %bb.7110:                             ;   in Loop: Header=BB6_5679 Depth=3
	v_and_b32_e32 v2, 0x7f, v16
	v_cmp_ne_u32_e32 vcc, s83, v2
	v_mov_b32_e32 v1, 0x7f800001
	s_and_saveexec_b64 s[48:49], vcc
	s_cbranch_execz .LBB6_7112
; %bb.7111:                             ;   in Loop: Header=BB6_5679 Depth=3
	v_and_b32_e32 v1, 7, v16
	v_ffbh_u32_e32 v1, v1
	v_min_u32_e32 v1, 32, v1
	v_lshrrev_b32_e32 v3, 3, v2
	v_cmp_gt_u32_e32 vcc, 8, v2
	v_subrev_u32_e32 v2, 28, v1
	v_sub_u32_e32 v1, 29, v1
	v_cndmask_b32_e32 v3, v3, v1, vcc
	v_cndmask_b32_e32 v1, 0, v2, vcc
	v_lshlrev_b64 v[1:2], v1, v[16:17]
	v_lshlrev_b32_e32 v2, 24, v16
	v_lshlrev_b32_e32 v1, 20, v1
	v_bfrev_b32_e32 v6, 60
	v_and_b32_e32 v1, 0x700000, v1
	v_and_b32_e32 v2, 0x80000000, v2
	v_lshl_add_u32 v3, v3, 23, v6
	v_or3_b32 v1, v2, v3, v1
.LBB6_7112:                             ;   in Loop: Header=BB6_5679 Depth=3
	s_or_b64 exec, exec, s[48:49]
.LBB6_7113:                             ;   in Loop: Header=BB6_5679 Depth=3
	s_or_b64 exec, exec, s[38:39]
.LBB6_7114:                             ;   in Loop: Header=BB6_5679 Depth=3
	s_or_b64 exec, exec, s[40:41]
	v_max_f32_e32 v1, v1, v1
	v_max_f32_e32 v0, v0, v0
	v_min_f32_e32 v0, v0, v1
.LBB6_7115:                             ;   in Loop: Header=BB6_5679 Depth=3
	v_and_b32_e32 v52, 0x7f800000, v0
	v_cmp_ne_u64_e32 vcc, s[76:77], v[52:53]
                                        ; implicit-def: $vgpr27
	s_and_saveexec_b64 s[40:41], vcc
	s_xor_b64 s[38:39], exec, s[40:41]
	s_cbranch_execz .LBB6_7129
; %bb.7116:                             ;   in Loop: Header=BB6_5679 Depth=3
	v_and_b32_e32 v52, 0x7fffffff, v0
	v_cmp_gt_u64_e32 vcc, s[78:79], v[52:53]
	v_and_b32_sdwa v3, v0, s82 dst_sel:DWORD dst_unused:UNUSED_PAD src0_sel:BYTE_3 src1_sel:DWORD
                                        ; implicit-def: $vgpr27
	s_and_saveexec_b64 s[40:41], vcc
	s_xor_b64 s[48:49], exec, s[40:41]
	s_cbranch_execz .LBB6_7126
; %bb.7117:                             ;   in Loop: Header=BB6_5679 Depth=3
	v_mov_b32_e32 v27, 0
	v_cmp_ne_u32_e32 vcc, 0, v0
	s_and_saveexec_b64 s[50:51], vcc
	s_cbranch_execz .LBB6_7125
; %bb.7118:                             ;   in Loop: Header=BB6_5679 Depth=3
	v_bfe_u32 v6, v0, 23, 8
	v_and_b32_e32 v1, 0x7fffff, v0
	v_cmp_gt_u32_e64 s[40:41], s85, v6
	v_sub_u32_e32 v0, 0x79, v6
	v_cmp_eq_u32_e32 vcc, 0, v6
	v_cndmask_b32_e64 v0, 0, v0, s[40:41]
	v_mov_b32_e32 v7, 0x78
	v_cndmask_b32_e32 v7, v0, v7, vcc
	v_or_b32_e32 v2, 0x800000, v1
	v_add_u32_e32 v0, 20, v7
	v_cndmask_b32_e32 v52, v2, v1, vcc
	v_lshlrev_b64 v[0:1], v0, -1
	v_add_u32_e32 v2, 19, v7
	v_lshlrev_b64 v[34:35], v2, 1
	v_bfi_b32 v1, v1, 0, 0
	v_bfi_b32 v0, v0, 0, v52
	v_cmp_eq_u64_e64 s[40:41], v[0:1], v[34:35]
	v_lshrrev_b64 v[0:1], v7, v[52:53]
	v_mov_b32_e32 v2, v1
	v_mov_b32_e32 v1, v0
	s_and_saveexec_b64 s[52:53], s[40:41]
; %bb.7119:                             ;   in Loop: Header=BB6_5679 Depth=3
	v_bfe_u32 v1, v0, 20, 1
	v_add_co_u32_e64 v1, s[40:41], v0, v1
	v_add_co_u32_e64 v1, s[40:41], -1, v1
; %bb.7120:                             ;   in Loop: Header=BB6_5679 Depth=3
	s_or_b64 exec, exec, s[52:53]
	v_add_u32_e32 v2, 0xffffff81, v6
	v_mov_b32_e32 v6, 0xffffff82
	v_cndmask_b32_e32 v2, v2, v6, vcc
	v_lshrrev_b32_e32 v6, 23, v0
	v_add3_u32 v7, v7, v2, v6
	v_add_u32_e32 v6, 6, v7
	v_and_b32_e32 v1, 0xfffff, v1
	v_add_u32_e32 v52, v1, v0
	v_cmp_ne_u32_e32 vcc, 0, v6
                                        ; implicit-def: $vgpr0_vgpr1
                                        ; implicit-def: $vgpr2
	s_and_saveexec_b64 s[40:41], vcc
	s_xor_b64 s[40:41], exec, s[40:41]
; %bb.7121:                             ;   in Loop: Header=BB6_5679 Depth=3
	v_cmp_lt_u64_e32 vcc, s[88:89], v[52:53]
	v_add_u32_e32 v0, 7, v7
	v_cndmask_b32_e32 v2, v6, v0, vcc
	v_cndmask_b32_e64 v0, 0, 1, vcc
	v_lshrrev_b64 v[0:1], v0, v[52:53]
; %bb.7122:                             ;   in Loop: Header=BB6_5679 Depth=3
	s_andn2_saveexec_b64 s[40:41], s[40:41]
; %bb.7123:                             ;   in Loop: Header=BB6_5679 Depth=3
	v_mov_b32_e32 v0, v52
	v_mov_b32_e32 v1, v53
	v_bfe_u32 v2, v52, 23, 1
; %bb.7124:                             ;   in Loop: Header=BB6_5679 Depth=3
	s_or_b64 exec, exec, s[40:41]
	v_lshrrev_b64 v[0:1], 20, v[0:1]
	v_cmp_gt_i32_e32 vcc, 16, v2
	v_cndmask_b32_e32 v1, 0, v1, vcc
	v_cndmask_b32_e32 v0, 7, v0, vcc
	v_cmp_eq_u64_e64 s[40:41], 0, v[0:1]
	v_min_i32_e32 v1, 15, v2
	v_lshlrev_b32_e32 v1, 3, v1
	v_cmp_eq_u32_e32 vcc, 0, v2
	v_and_b32_e32 v1, 0xf8, v1
	v_and_or_b32 v0, v0, 7, v1
	s_and_b64 s[40:41], vcc, s[40:41]
	v_cndmask_b32_e64 v0, v0, 0, s[40:41]
	v_or_b32_e32 v27, v0, v3
.LBB6_7125:                             ;   in Loop: Header=BB6_5679 Depth=3
	s_or_b64 exec, exec, s[50:51]
                                        ; implicit-def: $vgpr3
.LBB6_7126:                             ;   in Loop: Header=BB6_5679 Depth=3
	s_andn2_saveexec_b64 s[40:41], s[48:49]
; %bb.7127:                             ;   in Loop: Header=BB6_5679 Depth=3
	v_or_b32_e32 v27, 0x7e, v3
; %bb.7128:                             ;   in Loop: Header=BB6_5679 Depth=3
	s_or_b64 exec, exec, s[40:41]
                                        ; implicit-def: $vgpr0
.LBB6_7129:                             ;   in Loop: Header=BB6_5679 Depth=3
	s_andn2_saveexec_b64 s[40:41], s[38:39]
; %bb.7130:                             ;   in Loop: Header=BB6_5679 Depth=3
	v_or_b32_sdwa v27, v0, s83 dst_sel:DWORD dst_unused:UNUSED_PAD src0_sel:BYTE_3 src1_sel:DWORD
; %bb.7131:                             ;   in Loop: Header=BB6_5679 Depth=3
	s_or_b64 exec, exec, s[40:41]
	v_lshrrev_b16_e32 v2, 8, v20
	s_waitcnt vmcnt(19)
	v_lshrrev_b16_e32 v0, 8, v16
	v_cmp_ne_u16_e64 s[40:41], 0, v2
	s_and_b64 vcc, exec, s[28:29]
	s_mov_b64 s[38:39], -1
                                        ; implicit-def: $vgpr1
	s_cbranch_vccnz .LBB6_7145
; %bb.7132:                             ;   in Loop: Header=BB6_5679 Depth=3
	v_mov_b32_e32 v3, 0
	v_mov_b32_e32 v1, 0
	s_and_saveexec_b64 s[38:39], s[40:41]
	s_cbranch_execz .LBB6_7138
; %bb.7133:                             ;   in Loop: Header=BB6_5679 Depth=3
	v_cmp_ne_u16_e32 vcc, s82, v2
	v_bfrev_b32_e32 v1, 1
	s_and_saveexec_b64 s[48:49], vcc
	s_cbranch_execz .LBB6_7137
; %bb.7134:                             ;   in Loop: Header=BB6_5679 Depth=3
	v_and_b32_e32 v6, 0x7f, v2
	v_cmp_ne_u32_e32 vcc, s83, v6
	v_mov_b32_e32 v1, 0x7f800001
	s_and_saveexec_b64 s[50:51], vcc
	s_cbranch_execz .LBB6_7136
; %bb.7135:                             ;   in Loop: Header=BB6_5679 Depth=3
	v_and_b32_e32 v1, 7, v2
	v_lshrrev_b32_e32 v24, 3, v6
	v_cmp_gt_u32_e32 vcc, 8, v6
	v_ffbh_u32_e32 v6, v1
	v_min_u32_e32 v31, 32, v6
	v_subrev_u32_e32 v6, 28, v31
	v_lshlrev_b64 v[6:7], v6, v[2:3]
	v_sub_u32_e32 v7, 29, v31
	v_and_b32_e32 v6, 7, v6
	v_cndmask_b32_e32 v7, v24, v7, vcc
	v_cndmask_b32_e32 v1, v1, v6, vcc
	v_lshlrev_b32_e32 v6, 16, v20
	v_bfrev_b32_e32 v24, 60
	v_lshlrev_b32_e32 v1, 20, v1
	v_and_b32_e32 v6, 0x80000000, v6
	v_lshl_add_u32 v7, v7, 23, v24
	v_or3_b32 v1, v6, v7, v1
.LBB6_7136:                             ;   in Loop: Header=BB6_5679 Depth=3
	s_or_b64 exec, exec, s[50:51]
.LBB6_7137:                             ;   in Loop: Header=BB6_5679 Depth=3
	s_or_b64 exec, exec, s[48:49]
.LBB6_7138:                             ;   in Loop: Header=BB6_5679 Depth=3
	s_or_b64 exec, exec, s[38:39]
	v_cmp_ne_u16_e32 vcc, 0, v0
	s_and_saveexec_b64 s[38:39], vcc
	s_cbranch_execz .LBB6_7144
; %bb.7139:                             ;   in Loop: Header=BB6_5679 Depth=3
	v_cmp_ne_u16_e32 vcc, s82, v0
	v_bfrev_b32_e32 v3, 1
	s_and_saveexec_b64 s[48:49], vcc
	s_cbranch_execz .LBB6_7143
; %bb.7140:                             ;   in Loop: Header=BB6_5679 Depth=3
	v_and_b32_e32 v6, 0x7f, v0
	v_cmp_ne_u32_e32 vcc, s83, v6
	v_mov_b32_e32 v3, 0x7f800001
	s_and_saveexec_b64 s[50:51], vcc
	s_cbranch_execz .LBB6_7142
; %bb.7141:                             ;   in Loop: Header=BB6_5679 Depth=3
	v_and_b32_e32 v3, 7, v0
	v_lshrrev_b32_e32 v24, 3, v6
	v_cmp_gt_u32_e32 vcc, 8, v6
	v_ffbh_u32_e32 v6, v3
	v_min_u32_e32 v31, 32, v6
	v_subrev_u32_e32 v6, 28, v31
	v_lshlrev_b64 v[6:7], v6, v[0:1]
	v_sub_u32_e32 v7, 29, v31
	v_and_b32_e32 v6, 7, v6
	v_cndmask_b32_e32 v7, v24, v7, vcc
	v_cndmask_b32_e32 v3, v3, v6, vcc
	v_lshlrev_b32_e32 v6, 16, v16
	v_bfrev_b32_e32 v24, 60
	v_lshlrev_b32_e32 v3, 20, v3
	v_and_b32_e32 v6, 0x80000000, v6
	v_lshl_add_u32 v7, v7, 23, v24
	v_or3_b32 v3, v6, v7, v3
.LBB6_7142:                             ;   in Loop: Header=BB6_5679 Depth=3
	s_or_b64 exec, exec, s[50:51]
.LBB6_7143:                             ;   in Loop: Header=BB6_5679 Depth=3
	s_or_b64 exec, exec, s[48:49]
.LBB6_7144:                             ;   in Loop: Header=BB6_5679 Depth=3
	s_or_b64 exec, exec, s[38:39]
	v_max_f32_e32 v3, v3, v3
	v_max_f32_e32 v1, v1, v1
	;; [unrolled: 1-line block ×3, first 2 shown]
	s_mov_b64 s[38:39], 0
.LBB6_7145:                             ;   in Loop: Header=BB6_5679 Depth=3
	s_and_b64 vcc, exec, s[38:39]
	s_cbranch_vccz .LBB6_7159
; %bb.7146:                             ;   in Loop: Header=BB6_5679 Depth=3
	v_mov_b32_e32 v3, 0
	v_mov_b32_e32 v1, 0
	s_and_saveexec_b64 s[38:39], s[40:41]
	s_cbranch_execz .LBB6_7152
; %bb.7147:                             ;   in Loop: Header=BB6_5679 Depth=3
	v_cmp_ne_u16_e32 vcc, s82, v2
	v_bfrev_b32_e32 v1, 1
	s_and_saveexec_b64 s[40:41], vcc
	s_cbranch_execz .LBB6_7151
; %bb.7148:                             ;   in Loop: Header=BB6_5679 Depth=3
	v_and_b32_e32 v6, 0x7f, v2
	v_cmp_ne_u32_e32 vcc, s83, v6
	v_mov_b32_e32 v1, 0x7f800001
	s_and_saveexec_b64 s[48:49], vcc
	s_cbranch_execz .LBB6_7150
; %bb.7149:                             ;   in Loop: Header=BB6_5679 Depth=3
	v_and_b32_e32 v7, 7, v2
	v_ffbh_u32_e32 v1, v7
	v_lshrrev_b32_e32 v24, 3, v6
	v_cmp_gt_u32_e32 vcc, 8, v6
	v_min_u32_e32 v6, 32, v1
	v_subrev_u32_e32 v1, 28, v6
	v_lshlrev_b64 v[1:2], v1, v[2:3]
	v_sub_u32_e32 v2, 29, v6
	v_and_b32_e32 v1, 7, v1
	v_cndmask_b32_e32 v2, v24, v2, vcc
	v_cndmask_b32_e32 v1, v7, v1, vcc
	v_lshlrev_b32_e32 v6, 16, v20
	v_bfrev_b32_e32 v7, 60
	v_lshlrev_b32_e32 v1, 20, v1
	v_and_b32_e32 v6, 0x80000000, v6
	v_lshl_add_u32 v2, v2, 23, v7
	v_or3_b32 v1, v6, v2, v1
.LBB6_7150:                             ;   in Loop: Header=BB6_5679 Depth=3
	s_or_b64 exec, exec, s[48:49]
.LBB6_7151:                             ;   in Loop: Header=BB6_5679 Depth=3
	s_or_b64 exec, exec, s[40:41]
.LBB6_7152:                             ;   in Loop: Header=BB6_5679 Depth=3
	s_or_b64 exec, exec, s[38:39]
	v_cmp_ne_u16_e32 vcc, 0, v0
	s_and_saveexec_b64 s[40:41], vcc
	s_cbranch_execz .LBB6_7158
; %bb.7153:                             ;   in Loop: Header=BB6_5679 Depth=3
	v_cmp_ne_u16_e32 vcc, s82, v0
	v_bfrev_b32_e32 v3, 1
	s_and_saveexec_b64 s[38:39], vcc
	s_cbranch_execz .LBB6_7157
; %bb.7154:                             ;   in Loop: Header=BB6_5679 Depth=3
	v_and_b32_e32 v2, 0x7f, v0
	v_cmp_ne_u32_e32 vcc, s83, v2
	v_mov_b32_e32 v3, 0x7f800001
	s_and_saveexec_b64 s[48:49], vcc
	s_cbranch_execz .LBB6_7156
; %bb.7155:                             ;   in Loop: Header=BB6_5679 Depth=3
	v_and_b32_e32 v6, 7, v0
	v_lshrrev_b32_e32 v7, 3, v2
	v_cmp_gt_u32_e32 vcc, 8, v2
	v_ffbh_u32_e32 v2, v6
	v_min_u32_e32 v24, 32, v2
	v_subrev_u32_e32 v2, 28, v24
	v_lshlrev_b64 v[2:3], v2, v[0:1]
	v_sub_u32_e32 v0, 29, v24
	v_and_b32_e32 v2, 7, v2
	v_cndmask_b32_e32 v0, v7, v0, vcc
	v_cndmask_b32_e32 v2, v6, v2, vcc
	v_lshlrev_b32_e32 v3, 16, v16
	v_bfrev_b32_e32 v6, 60
	v_lshlrev_b32_e32 v2, 20, v2
	v_and_b32_e32 v3, 0x80000000, v3
	v_lshl_add_u32 v0, v0, 23, v6
	v_or3_b32 v3, v3, v0, v2
.LBB6_7156:                             ;   in Loop: Header=BB6_5679 Depth=3
	s_or_b64 exec, exec, s[48:49]
.LBB6_7157:                             ;   in Loop: Header=BB6_5679 Depth=3
	s_or_b64 exec, exec, s[38:39]
.LBB6_7158:                             ;   in Loop: Header=BB6_5679 Depth=3
	s_or_b64 exec, exec, s[40:41]
	v_max_f32_e32 v0, v3, v3
	v_max_f32_e32 v1, v1, v1
	v_min_f32_e32 v1, v1, v0
.LBB6_7159:                             ;   in Loop: Header=BB6_5679 Depth=3
	v_and_b32_e32 v52, 0x7f800000, v1
	v_cmp_ne_u64_e32 vcc, s[76:77], v[52:53]
                                        ; implicit-def: $vgpr34
	s_and_saveexec_b64 s[40:41], vcc
	s_xor_b64 s[38:39], exec, s[40:41]
	s_cbranch_execz .LBB6_7173
; %bb.7160:                             ;   in Loop: Header=BB6_5679 Depth=3
	v_and_b32_e32 v52, 0x7fffffff, v1
	v_cmp_gt_u64_e32 vcc, s[78:79], v[52:53]
	v_and_b32_sdwa v3, v1, s82 dst_sel:DWORD dst_unused:UNUSED_PAD src0_sel:BYTE_3 src1_sel:DWORD
                                        ; implicit-def: $vgpr34
	s_and_saveexec_b64 s[40:41], vcc
	s_xor_b64 s[48:49], exec, s[40:41]
	s_cbranch_execz .LBB6_7170
; %bb.7161:                             ;   in Loop: Header=BB6_5679 Depth=3
	v_mov_b32_e32 v34, 0
	v_cmp_ne_u32_e32 vcc, 0, v1
	s_and_saveexec_b64 s[50:51], vcc
	s_cbranch_execz .LBB6_7169
; %bb.7162:                             ;   in Loop: Header=BB6_5679 Depth=3
	v_bfe_u32 v6, v1, 23, 8
	v_and_b32_e32 v0, 0x7fffff, v1
	v_cmp_gt_u32_e64 s[40:41], s85, v6
	v_sub_u32_e32 v1, 0x79, v6
	v_cmp_eq_u32_e32 vcc, 0, v6
	v_cndmask_b32_e64 v1, 0, v1, s[40:41]
	v_mov_b32_e32 v7, 0x78
	v_or_b32_e32 v2, 0x800000, v0
	v_cndmask_b32_e32 v7, v1, v7, vcc
	v_cndmask_b32_e32 v52, v2, v0, vcc
	v_add_u32_e32 v0, 20, v7
	v_lshlrev_b64 v[0:1], v0, -1
	v_add_u32_e32 v2, 19, v7
	v_lshlrev_b64 v[34:35], v2, 1
	v_bfi_b32 v1, v1, 0, 0
	v_bfi_b32 v0, v0, 0, v52
	v_cmp_eq_u64_e64 s[40:41], v[0:1], v[34:35]
	v_lshrrev_b64 v[0:1], v7, v[52:53]
	v_mov_b32_e32 v2, v1
	v_mov_b32_e32 v1, v0
	s_and_saveexec_b64 s[52:53], s[40:41]
; %bb.7163:                             ;   in Loop: Header=BB6_5679 Depth=3
	v_bfe_u32 v1, v0, 20, 1
	v_add_co_u32_e64 v1, s[40:41], v0, v1
	v_add_co_u32_e64 v1, s[40:41], -1, v1
; %bb.7164:                             ;   in Loop: Header=BB6_5679 Depth=3
	s_or_b64 exec, exec, s[52:53]
	v_add_u32_e32 v2, 0xffffff81, v6
	v_mov_b32_e32 v6, 0xffffff82
	v_cndmask_b32_e32 v2, v2, v6, vcc
	v_lshrrev_b32_e32 v6, 23, v0
	v_add3_u32 v7, v7, v2, v6
	v_add_u32_e32 v6, 6, v7
	v_and_b32_e32 v1, 0xfffff, v1
	v_add_u32_e32 v52, v1, v0
	v_cmp_ne_u32_e32 vcc, 0, v6
                                        ; implicit-def: $vgpr0_vgpr1
                                        ; implicit-def: $vgpr2
	s_and_saveexec_b64 s[40:41], vcc
	s_xor_b64 s[40:41], exec, s[40:41]
; %bb.7165:                             ;   in Loop: Header=BB6_5679 Depth=3
	v_cmp_lt_u64_e32 vcc, s[88:89], v[52:53]
	v_add_u32_e32 v0, 7, v7
	v_cndmask_b32_e32 v2, v6, v0, vcc
	v_cndmask_b32_e64 v0, 0, 1, vcc
	v_lshrrev_b64 v[0:1], v0, v[52:53]
; %bb.7166:                             ;   in Loop: Header=BB6_5679 Depth=3
	s_andn2_saveexec_b64 s[40:41], s[40:41]
; %bb.7167:                             ;   in Loop: Header=BB6_5679 Depth=3
	v_mov_b32_e32 v0, v52
	v_mov_b32_e32 v1, v53
	v_bfe_u32 v2, v52, 23, 1
; %bb.7168:                             ;   in Loop: Header=BB6_5679 Depth=3
	s_or_b64 exec, exec, s[40:41]
	v_lshrrev_b64 v[0:1], 20, v[0:1]
	v_cmp_gt_i32_e32 vcc, 16, v2
	v_cndmask_b32_e32 v1, 0, v1, vcc
	v_cndmask_b32_e32 v0, 7, v0, vcc
	v_cmp_eq_u64_e64 s[40:41], 0, v[0:1]
	v_min_i32_e32 v1, 15, v2
	v_lshlrev_b32_e32 v1, 3, v1
	v_cmp_eq_u32_e32 vcc, 0, v2
	v_and_b32_e32 v1, 0xf8, v1
	v_and_or_b32 v0, v0, 7, v1
	s_and_b64 s[40:41], vcc, s[40:41]
	v_cndmask_b32_e64 v0, v0, 0, s[40:41]
	v_or_b32_e32 v34, v0, v3
.LBB6_7169:                             ;   in Loop: Header=BB6_5679 Depth=3
	s_or_b64 exec, exec, s[50:51]
                                        ; implicit-def: $vgpr3
.LBB6_7170:                             ;   in Loop: Header=BB6_5679 Depth=3
	s_andn2_saveexec_b64 s[40:41], s[48:49]
; %bb.7171:                             ;   in Loop: Header=BB6_5679 Depth=3
	v_or_b32_e32 v34, 0x7e, v3
; %bb.7172:                             ;   in Loop: Header=BB6_5679 Depth=3
	s_or_b64 exec, exec, s[40:41]
                                        ; implicit-def: $vgpr1
.LBB6_7173:                             ;   in Loop: Header=BB6_5679 Depth=3
	s_andn2_saveexec_b64 s[40:41], s[38:39]
; %bb.7174:                             ;   in Loop: Header=BB6_5679 Depth=3
	v_or_b32_sdwa v34, v1, s83 dst_sel:DWORD dst_unused:UNUSED_PAD src0_sel:BYTE_3 src1_sel:DWORD
; %bb.7175:                             ;   in Loop: Header=BB6_5679 Depth=3
	s_or_b64 exec, exec, s[40:41]
	v_lshrrev_b32_e32 v2, 16, v20
	v_lshrrev_b32_e32 v0, 16, v16
	v_cmp_ne_u16_sdwa s[40:41], v2, v53 src0_sel:BYTE_0 src1_sel:DWORD
	s_and_b64 vcc, exec, s[28:29]
	s_mov_b64 s[38:39], -1
                                        ; implicit-def: $vgpr1
	s_cbranch_vccnz .LBB6_7189
; %bb.7176:                             ;   in Loop: Header=BB6_5679 Depth=3
	v_mov_b32_e32 v3, 0
	v_mov_b32_e32 v1, 0
	s_and_saveexec_b64 s[38:39], s[40:41]
	s_cbranch_execz .LBB6_7182
; %bb.7177:                             ;   in Loop: Header=BB6_5679 Depth=3
	v_cmp_ne_u16_sdwa vcc, v2, s82 src0_sel:BYTE_0 src1_sel:DWORD
	v_bfrev_b32_e32 v1, 1
	s_and_saveexec_b64 s[48:49], vcc
	s_cbranch_execz .LBB6_7181
; %bb.7178:                             ;   in Loop: Header=BB6_5679 Depth=3
	v_bfe_u32 v6, v20, 16, 7
	v_cmp_ne_u32_e32 vcc, s83, v6
	v_mov_b32_e32 v1, 0x7f800001
	s_and_saveexec_b64 s[50:51], vcc
	s_cbranch_execz .LBB6_7180
; %bb.7179:                             ;   in Loop: Header=BB6_5679 Depth=3
	v_and_b32_e32 v1, 7, v2
	v_lshrrev_b32_e32 v24, 3, v6
	v_cmp_gt_u32_e32 vcc, 8, v6
	v_ffbh_u32_e32 v6, v1
	v_min_u32_e32 v31, 32, v6
	v_subrev_u32_e32 v6, 28, v31
	v_lshlrev_b64 v[6:7], v6, v[2:3]
	v_sub_u32_e32 v7, 29, v31
	v_and_b32_e32 v6, 7, v6
	v_cndmask_b32_e32 v7, v24, v7, vcc
	v_cndmask_b32_e32 v1, v1, v6, vcc
	v_lshlrev_b32_e32 v6, 24, v2
	v_bfrev_b32_e32 v24, 60
	v_lshlrev_b32_e32 v1, 20, v1
	v_and_b32_e32 v6, 0x80000000, v6
	v_lshl_add_u32 v7, v7, 23, v24
	v_or3_b32 v1, v6, v7, v1
.LBB6_7180:                             ;   in Loop: Header=BB6_5679 Depth=3
	s_or_b64 exec, exec, s[50:51]
.LBB6_7181:                             ;   in Loop: Header=BB6_5679 Depth=3
	s_or_b64 exec, exec, s[48:49]
.LBB6_7182:                             ;   in Loop: Header=BB6_5679 Depth=3
	s_or_b64 exec, exec, s[38:39]
	v_cmp_ne_u16_sdwa vcc, v0, v53 src0_sel:BYTE_0 src1_sel:DWORD
	s_and_saveexec_b64 s[38:39], vcc
	s_cbranch_execz .LBB6_7188
; %bb.7183:                             ;   in Loop: Header=BB6_5679 Depth=3
	v_cmp_ne_u16_sdwa vcc, v0, s82 src0_sel:BYTE_0 src1_sel:DWORD
	v_bfrev_b32_e32 v3, 1
	s_and_saveexec_b64 s[48:49], vcc
	s_cbranch_execz .LBB6_7187
; %bb.7184:                             ;   in Loop: Header=BB6_5679 Depth=3
	v_bfe_u32 v6, v16, 16, 7
	v_cmp_ne_u32_e32 vcc, s83, v6
	v_mov_b32_e32 v3, 0x7f800001
	s_and_saveexec_b64 s[50:51], vcc
	s_cbranch_execz .LBB6_7186
; %bb.7185:                             ;   in Loop: Header=BB6_5679 Depth=3
	v_and_b32_e32 v3, 7, v0
	v_lshrrev_b32_e32 v24, 3, v6
	v_cmp_gt_u32_e32 vcc, 8, v6
	v_ffbh_u32_e32 v6, v3
	v_min_u32_e32 v31, 32, v6
	v_subrev_u32_e32 v6, 28, v31
	v_lshlrev_b64 v[6:7], v6, v[0:1]
	v_sub_u32_e32 v7, 29, v31
	v_and_b32_e32 v6, 7, v6
	v_cndmask_b32_e32 v7, v24, v7, vcc
	v_cndmask_b32_e32 v3, v3, v6, vcc
	v_lshlrev_b32_e32 v6, 24, v0
	v_bfrev_b32_e32 v24, 60
	v_lshlrev_b32_e32 v3, 20, v3
	v_and_b32_e32 v6, 0x80000000, v6
	v_lshl_add_u32 v7, v7, 23, v24
	v_or3_b32 v3, v6, v7, v3
.LBB6_7186:                             ;   in Loop: Header=BB6_5679 Depth=3
	s_or_b64 exec, exec, s[50:51]
.LBB6_7187:                             ;   in Loop: Header=BB6_5679 Depth=3
	s_or_b64 exec, exec, s[48:49]
.LBB6_7188:                             ;   in Loop: Header=BB6_5679 Depth=3
	s_or_b64 exec, exec, s[38:39]
	v_max_f32_e32 v3, v3, v3
	v_max_f32_e32 v1, v1, v1
	;; [unrolled: 1-line block ×3, first 2 shown]
	s_mov_b64 s[38:39], 0
.LBB6_7189:                             ;   in Loop: Header=BB6_5679 Depth=3
	s_and_b64 vcc, exec, s[38:39]
	s_cbranch_vccz .LBB6_7203
; %bb.7190:                             ;   in Loop: Header=BB6_5679 Depth=3
	v_mov_b32_e32 v3, 0
	v_mov_b32_e32 v1, 0
	s_and_saveexec_b64 s[38:39], s[40:41]
	s_cbranch_execz .LBB6_7196
; %bb.7191:                             ;   in Loop: Header=BB6_5679 Depth=3
	v_cmp_ne_u16_sdwa vcc, v2, s82 src0_sel:BYTE_0 src1_sel:DWORD
	v_bfrev_b32_e32 v1, 1
	s_and_saveexec_b64 s[40:41], vcc
	s_cbranch_execz .LBB6_7195
; %bb.7192:                             ;   in Loop: Header=BB6_5679 Depth=3
	v_bfe_u32 v6, v20, 16, 7
	v_cmp_ne_u32_e32 vcc, s83, v6
	v_mov_b32_e32 v1, 0x7f800001
	s_and_saveexec_b64 s[48:49], vcc
	s_cbranch_execz .LBB6_7194
; %bb.7193:                             ;   in Loop: Header=BB6_5679 Depth=3
	v_and_b32_e32 v1, 7, v2
	v_lshrrev_b32_e32 v24, 3, v6
	v_cmp_gt_u32_e32 vcc, 8, v6
	v_ffbh_u32_e32 v6, v1
	v_min_u32_e32 v31, 32, v6
	v_subrev_u32_e32 v6, 28, v31
	v_lshlrev_b64 v[6:7], v6, v[2:3]
	v_sub_u32_e32 v7, 29, v31
	v_and_b32_e32 v6, 7, v6
	v_cndmask_b32_e32 v7, v24, v7, vcc
	v_cndmask_b32_e32 v1, v1, v6, vcc
	v_lshlrev_b32_e32 v2, 24, v2
	v_bfrev_b32_e32 v6, 60
	v_lshlrev_b32_e32 v1, 20, v1
	v_and_b32_e32 v2, 0x80000000, v2
	v_lshl_add_u32 v6, v7, 23, v6
	v_or3_b32 v1, v2, v6, v1
.LBB6_7194:                             ;   in Loop: Header=BB6_5679 Depth=3
	s_or_b64 exec, exec, s[48:49]
.LBB6_7195:                             ;   in Loop: Header=BB6_5679 Depth=3
	s_or_b64 exec, exec, s[40:41]
.LBB6_7196:                             ;   in Loop: Header=BB6_5679 Depth=3
	s_or_b64 exec, exec, s[38:39]
	v_cmp_ne_u16_sdwa vcc, v0, v53 src0_sel:BYTE_0 src1_sel:DWORD
	s_and_saveexec_b64 s[40:41], vcc
	s_cbranch_execz .LBB6_7202
; %bb.7197:                             ;   in Loop: Header=BB6_5679 Depth=3
	v_cmp_ne_u16_sdwa vcc, v0, s82 src0_sel:BYTE_0 src1_sel:DWORD
	v_bfrev_b32_e32 v3, 1
	s_and_saveexec_b64 s[38:39], vcc
	s_cbranch_execz .LBB6_7201
; %bb.7198:                             ;   in Loop: Header=BB6_5679 Depth=3
	v_bfe_u32 v2, v16, 16, 7
	v_cmp_ne_u32_e32 vcc, s83, v2
	v_mov_b32_e32 v3, 0x7f800001
	s_and_saveexec_b64 s[48:49], vcc
	s_cbranch_execz .LBB6_7200
; %bb.7199:                             ;   in Loop: Header=BB6_5679 Depth=3
	v_and_b32_e32 v6, 7, v0
	v_lshrrev_b32_e32 v7, 3, v2
	v_cmp_gt_u32_e32 vcc, 8, v2
	v_ffbh_u32_e32 v2, v6
	v_min_u32_e32 v24, 32, v2
	v_subrev_u32_e32 v2, 28, v24
	v_lshlrev_b64 v[2:3], v2, v[0:1]
	v_sub_u32_e32 v3, 29, v24
	v_and_b32_e32 v2, 7, v2
	v_cndmask_b32_e32 v3, v7, v3, vcc
	v_cndmask_b32_e32 v2, v6, v2, vcc
	v_lshlrev_b32_e32 v0, 24, v0
	v_bfrev_b32_e32 v6, 60
	v_lshlrev_b32_e32 v2, 20, v2
	v_and_b32_e32 v0, 0x80000000, v0
	v_lshl_add_u32 v3, v3, 23, v6
	v_or3_b32 v3, v0, v3, v2
.LBB6_7200:                             ;   in Loop: Header=BB6_5679 Depth=3
	s_or_b64 exec, exec, s[48:49]
.LBB6_7201:                             ;   in Loop: Header=BB6_5679 Depth=3
	s_or_b64 exec, exec, s[38:39]
.LBB6_7202:                             ;   in Loop: Header=BB6_5679 Depth=3
	s_or_b64 exec, exec, s[40:41]
	v_max_f32_e32 v0, v3, v3
	v_max_f32_e32 v1, v1, v1
	v_min_f32_e32 v1, v1, v0
.LBB6_7203:                             ;   in Loop: Header=BB6_5679 Depth=3
	v_and_b32_e32 v52, 0x7f800000, v1
	v_cmp_ne_u64_e32 vcc, s[76:77], v[52:53]
                                        ; implicit-def: $vgpr35
	s_and_saveexec_b64 s[40:41], vcc
	s_xor_b64 s[38:39], exec, s[40:41]
	s_cbranch_execz .LBB6_7217
; %bb.7204:                             ;   in Loop: Header=BB6_5679 Depth=3
	v_and_b32_e32 v52, 0x7fffffff, v1
	v_cmp_gt_u64_e32 vcc, s[78:79], v[52:53]
	v_and_b32_sdwa v3, v1, s82 dst_sel:DWORD dst_unused:UNUSED_PAD src0_sel:BYTE_3 src1_sel:DWORD
                                        ; implicit-def: $vgpr35
	s_and_saveexec_b64 s[40:41], vcc
	s_xor_b64 s[48:49], exec, s[40:41]
	s_cbranch_execz .LBB6_7214
; %bb.7205:                             ;   in Loop: Header=BB6_5679 Depth=3
	v_mov_b32_e32 v35, 0
	v_cmp_ne_u32_e32 vcc, 0, v1
	s_and_saveexec_b64 s[50:51], vcc
	s_cbranch_execz .LBB6_7213
; %bb.7206:                             ;   in Loop: Header=BB6_5679 Depth=3
	v_bfe_u32 v6, v1, 23, 8
	v_and_b32_e32 v0, 0x7fffff, v1
	v_cmp_gt_u32_e64 s[40:41], s85, v6
	v_sub_u32_e32 v1, 0x79, v6
	v_cmp_eq_u32_e32 vcc, 0, v6
	v_cndmask_b32_e64 v1, 0, v1, s[40:41]
	v_mov_b32_e32 v7, 0x78
	v_or_b32_e32 v2, 0x800000, v0
	v_cndmask_b32_e32 v7, v1, v7, vcc
	v_cndmask_b32_e32 v52, v2, v0, vcc
	v_add_u32_e32 v0, 20, v7
	v_lshlrev_b64 v[0:1], v0, -1
	v_add_u32_e32 v2, 19, v7
	v_lshlrev_b64 v[35:36], v2, 1
	v_bfi_b32 v1, v1, 0, 0
	v_bfi_b32 v0, v0, 0, v52
	v_cmp_eq_u64_e64 s[40:41], v[0:1], v[35:36]
	v_lshrrev_b64 v[0:1], v7, v[52:53]
	v_mov_b32_e32 v2, v1
	v_mov_b32_e32 v1, v0
	s_and_saveexec_b64 s[52:53], s[40:41]
; %bb.7207:                             ;   in Loop: Header=BB6_5679 Depth=3
	v_bfe_u32 v1, v0, 20, 1
	v_add_co_u32_e64 v1, s[40:41], v0, v1
	v_add_co_u32_e64 v1, s[40:41], -1, v1
; %bb.7208:                             ;   in Loop: Header=BB6_5679 Depth=3
	s_or_b64 exec, exec, s[52:53]
	v_add_u32_e32 v2, 0xffffff81, v6
	v_mov_b32_e32 v6, 0xffffff82
	v_cndmask_b32_e32 v2, v2, v6, vcc
	v_lshrrev_b32_e32 v6, 23, v0
	v_add3_u32 v7, v7, v2, v6
	v_add_u32_e32 v6, 6, v7
	v_and_b32_e32 v1, 0xfffff, v1
	v_add_u32_e32 v52, v1, v0
	v_cmp_ne_u32_e32 vcc, 0, v6
                                        ; implicit-def: $vgpr0_vgpr1
                                        ; implicit-def: $vgpr2
	s_and_saveexec_b64 s[40:41], vcc
	s_xor_b64 s[40:41], exec, s[40:41]
; %bb.7209:                             ;   in Loop: Header=BB6_5679 Depth=3
	v_cmp_lt_u64_e32 vcc, s[88:89], v[52:53]
	v_add_u32_e32 v0, 7, v7
	v_cndmask_b32_e32 v2, v6, v0, vcc
	v_cndmask_b32_e64 v0, 0, 1, vcc
	v_lshrrev_b64 v[0:1], v0, v[52:53]
; %bb.7210:                             ;   in Loop: Header=BB6_5679 Depth=3
	s_andn2_saveexec_b64 s[40:41], s[40:41]
; %bb.7211:                             ;   in Loop: Header=BB6_5679 Depth=3
	v_mov_b32_e32 v0, v52
	v_mov_b32_e32 v1, v53
	v_bfe_u32 v2, v52, 23, 1
; %bb.7212:                             ;   in Loop: Header=BB6_5679 Depth=3
	s_or_b64 exec, exec, s[40:41]
	v_lshrrev_b64 v[0:1], 20, v[0:1]
	v_cmp_gt_i32_e32 vcc, 16, v2
	v_cndmask_b32_e32 v1, 0, v1, vcc
	v_cndmask_b32_e32 v0, 7, v0, vcc
	v_cmp_eq_u64_e64 s[40:41], 0, v[0:1]
	v_min_i32_e32 v1, 15, v2
	v_lshlrev_b32_e32 v1, 3, v1
	v_cmp_eq_u32_e32 vcc, 0, v2
	v_and_b32_e32 v1, 0xf8, v1
	v_and_or_b32 v0, v0, 7, v1
	s_and_b64 s[40:41], vcc, s[40:41]
	v_cndmask_b32_e64 v0, v0, 0, s[40:41]
	v_or_b32_e32 v35, v0, v3
.LBB6_7213:                             ;   in Loop: Header=BB6_5679 Depth=3
	s_or_b64 exec, exec, s[50:51]
                                        ; implicit-def: $vgpr3
.LBB6_7214:                             ;   in Loop: Header=BB6_5679 Depth=3
	s_andn2_saveexec_b64 s[40:41], s[48:49]
; %bb.7215:                             ;   in Loop: Header=BB6_5679 Depth=3
	v_or_b32_e32 v35, 0x7e, v3
; %bb.7216:                             ;   in Loop: Header=BB6_5679 Depth=3
	s_or_b64 exec, exec, s[40:41]
                                        ; implicit-def: $vgpr1
.LBB6_7217:                             ;   in Loop: Header=BB6_5679 Depth=3
	s_andn2_saveexec_b64 s[40:41], s[38:39]
; %bb.7218:                             ;   in Loop: Header=BB6_5679 Depth=3
	v_or_b32_sdwa v35, v1, s83 dst_sel:DWORD dst_unused:UNUSED_PAD src0_sel:BYTE_3 src1_sel:DWORD
; %bb.7219:                             ;   in Loop: Header=BB6_5679 Depth=3
	s_or_b64 exec, exec, s[40:41]
	v_lshrrev_b32_e32 v2, 24, v20
	v_lshrrev_b32_e32 v0, 24, v16
	v_cmp_lt_u32_e64 s[40:41], s63, v20
	s_and_b64 vcc, exec, s[28:29]
	s_mov_b64 s[38:39], -1
                                        ; implicit-def: $vgpr1
	s_cbranch_vccnz .LBB6_7233
; %bb.7220:                             ;   in Loop: Header=BB6_5679 Depth=3
	v_mov_b32_e32 v3, 0
	v_mov_b32_e32 v1, 0
	s_and_saveexec_b64 s[38:39], s[40:41]
	s_cbranch_execz .LBB6_7226
; %bb.7221:                             ;   in Loop: Header=BB6_5679 Depth=3
	v_cmp_ne_u32_e32 vcc, s82, v2
	v_bfrev_b32_e32 v1, 1
	s_and_saveexec_b64 s[48:49], vcc
	s_cbranch_execz .LBB6_7225
; %bb.7222:                             ;   in Loop: Header=BB6_5679 Depth=3
	v_bfe_u32 v6, v20, 24, 7
	v_cmp_ne_u32_e32 vcc, s83, v6
	v_mov_b32_e32 v1, 0x7f800001
	s_and_saveexec_b64 s[50:51], vcc
	s_cbranch_execz .LBB6_7224
; %bb.7223:                             ;   in Loop: Header=BB6_5679 Depth=3
	v_and_b32_e32 v1, 7, v2
	v_lshrrev_b32_e32 v24, 3, v6
	v_cmp_gt_u32_e32 vcc, 8, v6
	v_ffbh_u32_e32 v6, v1
	v_min_u32_e32 v31, 32, v6
	v_subrev_u32_e32 v6, 28, v31
	v_lshlrev_b64 v[6:7], v6, v[2:3]
	v_sub_u32_e32 v7, 29, v31
	v_and_b32_e32 v6, 7, v6
	v_cndmask_b32_e32 v7, v24, v7, vcc
	v_cndmask_b32_e32 v1, v1, v6, vcc
	v_lshlrev_b32_e32 v6, 24, v2
	v_bfrev_b32_e32 v24, 60
	v_lshlrev_b32_e32 v1, 20, v1
	v_and_b32_e32 v6, 0x80000000, v6
	v_lshl_add_u32 v7, v7, 23, v24
	v_or3_b32 v1, v6, v7, v1
.LBB6_7224:                             ;   in Loop: Header=BB6_5679 Depth=3
	s_or_b64 exec, exec, s[50:51]
.LBB6_7225:                             ;   in Loop: Header=BB6_5679 Depth=3
	s_or_b64 exec, exec, s[48:49]
.LBB6_7226:                             ;   in Loop: Header=BB6_5679 Depth=3
	s_or_b64 exec, exec, s[38:39]
	v_cmp_lt_u32_e32 vcc, s63, v16
	s_and_saveexec_b64 s[38:39], vcc
	s_cbranch_execz .LBB6_7232
; %bb.7227:                             ;   in Loop: Header=BB6_5679 Depth=3
	v_cmp_ne_u32_e32 vcc, s82, v0
	v_bfrev_b32_e32 v3, 1
	s_and_saveexec_b64 s[48:49], vcc
	s_cbranch_execz .LBB6_7231
; %bb.7228:                             ;   in Loop: Header=BB6_5679 Depth=3
	v_bfe_u32 v6, v16, 24, 7
	v_cmp_ne_u32_e32 vcc, s83, v6
	v_mov_b32_e32 v3, 0x7f800001
	s_and_saveexec_b64 s[50:51], vcc
	s_cbranch_execz .LBB6_7230
; %bb.7229:                             ;   in Loop: Header=BB6_5679 Depth=3
	v_and_b32_e32 v3, 7, v0
	v_lshrrev_b32_e32 v24, 3, v6
	v_cmp_gt_u32_e32 vcc, 8, v6
	v_ffbh_u32_e32 v6, v3
	v_min_u32_e32 v31, 32, v6
	v_subrev_u32_e32 v6, 28, v31
	v_lshlrev_b64 v[6:7], v6, v[0:1]
	v_sub_u32_e32 v7, 29, v31
	v_and_b32_e32 v6, 7, v6
	v_cndmask_b32_e32 v7, v24, v7, vcc
	v_cndmask_b32_e32 v3, v3, v6, vcc
	v_lshlrev_b32_e32 v6, 24, v0
	v_bfrev_b32_e32 v24, 60
	v_lshlrev_b32_e32 v3, 20, v3
	v_and_b32_e32 v6, 0x80000000, v6
	v_lshl_add_u32 v7, v7, 23, v24
	v_or3_b32 v3, v6, v7, v3
.LBB6_7230:                             ;   in Loop: Header=BB6_5679 Depth=3
	s_or_b64 exec, exec, s[50:51]
.LBB6_7231:                             ;   in Loop: Header=BB6_5679 Depth=3
	s_or_b64 exec, exec, s[48:49]
.LBB6_7232:                             ;   in Loop: Header=BB6_5679 Depth=3
	s_or_b64 exec, exec, s[38:39]
	v_max_f32_e32 v3, v3, v3
	v_max_f32_e32 v1, v1, v1
	;; [unrolled: 1-line block ×3, first 2 shown]
	s_mov_b64 s[38:39], 0
.LBB6_7233:                             ;   in Loop: Header=BB6_5679 Depth=3
	s_and_b64 vcc, exec, s[38:39]
	s_cbranch_vccz .LBB6_7247
; %bb.7234:                             ;   in Loop: Header=BB6_5679 Depth=3
	v_mov_b32_e32 v3, 0
	v_mov_b32_e32 v1, 0
	s_and_saveexec_b64 s[38:39], s[40:41]
	s_cbranch_execz .LBB6_7240
; %bb.7235:                             ;   in Loop: Header=BB6_5679 Depth=3
	v_cmp_ne_u32_e32 vcc, s82, v2
	v_bfrev_b32_e32 v1, 1
	s_and_saveexec_b64 s[40:41], vcc
	s_cbranch_execz .LBB6_7239
; %bb.7236:                             ;   in Loop: Header=BB6_5679 Depth=3
	v_bfe_u32 v6, v20, 24, 7
	v_cmp_ne_u32_e32 vcc, s83, v6
	v_mov_b32_e32 v1, 0x7f800001
	s_and_saveexec_b64 s[48:49], vcc
	s_cbranch_execz .LBB6_7238
; %bb.7237:                             ;   in Loop: Header=BB6_5679 Depth=3
	v_and_b32_e32 v1, 7, v2
	v_lshrrev_b32_e32 v24, 3, v6
	v_cmp_gt_u32_e32 vcc, 8, v6
	v_ffbh_u32_e32 v6, v1
	v_min_u32_e32 v31, 32, v6
	v_subrev_u32_e32 v6, 28, v31
	v_lshlrev_b64 v[6:7], v6, v[2:3]
	v_sub_u32_e32 v7, 29, v31
	v_and_b32_e32 v6, 7, v6
	v_cndmask_b32_e32 v7, v24, v7, vcc
	v_cndmask_b32_e32 v1, v1, v6, vcc
	v_lshlrev_b32_e32 v2, 24, v2
	v_bfrev_b32_e32 v6, 60
	v_lshlrev_b32_e32 v1, 20, v1
	v_and_b32_e32 v2, 0x80000000, v2
	v_lshl_add_u32 v6, v7, 23, v6
	v_or3_b32 v1, v2, v6, v1
.LBB6_7238:                             ;   in Loop: Header=BB6_5679 Depth=3
	s_or_b64 exec, exec, s[48:49]
.LBB6_7239:                             ;   in Loop: Header=BB6_5679 Depth=3
	s_or_b64 exec, exec, s[40:41]
.LBB6_7240:                             ;   in Loop: Header=BB6_5679 Depth=3
	s_or_b64 exec, exec, s[38:39]
	v_cmp_lt_u32_e32 vcc, s63, v16
	s_and_saveexec_b64 s[40:41], vcc
	s_cbranch_execz .LBB6_7246
; %bb.7241:                             ;   in Loop: Header=BB6_5679 Depth=3
	v_cmp_ne_u32_e32 vcc, s82, v0
	v_bfrev_b32_e32 v3, 1
	s_and_saveexec_b64 s[38:39], vcc
	s_cbranch_execz .LBB6_7245
; %bb.7242:                             ;   in Loop: Header=BB6_5679 Depth=3
	v_bfe_u32 v2, v16, 24, 7
	v_cmp_ne_u32_e32 vcc, s83, v2
	v_mov_b32_e32 v3, 0x7f800001
	s_and_saveexec_b64 s[48:49], vcc
	s_cbranch_execz .LBB6_7244
; %bb.7243:                             ;   in Loop: Header=BB6_5679 Depth=3
	v_and_b32_e32 v6, 7, v0
	v_lshrrev_b32_e32 v7, 3, v2
	v_cmp_gt_u32_e32 vcc, 8, v2
	v_ffbh_u32_e32 v2, v6
	v_min_u32_e32 v24, 32, v2
	v_subrev_u32_e32 v2, 28, v24
	v_lshlrev_b64 v[2:3], v2, v[0:1]
	v_sub_u32_e32 v3, 29, v24
	v_and_b32_e32 v2, 7, v2
	v_cndmask_b32_e32 v3, v7, v3, vcc
	v_cndmask_b32_e32 v2, v6, v2, vcc
	v_lshlrev_b32_e32 v0, 24, v0
	v_bfrev_b32_e32 v6, 60
	v_lshlrev_b32_e32 v2, 20, v2
	v_and_b32_e32 v0, 0x80000000, v0
	v_lshl_add_u32 v3, v3, 23, v6
	v_or3_b32 v3, v0, v3, v2
.LBB6_7244:                             ;   in Loop: Header=BB6_5679 Depth=3
	s_or_b64 exec, exec, s[48:49]
.LBB6_7245:                             ;   in Loop: Header=BB6_5679 Depth=3
	s_or_b64 exec, exec, s[38:39]
.LBB6_7246:                             ;   in Loop: Header=BB6_5679 Depth=3
	s_or_b64 exec, exec, s[40:41]
	v_max_f32_e32 v0, v3, v3
	v_max_f32_e32 v1, v1, v1
	v_min_f32_e32 v1, v1, v0
.LBB6_7247:                             ;   in Loop: Header=BB6_5679 Depth=3
	v_and_b32_e32 v52, 0x7f800000, v1
	v_cmp_ne_u64_e32 vcc, s[76:77], v[52:53]
                                        ; implicit-def: $vgpr36
	s_and_saveexec_b64 s[40:41], vcc
	s_xor_b64 s[38:39], exec, s[40:41]
	s_cbranch_execz .LBB6_7261
; %bb.7248:                             ;   in Loop: Header=BB6_5679 Depth=3
	v_and_b32_e32 v52, 0x7fffffff, v1
	v_cmp_gt_u64_e32 vcc, s[78:79], v[52:53]
	v_and_b32_sdwa v3, v1, s82 dst_sel:DWORD dst_unused:UNUSED_PAD src0_sel:BYTE_3 src1_sel:DWORD
                                        ; implicit-def: $vgpr36
	s_and_saveexec_b64 s[40:41], vcc
	s_xor_b64 s[48:49], exec, s[40:41]
	s_cbranch_execz .LBB6_7258
; %bb.7249:                             ;   in Loop: Header=BB6_5679 Depth=3
	v_mov_b32_e32 v36, 0
	v_cmp_ne_u32_e32 vcc, 0, v1
	s_and_saveexec_b64 s[50:51], vcc
	s_cbranch_execz .LBB6_7257
; %bb.7250:                             ;   in Loop: Header=BB6_5679 Depth=3
	v_bfe_u32 v6, v1, 23, 8
	v_and_b32_e32 v0, 0x7fffff, v1
	v_cmp_gt_u32_e64 s[40:41], s85, v6
	v_sub_u32_e32 v1, 0x79, v6
	v_cmp_eq_u32_e32 vcc, 0, v6
	v_cndmask_b32_e64 v1, 0, v1, s[40:41]
	v_mov_b32_e32 v7, 0x78
	v_or_b32_e32 v2, 0x800000, v0
	v_cndmask_b32_e32 v7, v1, v7, vcc
	v_cndmask_b32_e32 v52, v2, v0, vcc
	v_add_u32_e32 v0, 20, v7
	v_lshlrev_b64 v[0:1], v0, -1
	v_add_u32_e32 v2, 19, v7
	v_lshlrev_b64 v[36:37], v2, 1
	v_bfi_b32 v1, v1, 0, 0
	v_bfi_b32 v0, v0, 0, v52
	v_cmp_eq_u64_e64 s[40:41], v[0:1], v[36:37]
	v_lshrrev_b64 v[0:1], v7, v[52:53]
	v_mov_b32_e32 v2, v1
	v_mov_b32_e32 v1, v0
	s_and_saveexec_b64 s[52:53], s[40:41]
; %bb.7251:                             ;   in Loop: Header=BB6_5679 Depth=3
	v_bfe_u32 v1, v0, 20, 1
	v_add_co_u32_e64 v1, s[40:41], v0, v1
	v_add_co_u32_e64 v1, s[40:41], -1, v1
; %bb.7252:                             ;   in Loop: Header=BB6_5679 Depth=3
	s_or_b64 exec, exec, s[52:53]
	v_add_u32_e32 v2, 0xffffff81, v6
	v_mov_b32_e32 v6, 0xffffff82
	v_cndmask_b32_e32 v2, v2, v6, vcc
	v_lshrrev_b32_e32 v6, 23, v0
	v_add3_u32 v7, v7, v2, v6
	v_add_u32_e32 v6, 6, v7
	v_and_b32_e32 v1, 0xfffff, v1
	v_add_u32_e32 v52, v1, v0
	v_cmp_ne_u32_e32 vcc, 0, v6
                                        ; implicit-def: $vgpr0_vgpr1
                                        ; implicit-def: $vgpr2
	s_and_saveexec_b64 s[40:41], vcc
	s_xor_b64 s[40:41], exec, s[40:41]
; %bb.7253:                             ;   in Loop: Header=BB6_5679 Depth=3
	v_cmp_lt_u64_e32 vcc, s[88:89], v[52:53]
	v_add_u32_e32 v0, 7, v7
	v_cndmask_b32_e32 v2, v6, v0, vcc
	v_cndmask_b32_e64 v0, 0, 1, vcc
	v_lshrrev_b64 v[0:1], v0, v[52:53]
; %bb.7254:                             ;   in Loop: Header=BB6_5679 Depth=3
	s_andn2_saveexec_b64 s[40:41], s[40:41]
; %bb.7255:                             ;   in Loop: Header=BB6_5679 Depth=3
	v_mov_b32_e32 v0, v52
	v_mov_b32_e32 v1, v53
	v_bfe_u32 v2, v52, 23, 1
; %bb.7256:                             ;   in Loop: Header=BB6_5679 Depth=3
	s_or_b64 exec, exec, s[40:41]
	v_lshrrev_b64 v[0:1], 20, v[0:1]
	v_cmp_gt_i32_e32 vcc, 16, v2
	v_cndmask_b32_e32 v1, 0, v1, vcc
	v_cndmask_b32_e32 v0, 7, v0, vcc
	v_cmp_eq_u64_e64 s[40:41], 0, v[0:1]
	v_min_i32_e32 v1, 15, v2
	v_lshlrev_b32_e32 v1, 3, v1
	v_cmp_eq_u32_e32 vcc, 0, v2
	v_and_b32_e32 v1, 0xf8, v1
	v_and_or_b32 v0, v0, 7, v1
	s_and_b64 s[40:41], vcc, s[40:41]
	v_cndmask_b32_e64 v0, v0, 0, s[40:41]
	v_or_b32_e32 v36, v0, v3
.LBB6_7257:                             ;   in Loop: Header=BB6_5679 Depth=3
	s_or_b64 exec, exec, s[50:51]
                                        ; implicit-def: $vgpr3
.LBB6_7258:                             ;   in Loop: Header=BB6_5679 Depth=3
	s_andn2_saveexec_b64 s[40:41], s[48:49]
; %bb.7259:                             ;   in Loop: Header=BB6_5679 Depth=3
	v_or_b32_e32 v36, 0x7e, v3
; %bb.7260:                             ;   in Loop: Header=BB6_5679 Depth=3
	s_or_b64 exec, exec, s[40:41]
                                        ; implicit-def: $vgpr1
.LBB6_7261:                             ;   in Loop: Header=BB6_5679 Depth=3
	s_andn2_saveexec_b64 s[40:41], s[38:39]
; %bb.7262:                             ;   in Loop: Header=BB6_5679 Depth=3
	v_or_b32_sdwa v36, v1, s83 dst_sel:DWORD dst_unused:UNUSED_PAD src0_sel:BYTE_3 src1_sel:DWORD
; %bb.7263:                             ;   in Loop: Header=BB6_5679 Depth=3
	s_or_b64 exec, exec, s[40:41]
	v_mov_b32_e32 v52, v21
	v_mov_b32_e32 v2, v17
	;; [unrolled: 1-line block ×3, first 2 shown]
	v_cmp_ne_u16_sdwa s[40:41], v21, v53 src0_sel:BYTE_0 src1_sel:DWORD
	s_and_b64 vcc, exec, s[28:29]
	s_mov_b64 s[38:39], -1
                                        ; implicit-def: $vgpr0
	s_cbranch_vccnz .LBB6_7277
; %bb.7264:                             ;   in Loop: Header=BB6_5679 Depth=3
	v_mov_b32_e32 v1, 0
	v_mov_b32_e32 v0, 0
	s_and_saveexec_b64 s[38:39], s[40:41]
	s_cbranch_execz .LBB6_7270
; %bb.7265:                             ;   in Loop: Header=BB6_5679 Depth=3
	v_cmp_ne_u16_sdwa vcc, v21, s82 src0_sel:BYTE_0 src1_sel:DWORD
	v_bfrev_b32_e32 v0, 1
	s_and_saveexec_b64 s[48:49], vcc
	s_cbranch_execz .LBB6_7269
; %bb.7266:                             ;   in Loop: Header=BB6_5679 Depth=3
	v_and_b32_e32 v6, 0x7f, v21
	v_cmp_ne_u32_e32 vcc, s83, v6
	v_mov_b32_e32 v0, 0x7f800001
	s_and_saveexec_b64 s[50:51], vcc
	s_cbranch_execz .LBB6_7268
; %bb.7267:                             ;   in Loop: Header=BB6_5679 Depth=3
	v_and_b32_e32 v0, 7, v21
	v_ffbh_u32_e32 v0, v0
	v_min_u32_e32 v0, 32, v0
	v_lshrrev_b32_e32 v7, 3, v6
	v_cmp_gt_u32_e32 vcc, 8, v6
	v_subrev_u32_e32 v6, 28, v0
	v_sub_u32_e32 v0, 29, v0
	v_cndmask_b32_e32 v6, 0, v6, vcc
	v_cndmask_b32_e32 v0, v7, v0, vcc
	v_lshlrev_b64 v[6:7], v6, v[52:53]
	v_lshlrev_b32_e32 v7, 24, v52
	v_lshlrev_b32_e32 v6, 20, v6
	v_bfrev_b32_e32 v24, 60
	v_and_b32_e32 v6, 0x700000, v6
	v_and_b32_e32 v7, 0x80000000, v7
	v_lshl_add_u32 v0, v0, 23, v24
	v_or3_b32 v0, v7, v0, v6
.LBB6_7268:                             ;   in Loop: Header=BB6_5679 Depth=3
	s_or_b64 exec, exec, s[50:51]
.LBB6_7269:                             ;   in Loop: Header=BB6_5679 Depth=3
	s_or_b64 exec, exec, s[48:49]
.LBB6_7270:                             ;   in Loop: Header=BB6_5679 Depth=3
	s_or_b64 exec, exec, s[38:39]
	v_cmp_ne_u16_sdwa vcc, v17, v53 src0_sel:BYTE_0 src1_sel:DWORD
	s_and_saveexec_b64 s[38:39], vcc
	s_cbranch_execz .LBB6_7276
; %bb.7271:                             ;   in Loop: Header=BB6_5679 Depth=3
	v_cmp_ne_u16_sdwa vcc, v17, s82 src0_sel:BYTE_0 src1_sel:DWORD
	v_bfrev_b32_e32 v1, 1
	s_and_saveexec_b64 s[48:49], vcc
	s_cbranch_execz .LBB6_7275
; %bb.7272:                             ;   in Loop: Header=BB6_5679 Depth=3
	v_and_b32_e32 v6, 0x7f, v17
	v_cmp_ne_u32_e32 vcc, s83, v6
	v_mov_b32_e32 v1, 0x7f800001
	s_and_saveexec_b64 s[50:51], vcc
	s_cbranch_execz .LBB6_7274
; %bb.7273:                             ;   in Loop: Header=BB6_5679 Depth=3
	v_and_b32_e32 v1, 7, v17
	v_ffbh_u32_e32 v1, v1
	v_min_u32_e32 v1, 32, v1
	v_lshrrev_b32_e32 v7, 3, v6
	v_cmp_gt_u32_e32 vcc, 8, v6
	v_subrev_u32_e32 v6, 28, v1
	v_sub_u32_e32 v1, 29, v1
	v_cndmask_b32_e32 v6, 0, v6, vcc
	v_cndmask_b32_e32 v1, v7, v1, vcc
	v_lshlrev_b64 v[6:7], v6, v[2:3]
	v_lshlrev_b32_e32 v7, 24, v2
	v_lshlrev_b32_e32 v6, 20, v6
	v_bfrev_b32_e32 v24, 60
	v_and_b32_e32 v6, 0x700000, v6
	v_and_b32_e32 v7, 0x80000000, v7
	v_lshl_add_u32 v1, v1, 23, v24
	v_or3_b32 v1, v7, v1, v6
.LBB6_7274:                             ;   in Loop: Header=BB6_5679 Depth=3
	s_or_b64 exec, exec, s[50:51]
.LBB6_7275:                             ;   in Loop: Header=BB6_5679 Depth=3
	s_or_b64 exec, exec, s[48:49]
.LBB6_7276:                             ;   in Loop: Header=BB6_5679 Depth=3
	s_or_b64 exec, exec, s[38:39]
	v_max_f32_e32 v1, v1, v1
	v_max_f32_e32 v0, v0, v0
	;; [unrolled: 1-line block ×3, first 2 shown]
	s_mov_b64 s[38:39], 0
.LBB6_7277:                             ;   in Loop: Header=BB6_5679 Depth=3
	s_and_b64 vcc, exec, s[38:39]
	s_cbranch_vccz .LBB6_7291
; %bb.7278:                             ;   in Loop: Header=BB6_5679 Depth=3
	v_mov_b32_e32 v1, 0
	v_mov_b32_e32 v0, 0
	s_and_saveexec_b64 s[38:39], s[40:41]
	s_cbranch_execz .LBB6_7284
; %bb.7279:                             ;   in Loop: Header=BB6_5679 Depth=3
	v_cmp_ne_u16_sdwa vcc, v21, s82 src0_sel:BYTE_0 src1_sel:DWORD
	v_bfrev_b32_e32 v0, 1
	s_and_saveexec_b64 s[40:41], vcc
	s_cbranch_execz .LBB6_7283
; %bb.7280:                             ;   in Loop: Header=BB6_5679 Depth=3
	v_and_b32_e32 v6, 0x7f, v21
	v_cmp_ne_u32_e32 vcc, s83, v6
	v_mov_b32_e32 v0, 0x7f800001
	s_and_saveexec_b64 s[48:49], vcc
	s_cbranch_execz .LBB6_7282
; %bb.7281:                             ;   in Loop: Header=BB6_5679 Depth=3
	v_and_b32_e32 v0, 7, v21
	v_ffbh_u32_e32 v0, v0
	v_min_u32_e32 v0, 32, v0
	v_lshrrev_b32_e32 v7, 3, v6
	v_cmp_gt_u32_e32 vcc, 8, v6
	v_subrev_u32_e32 v6, 28, v0
	v_sub_u32_e32 v0, 29, v0
	v_cndmask_b32_e32 v6, 0, v6, vcc
	v_cndmask_b32_e32 v0, v7, v0, vcc
	v_lshlrev_b64 v[6:7], v6, v[52:53]
	v_lshlrev_b32_e32 v7, 24, v52
	v_lshlrev_b32_e32 v6, 20, v6
	v_bfrev_b32_e32 v24, 60
	v_and_b32_e32 v6, 0x700000, v6
	v_and_b32_e32 v7, 0x80000000, v7
	v_lshl_add_u32 v0, v0, 23, v24
	v_or3_b32 v0, v7, v0, v6
.LBB6_7282:                             ;   in Loop: Header=BB6_5679 Depth=3
	s_or_b64 exec, exec, s[48:49]
.LBB6_7283:                             ;   in Loop: Header=BB6_5679 Depth=3
	s_or_b64 exec, exec, s[40:41]
.LBB6_7284:                             ;   in Loop: Header=BB6_5679 Depth=3
	s_or_b64 exec, exec, s[38:39]
	v_cmp_ne_u16_sdwa vcc, v17, v53 src0_sel:BYTE_0 src1_sel:DWORD
	s_and_saveexec_b64 s[40:41], vcc
	s_cbranch_execz .LBB6_7290
; %bb.7285:                             ;   in Loop: Header=BB6_5679 Depth=3
	v_cmp_ne_u16_sdwa vcc, v17, s82 src0_sel:BYTE_0 src1_sel:DWORD
	v_bfrev_b32_e32 v1, 1
	s_and_saveexec_b64 s[38:39], vcc
	s_cbranch_execz .LBB6_7289
; %bb.7286:                             ;   in Loop: Header=BB6_5679 Depth=3
	v_and_b32_e32 v6, 0x7f, v17
	v_cmp_ne_u32_e32 vcc, s83, v6
	v_mov_b32_e32 v1, 0x7f800001
	s_and_saveexec_b64 s[48:49], vcc
	s_cbranch_execz .LBB6_7288
; %bb.7287:                             ;   in Loop: Header=BB6_5679 Depth=3
	v_and_b32_e32 v1, 7, v17
	v_ffbh_u32_e32 v1, v1
	v_min_u32_e32 v1, 32, v1
	v_lshrrev_b32_e32 v7, 3, v6
	v_cmp_gt_u32_e32 vcc, 8, v6
	v_subrev_u32_e32 v6, 28, v1
	v_sub_u32_e32 v1, 29, v1
	v_cndmask_b32_e32 v6, 0, v6, vcc
	v_cndmask_b32_e32 v1, v7, v1, vcc
	v_lshlrev_b64 v[6:7], v6, v[2:3]
	v_bfrev_b32_e32 v7, 60
	v_lshlrev_b32_e32 v3, 20, v6
	v_lshlrev_b32_e32 v6, 24, v2
	v_and_b32_e32 v3, 0x700000, v3
	v_and_b32_e32 v6, 0x80000000, v6
	v_lshl_add_u32 v1, v1, 23, v7
	v_or3_b32 v1, v6, v1, v3
.LBB6_7288:                             ;   in Loop: Header=BB6_5679 Depth=3
	s_or_b64 exec, exec, s[48:49]
.LBB6_7289:                             ;   in Loop: Header=BB6_5679 Depth=3
	s_or_b64 exec, exec, s[38:39]
.LBB6_7290:                             ;   in Loop: Header=BB6_5679 Depth=3
	s_or_b64 exec, exec, s[40:41]
	v_max_f32_e32 v1, v1, v1
	v_max_f32_e32 v0, v0, v0
	v_min_f32_e32 v0, v0, v1
.LBB6_7291:                             ;   in Loop: Header=BB6_5679 Depth=3
	v_and_b32_e32 v6, 0x7f800000, v0
	v_mov_b32_e32 v7, v53
	v_cmp_ne_u64_e32 vcc, s[76:77], v[6:7]
                                        ; implicit-def: $vgpr37
	s_and_saveexec_b64 s[40:41], vcc
	s_xor_b64 s[38:39], exec, s[40:41]
	s_cbranch_execz .LBB6_7305
; %bb.7292:                             ;   in Loop: Header=BB6_5679 Depth=3
	v_and_b32_e32 v6, 0x7fffffff, v0
	v_mov_b32_e32 v7, v53
	v_cmp_gt_u64_e32 vcc, s[78:79], v[6:7]
	v_and_b32_sdwa v3, v0, s82 dst_sel:DWORD dst_unused:UNUSED_PAD src0_sel:BYTE_3 src1_sel:DWORD
                                        ; implicit-def: $vgpr37
	s_and_saveexec_b64 s[40:41], vcc
	s_xor_b64 s[48:49], exec, s[40:41]
	s_cbranch_execz .LBB6_7302
; %bb.7293:                             ;   in Loop: Header=BB6_5679 Depth=3
	v_mov_b32_e32 v37, 0
	v_cmp_ne_u32_e32 vcc, 0, v0
	s_and_saveexec_b64 s[50:51], vcc
	s_cbranch_execz .LBB6_7301
; %bb.7294:                             ;   in Loop: Header=BB6_5679 Depth=3
	v_bfe_u32 v24, v0, 23, 8
	v_and_b32_e32 v1, 0x7fffff, v0
	v_cmp_gt_u32_e64 s[40:41], s85, v24
	v_sub_u32_e32 v0, 0x79, v24
	v_cmp_eq_u32_e32 vcc, 0, v24
	v_cndmask_b32_e64 v0, 0, v0, s[40:41]
	v_mov_b32_e32 v7, 0x78
	v_or_b32_e32 v6, 0x800000, v1
	v_cndmask_b32_e32 v37, v0, v7, vcc
	v_cndmask_b32_e32 v0, v6, v1, vcc
	v_add_u32_e32 v6, 20, v37
	v_lshlrev_b64 v[6:7], v6, -1
	v_mov_b32_e32 v1, v53
	v_add_u32_e32 v31, 19, v37
	v_bfi_b32 v6, v6, 0, v0
	v_lshlrev_b64 v[38:39], v31, 1
	v_lshrrev_b64 v[0:1], v37, v[0:1]
	v_bfi_b32 v7, v7, 0, 0
	v_cmp_eq_u64_e64 s[40:41], v[6:7], v[38:39]
	v_mov_b32_e32 v7, v1
	v_mov_b32_e32 v6, v0
	s_and_saveexec_b64 s[52:53], s[40:41]
; %bb.7295:                             ;   in Loop: Header=BB6_5679 Depth=3
	v_bfe_u32 v1, v0, 20, 1
	v_add_co_u32_e64 v1, s[40:41], v0, v1
	v_add_co_u32_e64 v6, s[40:41], -1, v1
; %bb.7296:                             ;   in Loop: Header=BB6_5679 Depth=3
	s_or_b64 exec, exec, s[52:53]
	v_add_u32_e32 v1, 0xffffff81, v24
	v_mov_b32_e32 v7, 0xffffff82
	v_cndmask_b32_e32 v1, v1, v7, vcc
	v_lshrrev_b32_e32 v7, 23, v0
	v_add3_u32 v24, v37, v1, v7
	v_add_u32_e32 v7, 6, v24
	v_and_b32_e32 v1, 0xfffff, v6
	v_add_u32_e32 v0, v1, v0
	v_mov_b32_e32 v1, v53
	v_cmp_ne_u32_e32 vcc, 0, v7
                                        ; implicit-def: $vgpr6
	s_and_saveexec_b64 s[40:41], vcc
	s_xor_b64 s[40:41], exec, s[40:41]
; %bb.7297:                             ;   in Loop: Header=BB6_5679 Depth=3
	v_cmp_lt_u64_e32 vcc, s[88:89], v[0:1]
	v_add_u32_e32 v6, 7, v24
	v_cndmask_b32_e32 v6, v7, v6, vcc
	v_cndmask_b32_e64 v7, 0, 1, vcc
	v_lshrrev_b64 v[0:1], v7, v[0:1]
; %bb.7298:                             ;   in Loop: Header=BB6_5679 Depth=3
	s_andn2_saveexec_b64 s[40:41], s[40:41]
; %bb.7299:                             ;   in Loop: Header=BB6_5679 Depth=3
	v_bfe_u32 v6, v0, 23, 1
; %bb.7300:                             ;   in Loop: Header=BB6_5679 Depth=3
	s_or_b64 exec, exec, s[40:41]
	v_lshrrev_b64 v[0:1], 20, v[0:1]
	v_cmp_gt_i32_e32 vcc, 16, v6
	v_cndmask_b32_e32 v1, 0, v1, vcc
	v_cndmask_b32_e32 v0, 7, v0, vcc
	v_cmp_eq_u64_e64 s[40:41], 0, v[0:1]
	v_min_i32_e32 v1, 15, v6
	v_lshlrev_b32_e32 v1, 3, v1
	v_cmp_eq_u32_e32 vcc, 0, v6
	v_and_b32_e32 v1, 0xf8, v1
	v_and_or_b32 v0, v0, 7, v1
	s_and_b64 s[40:41], vcc, s[40:41]
	v_cndmask_b32_e64 v0, v0, 0, s[40:41]
	v_or_b32_e32 v37, v0, v3
.LBB6_7301:                             ;   in Loop: Header=BB6_5679 Depth=3
	s_or_b64 exec, exec, s[50:51]
                                        ; implicit-def: $vgpr3
.LBB6_7302:                             ;   in Loop: Header=BB6_5679 Depth=3
	s_andn2_saveexec_b64 s[40:41], s[48:49]
; %bb.7303:                             ;   in Loop: Header=BB6_5679 Depth=3
	v_or_b32_e32 v37, 0x7e, v3
; %bb.7304:                             ;   in Loop: Header=BB6_5679 Depth=3
	s_or_b64 exec, exec, s[40:41]
                                        ; implicit-def: $vgpr0
.LBB6_7305:                             ;   in Loop: Header=BB6_5679 Depth=3
	s_andn2_saveexec_b64 s[40:41], s[38:39]
; %bb.7306:                             ;   in Loop: Header=BB6_5679 Depth=3
	v_or_b32_sdwa v37, v0, s83 dst_sel:DWORD dst_unused:UNUSED_PAD src0_sel:BYTE_3 src1_sel:DWORD
; %bb.7307:                             ;   in Loop: Header=BB6_5679 Depth=3
	s_or_b64 exec, exec, s[40:41]
	v_lshrrev_b16_e32 v24, 8, v52
	v_lshrrev_b16_e32 v3, 8, v2
	v_cmp_ne_u16_e64 s[40:41], 0, v24
	s_and_b64 vcc, exec, s[28:29]
	s_mov_b64 s[38:39], -1
                                        ; implicit-def: $vgpr0
	s_cbranch_vccnz .LBB6_7321
; %bb.7308:                             ;   in Loop: Header=BB6_5679 Depth=3
	v_mov_b32_e32 v1, 0
	v_mov_b32_e32 v0, 0
	s_and_saveexec_b64 s[38:39], s[40:41]
	s_cbranch_execz .LBB6_7314
; %bb.7309:                             ;   in Loop: Header=BB6_5679 Depth=3
	v_cmp_ne_u16_e32 vcc, s82, v24
	v_bfrev_b32_e32 v0, 1
	s_and_saveexec_b64 s[48:49], vcc
	s_cbranch_execz .LBB6_7313
; %bb.7310:                             ;   in Loop: Header=BB6_5679 Depth=3
	v_and_b32_e32 v6, 0x7f, v24
	v_cmp_ne_u32_e32 vcc, s83, v6
	v_mov_b32_e32 v0, 0x7f800001
	s_and_saveexec_b64 s[50:51], vcc
	s_cbranch_execz .LBB6_7312
; %bb.7311:                             ;   in Loop: Header=BB6_5679 Depth=3
	v_and_b32_e32 v0, 7, v24
	v_lshrrev_b32_e32 v31, 3, v6
	v_cmp_gt_u32_e32 vcc, 8, v6
	v_ffbh_u32_e32 v6, v0
	v_min_u32_e32 v32, 32, v6
	v_subrev_u32_e32 v6, 28, v32
	v_lshlrev_b64 v[6:7], v6, v[24:25]
	v_sub_u32_e32 v7, 29, v32
	v_and_b32_e32 v6, 7, v6
	v_cndmask_b32_e32 v7, v31, v7, vcc
	v_cndmask_b32_e32 v0, v0, v6, vcc
	v_lshlrev_b32_e32 v6, 16, v52
	v_bfrev_b32_e32 v31, 60
	v_lshlrev_b32_e32 v0, 20, v0
	v_and_b32_e32 v6, 0x80000000, v6
	v_lshl_add_u32 v7, v7, 23, v31
	v_or3_b32 v0, v6, v7, v0
.LBB6_7312:                             ;   in Loop: Header=BB6_5679 Depth=3
	s_or_b64 exec, exec, s[50:51]
.LBB6_7313:                             ;   in Loop: Header=BB6_5679 Depth=3
	s_or_b64 exec, exec, s[48:49]
.LBB6_7314:                             ;   in Loop: Header=BB6_5679 Depth=3
	s_or_b64 exec, exec, s[38:39]
	v_cmp_ne_u16_e32 vcc, 0, v3
	s_and_saveexec_b64 s[38:39], vcc
	s_cbranch_execz .LBB6_7320
; %bb.7315:                             ;   in Loop: Header=BB6_5679 Depth=3
	v_cmp_ne_u16_e32 vcc, s82, v3
	v_bfrev_b32_e32 v1, 1
	s_and_saveexec_b64 s[48:49], vcc
	s_cbranch_execz .LBB6_7319
; %bb.7316:                             ;   in Loop: Header=BB6_5679 Depth=3
	v_and_b32_e32 v6, 0x7f, v3
	v_cmp_ne_u32_e32 vcc, s83, v6
	v_mov_b32_e32 v1, 0x7f800001
	s_and_saveexec_b64 s[50:51], vcc
	s_cbranch_execz .LBB6_7318
; %bb.7317:                             ;   in Loop: Header=BB6_5679 Depth=3
	v_and_b32_e32 v1, 7, v3
	v_lshrrev_b32_e32 v31, 3, v6
	v_cmp_gt_u32_e32 vcc, 8, v6
	v_ffbh_u32_e32 v6, v1
	v_min_u32_e32 v32, 32, v6
	v_subrev_u32_e32 v6, 28, v32
	v_lshlrev_b64 v[6:7], v6, v[3:4]
	v_sub_u32_e32 v7, 29, v32
	v_and_b32_e32 v6, 7, v6
	v_cndmask_b32_e32 v7, v31, v7, vcc
	v_cndmask_b32_e32 v1, v1, v6, vcc
	v_lshlrev_b32_e32 v6, 16, v2
	v_bfrev_b32_e32 v31, 60
	v_lshlrev_b32_e32 v1, 20, v1
	v_and_b32_e32 v6, 0x80000000, v6
	v_lshl_add_u32 v7, v7, 23, v31
	v_or3_b32 v1, v6, v7, v1
.LBB6_7318:                             ;   in Loop: Header=BB6_5679 Depth=3
	s_or_b64 exec, exec, s[50:51]
.LBB6_7319:                             ;   in Loop: Header=BB6_5679 Depth=3
	s_or_b64 exec, exec, s[48:49]
.LBB6_7320:                             ;   in Loop: Header=BB6_5679 Depth=3
	s_or_b64 exec, exec, s[38:39]
	v_max_f32_e32 v1, v1, v1
	v_max_f32_e32 v0, v0, v0
	v_max_f32_e32 v0, v0, v1
	s_mov_b64 s[38:39], 0
.LBB6_7321:                             ;   in Loop: Header=BB6_5679 Depth=3
	s_and_b64 vcc, exec, s[38:39]
	s_cbranch_vccz .LBB6_7335
; %bb.7322:                             ;   in Loop: Header=BB6_5679 Depth=3
	v_mov_b32_e32 v1, 0
	v_mov_b32_e32 v0, 0
	s_and_saveexec_b64 s[38:39], s[40:41]
	s_cbranch_execz .LBB6_7328
; %bb.7323:                             ;   in Loop: Header=BB6_5679 Depth=3
	v_cmp_ne_u16_e32 vcc, s82, v24
	v_bfrev_b32_e32 v0, 1
	s_and_saveexec_b64 s[40:41], vcc
	s_cbranch_execz .LBB6_7327
; %bb.7324:                             ;   in Loop: Header=BB6_5679 Depth=3
	v_and_b32_e32 v6, 0x7f, v24
	v_cmp_ne_u32_e32 vcc, s83, v6
	v_mov_b32_e32 v0, 0x7f800001
	s_and_saveexec_b64 s[48:49], vcc
	s_cbranch_execz .LBB6_7326
; %bb.7325:                             ;   in Loop: Header=BB6_5679 Depth=3
	v_and_b32_e32 v0, 7, v24
	v_lshrrev_b32_e32 v31, 3, v6
	v_cmp_gt_u32_e32 vcc, 8, v6
	v_ffbh_u32_e32 v6, v0
	v_min_u32_e32 v32, 32, v6
	v_subrev_u32_e32 v6, 28, v32
	v_lshlrev_b64 v[6:7], v6, v[24:25]
	v_sub_u32_e32 v7, 29, v32
	v_and_b32_e32 v6, 7, v6
	v_cndmask_b32_e32 v7, v31, v7, vcc
	v_cndmask_b32_e32 v0, v0, v6, vcc
	v_lshlrev_b32_e32 v6, 16, v52
	v_bfrev_b32_e32 v24, 60
	v_lshlrev_b32_e32 v0, 20, v0
	v_and_b32_e32 v6, 0x80000000, v6
	v_lshl_add_u32 v7, v7, 23, v24
	v_or3_b32 v0, v6, v7, v0
.LBB6_7326:                             ;   in Loop: Header=BB6_5679 Depth=3
	s_or_b64 exec, exec, s[48:49]
.LBB6_7327:                             ;   in Loop: Header=BB6_5679 Depth=3
	s_or_b64 exec, exec, s[40:41]
.LBB6_7328:                             ;   in Loop: Header=BB6_5679 Depth=3
	s_or_b64 exec, exec, s[38:39]
	v_cmp_ne_u16_e32 vcc, 0, v3
	s_and_saveexec_b64 s[40:41], vcc
	s_cbranch_execz .LBB6_7334
; %bb.7329:                             ;   in Loop: Header=BB6_5679 Depth=3
	v_cmp_ne_u16_e32 vcc, s82, v3
	v_bfrev_b32_e32 v1, 1
	s_and_saveexec_b64 s[38:39], vcc
	s_cbranch_execz .LBB6_7333
; %bb.7330:                             ;   in Loop: Header=BB6_5679 Depth=3
	v_and_b32_e32 v6, 0x7f, v3
	v_cmp_ne_u32_e32 vcc, s83, v6
	v_mov_b32_e32 v1, 0x7f800001
	s_and_saveexec_b64 s[48:49], vcc
	s_cbranch_execz .LBB6_7332
; %bb.7331:                             ;   in Loop: Header=BB6_5679 Depth=3
	v_and_b32_e32 v1, 7, v3
	v_lshrrev_b32_e32 v24, 3, v6
	v_cmp_gt_u32_e32 vcc, 8, v6
	v_ffbh_u32_e32 v6, v1
	v_min_u32_e32 v31, 32, v6
	v_subrev_u32_e32 v6, 28, v31
	v_lshlrev_b64 v[6:7], v6, v[3:4]
	v_sub_u32_e32 v3, 29, v31
	v_and_b32_e32 v6, 7, v6
	v_cndmask_b32_e32 v3, v24, v3, vcc
	v_cndmask_b32_e32 v1, v1, v6, vcc
	v_lshlrev_b32_e32 v2, 16, v2
	v_bfrev_b32_e32 v6, 60
	v_lshlrev_b32_e32 v1, 20, v1
	v_and_b32_e32 v2, 0x80000000, v2
	v_lshl_add_u32 v3, v3, 23, v6
	v_or3_b32 v1, v2, v3, v1
.LBB6_7332:                             ;   in Loop: Header=BB6_5679 Depth=3
	s_or_b64 exec, exec, s[48:49]
.LBB6_7333:                             ;   in Loop: Header=BB6_5679 Depth=3
	s_or_b64 exec, exec, s[38:39]
.LBB6_7334:                             ;   in Loop: Header=BB6_5679 Depth=3
	s_or_b64 exec, exec, s[40:41]
	v_max_f32_e32 v1, v1, v1
	v_max_f32_e32 v0, v0, v0
	v_min_f32_e32 v0, v0, v1
.LBB6_7335:                             ;   in Loop: Header=BB6_5679 Depth=3
	v_and_b32_e32 v52, 0x7f800000, v0
	v_cmp_ne_u64_e32 vcc, s[76:77], v[52:53]
	buffer_store_dword v34, off, s[0:3], s33 offset:296 ; 4-byte Folded Spill
                                        ; implicit-def: $vgpr24
	s_and_saveexec_b64 s[40:41], vcc
	s_xor_b64 s[38:39], exec, s[40:41]
	s_cbranch_execz .LBB6_7349
; %bb.7336:                             ;   in Loop: Header=BB6_5679 Depth=3
	v_and_b32_e32 v52, 0x7fffffff, v0
	v_cmp_gt_u64_e32 vcc, s[78:79], v[52:53]
	v_and_b32_sdwa v3, v0, s82 dst_sel:DWORD dst_unused:UNUSED_PAD src0_sel:BYTE_3 src1_sel:DWORD
                                        ; implicit-def: $vgpr24
	s_and_saveexec_b64 s[40:41], vcc
	s_xor_b64 s[48:49], exec, s[40:41]
	s_cbranch_execz .LBB6_7346
; %bb.7337:                             ;   in Loop: Header=BB6_5679 Depth=3
	v_mov_b32_e32 v24, 0
	v_cmp_ne_u32_e32 vcc, 0, v0
	s_and_saveexec_b64 s[50:51], vcc
	s_cbranch_execz .LBB6_7345
; %bb.7338:                             ;   in Loop: Header=BB6_5679 Depth=3
	v_bfe_u32 v6, v0, 23, 8
	v_and_b32_e32 v1, 0x7fffff, v0
	v_cmp_gt_u32_e64 s[40:41], s85, v6
	v_sub_u32_e32 v0, 0x79, v6
	v_cmp_eq_u32_e32 vcc, 0, v6
	v_cndmask_b32_e64 v0, 0, v0, s[40:41]
	v_mov_b32_e32 v7, 0x78
	v_cndmask_b32_e32 v7, v0, v7, vcc
	v_or_b32_e32 v2, 0x800000, v1
	v_add_u32_e32 v0, 20, v7
	v_cndmask_b32_e32 v52, v2, v1, vcc
	v_lshlrev_b64 v[0:1], v0, -1
	v_add_u32_e32 v2, 19, v7
	v_lshlrev_b64 v[38:39], v2, 1
	v_bfi_b32 v1, v1, 0, 0
	v_bfi_b32 v0, v0, 0, v52
	v_cmp_eq_u64_e64 s[40:41], v[0:1], v[38:39]
	v_lshrrev_b64 v[0:1], v7, v[52:53]
	v_mov_b32_e32 v2, v1
	v_mov_b32_e32 v1, v0
	s_and_saveexec_b64 s[52:53], s[40:41]
; %bb.7339:                             ;   in Loop: Header=BB6_5679 Depth=3
	v_bfe_u32 v1, v0, 20, 1
	v_add_co_u32_e64 v1, s[40:41], v0, v1
	v_add_co_u32_e64 v1, s[40:41], -1, v1
; %bb.7340:                             ;   in Loop: Header=BB6_5679 Depth=3
	s_or_b64 exec, exec, s[52:53]
	v_add_u32_e32 v2, 0xffffff81, v6
	v_mov_b32_e32 v6, 0xffffff82
	v_cndmask_b32_e32 v2, v2, v6, vcc
	v_lshrrev_b32_e32 v6, 23, v0
	v_add3_u32 v7, v7, v2, v6
	v_add_u32_e32 v6, 6, v7
	v_and_b32_e32 v1, 0xfffff, v1
	v_add_u32_e32 v52, v1, v0
	v_cmp_ne_u32_e32 vcc, 0, v6
                                        ; implicit-def: $vgpr0_vgpr1
                                        ; implicit-def: $vgpr2
	s_and_saveexec_b64 s[40:41], vcc
	s_xor_b64 s[40:41], exec, s[40:41]
; %bb.7341:                             ;   in Loop: Header=BB6_5679 Depth=3
	v_cmp_lt_u64_e32 vcc, s[88:89], v[52:53]
	v_add_u32_e32 v0, 7, v7
	v_cndmask_b32_e32 v2, v6, v0, vcc
	v_cndmask_b32_e64 v0, 0, 1, vcc
	v_lshrrev_b64 v[0:1], v0, v[52:53]
; %bb.7342:                             ;   in Loop: Header=BB6_5679 Depth=3
	s_andn2_saveexec_b64 s[40:41], s[40:41]
; %bb.7343:                             ;   in Loop: Header=BB6_5679 Depth=3
	v_mov_b32_e32 v0, v52
	v_mov_b32_e32 v1, v53
	v_bfe_u32 v2, v52, 23, 1
; %bb.7344:                             ;   in Loop: Header=BB6_5679 Depth=3
	s_or_b64 exec, exec, s[40:41]
	v_lshrrev_b64 v[0:1], 20, v[0:1]
	v_cmp_gt_i32_e32 vcc, 16, v2
	v_cndmask_b32_e32 v1, 0, v1, vcc
	v_cndmask_b32_e32 v0, 7, v0, vcc
	v_cmp_eq_u64_e64 s[40:41], 0, v[0:1]
	v_min_i32_e32 v1, 15, v2
	v_lshlrev_b32_e32 v1, 3, v1
	v_cmp_eq_u32_e32 vcc, 0, v2
	v_and_b32_e32 v1, 0xf8, v1
	v_and_or_b32 v0, v0, 7, v1
	s_and_b64 s[40:41], vcc, s[40:41]
	v_cndmask_b32_e64 v0, v0, 0, s[40:41]
	v_or_b32_e32 v24, v0, v3
.LBB6_7345:                             ;   in Loop: Header=BB6_5679 Depth=3
	s_or_b64 exec, exec, s[50:51]
                                        ; implicit-def: $vgpr3
.LBB6_7346:                             ;   in Loop: Header=BB6_5679 Depth=3
	s_andn2_saveexec_b64 s[40:41], s[48:49]
; %bb.7347:                             ;   in Loop: Header=BB6_5679 Depth=3
	v_or_b32_e32 v24, 0x7e, v3
; %bb.7348:                             ;   in Loop: Header=BB6_5679 Depth=3
	s_or_b64 exec, exec, s[40:41]
                                        ; implicit-def: $vgpr0
.LBB6_7349:                             ;   in Loop: Header=BB6_5679 Depth=3
	s_andn2_saveexec_b64 s[40:41], s[38:39]
; %bb.7350:                             ;   in Loop: Header=BB6_5679 Depth=3
	v_or_b32_sdwa v24, v0, s83 dst_sel:DWORD dst_unused:UNUSED_PAD src0_sel:BYTE_3 src1_sel:DWORD
; %bb.7351:                             ;   in Loop: Header=BB6_5679 Depth=3
	s_or_b64 exec, exec, s[40:41]
	v_lshrrev_b32_e32 v2, 16, v21
	v_lshrrev_b32_e32 v0, 16, v17
	v_cmp_ne_u16_sdwa s[40:41], v2, v53 src0_sel:BYTE_0 src1_sel:DWORD
	s_and_b64 vcc, exec, s[28:29]
	s_mov_b64 s[38:39], -1
                                        ; implicit-def: $vgpr1
	s_cbranch_vccnz .LBB6_7365
; %bb.7352:                             ;   in Loop: Header=BB6_5679 Depth=3
	v_mov_b32_e32 v3, 0
	v_mov_b32_e32 v1, 0
	s_and_saveexec_b64 s[38:39], s[40:41]
	s_cbranch_execz .LBB6_7358
; %bb.7353:                             ;   in Loop: Header=BB6_5679 Depth=3
	v_cmp_ne_u16_sdwa vcc, v2, s82 src0_sel:BYTE_0 src1_sel:DWORD
	v_bfrev_b32_e32 v1, 1
	s_and_saveexec_b64 s[48:49], vcc
	s_cbranch_execz .LBB6_7357
; %bb.7354:                             ;   in Loop: Header=BB6_5679 Depth=3
	v_bfe_u32 v6, v21, 16, 7
	v_cmp_ne_u32_e32 vcc, s83, v6
	v_mov_b32_e32 v1, 0x7f800001
	s_and_saveexec_b64 s[50:51], vcc
	s_cbranch_execz .LBB6_7356
; %bb.7355:                             ;   in Loop: Header=BB6_5679 Depth=3
	v_and_b32_e32 v1, 7, v2
	v_lshrrev_b32_e32 v31, 3, v6
	v_cmp_gt_u32_e32 vcc, 8, v6
	v_ffbh_u32_e32 v6, v1
	v_min_u32_e32 v32, 32, v6
	v_subrev_u32_e32 v6, 28, v32
	v_lshlrev_b64 v[6:7], v6, v[2:3]
	v_sub_u32_e32 v7, 29, v32
	v_and_b32_e32 v6, 7, v6
	v_cndmask_b32_e32 v7, v31, v7, vcc
	v_cndmask_b32_e32 v1, v1, v6, vcc
	v_lshlrev_b32_e32 v6, 24, v2
	v_bfrev_b32_e32 v31, 60
	v_lshlrev_b32_e32 v1, 20, v1
	v_and_b32_e32 v6, 0x80000000, v6
	v_lshl_add_u32 v7, v7, 23, v31
	v_or3_b32 v1, v6, v7, v1
.LBB6_7356:                             ;   in Loop: Header=BB6_5679 Depth=3
	s_or_b64 exec, exec, s[50:51]
.LBB6_7357:                             ;   in Loop: Header=BB6_5679 Depth=3
	s_or_b64 exec, exec, s[48:49]
.LBB6_7358:                             ;   in Loop: Header=BB6_5679 Depth=3
	s_or_b64 exec, exec, s[38:39]
	v_cmp_ne_u16_sdwa vcc, v0, v53 src0_sel:BYTE_0 src1_sel:DWORD
	s_and_saveexec_b64 s[38:39], vcc
	s_cbranch_execz .LBB6_7364
; %bb.7359:                             ;   in Loop: Header=BB6_5679 Depth=3
	v_cmp_ne_u16_sdwa vcc, v0, s82 src0_sel:BYTE_0 src1_sel:DWORD
	v_bfrev_b32_e32 v3, 1
	s_and_saveexec_b64 s[48:49], vcc
	s_cbranch_execz .LBB6_7363
; %bb.7360:                             ;   in Loop: Header=BB6_5679 Depth=3
	v_bfe_u32 v6, v17, 16, 7
	v_cmp_ne_u32_e32 vcc, s83, v6
	v_mov_b32_e32 v3, 0x7f800001
	s_and_saveexec_b64 s[50:51], vcc
	s_cbranch_execz .LBB6_7362
; %bb.7361:                             ;   in Loop: Header=BB6_5679 Depth=3
	v_and_b32_e32 v3, 7, v0
	v_lshrrev_b32_e32 v31, 3, v6
	v_cmp_gt_u32_e32 vcc, 8, v6
	v_ffbh_u32_e32 v6, v3
	v_min_u32_e32 v32, 32, v6
	v_subrev_u32_e32 v6, 28, v32
	v_lshlrev_b64 v[6:7], v6, v[0:1]
	v_sub_u32_e32 v7, 29, v32
	v_and_b32_e32 v6, 7, v6
	v_cndmask_b32_e32 v7, v31, v7, vcc
	v_cndmask_b32_e32 v3, v3, v6, vcc
	v_lshlrev_b32_e32 v6, 24, v0
	v_bfrev_b32_e32 v31, 60
	v_lshlrev_b32_e32 v3, 20, v3
	v_and_b32_e32 v6, 0x80000000, v6
	v_lshl_add_u32 v7, v7, 23, v31
	v_or3_b32 v3, v6, v7, v3
.LBB6_7362:                             ;   in Loop: Header=BB6_5679 Depth=3
	s_or_b64 exec, exec, s[50:51]
.LBB6_7363:                             ;   in Loop: Header=BB6_5679 Depth=3
	s_or_b64 exec, exec, s[48:49]
.LBB6_7364:                             ;   in Loop: Header=BB6_5679 Depth=3
	s_or_b64 exec, exec, s[38:39]
	v_max_f32_e32 v3, v3, v3
	v_max_f32_e32 v1, v1, v1
	;; [unrolled: 1-line block ×3, first 2 shown]
	s_mov_b64 s[38:39], 0
.LBB6_7365:                             ;   in Loop: Header=BB6_5679 Depth=3
	s_and_b64 vcc, exec, s[38:39]
	s_cbranch_vccz .LBB6_7379
; %bb.7366:                             ;   in Loop: Header=BB6_5679 Depth=3
	v_mov_b32_e32 v3, 0
	v_mov_b32_e32 v1, 0
	s_and_saveexec_b64 s[38:39], s[40:41]
	s_cbranch_execz .LBB6_7372
; %bb.7367:                             ;   in Loop: Header=BB6_5679 Depth=3
	v_cmp_ne_u16_sdwa vcc, v2, s82 src0_sel:BYTE_0 src1_sel:DWORD
	v_bfrev_b32_e32 v1, 1
	s_and_saveexec_b64 s[40:41], vcc
	s_cbranch_execz .LBB6_7371
; %bb.7368:                             ;   in Loop: Header=BB6_5679 Depth=3
	v_bfe_u32 v6, v21, 16, 7
	v_cmp_ne_u32_e32 vcc, s83, v6
	v_mov_b32_e32 v1, 0x7f800001
	s_and_saveexec_b64 s[48:49], vcc
	s_cbranch_execz .LBB6_7370
; %bb.7369:                             ;   in Loop: Header=BB6_5679 Depth=3
	v_and_b32_e32 v1, 7, v2
	v_lshrrev_b32_e32 v31, 3, v6
	v_cmp_gt_u32_e32 vcc, 8, v6
	v_ffbh_u32_e32 v6, v1
	v_min_u32_e32 v32, 32, v6
	v_subrev_u32_e32 v6, 28, v32
	v_lshlrev_b64 v[6:7], v6, v[2:3]
	v_sub_u32_e32 v7, 29, v32
	v_and_b32_e32 v6, 7, v6
	v_cndmask_b32_e32 v7, v31, v7, vcc
	v_cndmask_b32_e32 v1, v1, v6, vcc
	v_lshlrev_b32_e32 v2, 24, v2
	v_bfrev_b32_e32 v6, 60
	v_lshlrev_b32_e32 v1, 20, v1
	v_and_b32_e32 v2, 0x80000000, v2
	v_lshl_add_u32 v6, v7, 23, v6
	v_or3_b32 v1, v2, v6, v1
.LBB6_7370:                             ;   in Loop: Header=BB6_5679 Depth=3
	s_or_b64 exec, exec, s[48:49]
.LBB6_7371:                             ;   in Loop: Header=BB6_5679 Depth=3
	s_or_b64 exec, exec, s[40:41]
.LBB6_7372:                             ;   in Loop: Header=BB6_5679 Depth=3
	s_or_b64 exec, exec, s[38:39]
	v_cmp_ne_u16_sdwa vcc, v0, v53 src0_sel:BYTE_0 src1_sel:DWORD
	s_and_saveexec_b64 s[40:41], vcc
	s_cbranch_execz .LBB6_7378
; %bb.7373:                             ;   in Loop: Header=BB6_5679 Depth=3
	v_cmp_ne_u16_sdwa vcc, v0, s82 src0_sel:BYTE_0 src1_sel:DWORD
	v_bfrev_b32_e32 v3, 1
	s_and_saveexec_b64 s[38:39], vcc
	s_cbranch_execz .LBB6_7377
; %bb.7374:                             ;   in Loop: Header=BB6_5679 Depth=3
	v_bfe_u32 v2, v17, 16, 7
	v_cmp_ne_u32_e32 vcc, s83, v2
	v_mov_b32_e32 v3, 0x7f800001
	s_and_saveexec_b64 s[48:49], vcc
	s_cbranch_execz .LBB6_7376
; %bb.7375:                             ;   in Loop: Header=BB6_5679 Depth=3
	v_and_b32_e32 v6, 7, v0
	v_lshrrev_b32_e32 v7, 3, v2
	v_cmp_gt_u32_e32 vcc, 8, v2
	v_ffbh_u32_e32 v2, v6
	v_min_u32_e32 v31, 32, v2
	v_subrev_u32_e32 v2, 28, v31
	v_lshlrev_b64 v[2:3], v2, v[0:1]
	v_sub_u32_e32 v3, 29, v31
	v_and_b32_e32 v2, 7, v2
	v_cndmask_b32_e32 v3, v7, v3, vcc
	v_cndmask_b32_e32 v2, v6, v2, vcc
	v_lshlrev_b32_e32 v0, 24, v0
	v_bfrev_b32_e32 v6, 60
	v_lshlrev_b32_e32 v2, 20, v2
	v_and_b32_e32 v0, 0x80000000, v0
	v_lshl_add_u32 v3, v3, 23, v6
	v_or3_b32 v3, v0, v3, v2
.LBB6_7376:                             ;   in Loop: Header=BB6_5679 Depth=3
	s_or_b64 exec, exec, s[48:49]
.LBB6_7377:                             ;   in Loop: Header=BB6_5679 Depth=3
	s_or_b64 exec, exec, s[38:39]
.LBB6_7378:                             ;   in Loop: Header=BB6_5679 Depth=3
	s_or_b64 exec, exec, s[40:41]
	v_max_f32_e32 v0, v3, v3
	v_max_f32_e32 v1, v1, v1
	v_min_f32_e32 v1, v1, v0
.LBB6_7379:                             ;   in Loop: Header=BB6_5679 Depth=3
	v_and_b32_e32 v52, 0x7f800000, v1
	v_cmp_ne_u64_e32 vcc, s[76:77], v[52:53]
	buffer_store_dword v35, off, s[0:3], s33 offset:308 ; 4-byte Folded Spill
	buffer_store_dword v48, off, s[0:3], s33 offset:160 ; 4-byte Folded Spill
	;; [unrolled: 1-line block ×3, first 2 shown]
                                        ; implicit-def: $vgpr32
	s_and_saveexec_b64 s[40:41], vcc
	s_xor_b64 s[38:39], exec, s[40:41]
	s_cbranch_execz .LBB6_7393
; %bb.7380:                             ;   in Loop: Header=BB6_5679 Depth=3
	v_and_b32_e32 v52, 0x7fffffff, v1
	v_cmp_gt_u64_e32 vcc, s[78:79], v[52:53]
	v_and_b32_sdwa v3, v1, s82 dst_sel:DWORD dst_unused:UNUSED_PAD src0_sel:BYTE_3 src1_sel:DWORD
                                        ; implicit-def: $vgpr32
	s_and_saveexec_b64 s[40:41], vcc
	s_xor_b64 s[48:49], exec, s[40:41]
	s_cbranch_execz .LBB6_7390
; %bb.7381:                             ;   in Loop: Header=BB6_5679 Depth=3
	v_mov_b32_e32 v32, 0
	v_cmp_ne_u32_e32 vcc, 0, v1
	s_and_saveexec_b64 s[50:51], vcc
	s_cbranch_execz .LBB6_7389
; %bb.7382:                             ;   in Loop: Header=BB6_5679 Depth=3
	v_bfe_u32 v6, v1, 23, 8
	v_and_b32_e32 v0, 0x7fffff, v1
	v_cmp_gt_u32_e64 s[40:41], s85, v6
	v_sub_u32_e32 v1, 0x79, v6
	v_cmp_eq_u32_e32 vcc, 0, v6
	v_cndmask_b32_e64 v1, 0, v1, s[40:41]
	v_mov_b32_e32 v7, 0x78
	v_or_b32_e32 v2, 0x800000, v0
	v_cndmask_b32_e32 v7, v1, v7, vcc
	v_cndmask_b32_e32 v52, v2, v0, vcc
	v_add_u32_e32 v0, 20, v7
	v_lshlrev_b64 v[0:1], v0, -1
	v_add_u32_e32 v2, 19, v7
	v_lshlrev_b64 v[38:39], v2, 1
	v_bfi_b32 v1, v1, 0, 0
	v_bfi_b32 v0, v0, 0, v52
	v_cmp_eq_u64_e64 s[40:41], v[0:1], v[38:39]
	v_lshrrev_b64 v[0:1], v7, v[52:53]
	v_mov_b32_e32 v2, v1
	v_mov_b32_e32 v1, v0
	s_and_saveexec_b64 s[52:53], s[40:41]
; %bb.7383:                             ;   in Loop: Header=BB6_5679 Depth=3
	v_bfe_u32 v1, v0, 20, 1
	v_add_co_u32_e64 v1, s[40:41], v0, v1
	v_add_co_u32_e64 v1, s[40:41], -1, v1
; %bb.7384:                             ;   in Loop: Header=BB6_5679 Depth=3
	s_or_b64 exec, exec, s[52:53]
	v_add_u32_e32 v2, 0xffffff81, v6
	v_mov_b32_e32 v6, 0xffffff82
	v_cndmask_b32_e32 v2, v2, v6, vcc
	v_lshrrev_b32_e32 v6, 23, v0
	v_add3_u32 v7, v7, v2, v6
	v_add_u32_e32 v6, 6, v7
	v_and_b32_e32 v1, 0xfffff, v1
	v_add_u32_e32 v52, v1, v0
	v_cmp_ne_u32_e32 vcc, 0, v6
                                        ; implicit-def: $vgpr0_vgpr1
                                        ; implicit-def: $vgpr2
	s_and_saveexec_b64 s[40:41], vcc
	s_xor_b64 s[40:41], exec, s[40:41]
; %bb.7385:                             ;   in Loop: Header=BB6_5679 Depth=3
	v_cmp_lt_u64_e32 vcc, s[88:89], v[52:53]
	v_add_u32_e32 v0, 7, v7
	v_cndmask_b32_e32 v2, v6, v0, vcc
	v_cndmask_b32_e64 v0, 0, 1, vcc
	v_lshrrev_b64 v[0:1], v0, v[52:53]
; %bb.7386:                             ;   in Loop: Header=BB6_5679 Depth=3
	s_andn2_saveexec_b64 s[40:41], s[40:41]
; %bb.7387:                             ;   in Loop: Header=BB6_5679 Depth=3
	v_mov_b32_e32 v0, v52
	v_mov_b32_e32 v1, v53
	v_bfe_u32 v2, v52, 23, 1
; %bb.7388:                             ;   in Loop: Header=BB6_5679 Depth=3
	s_or_b64 exec, exec, s[40:41]
	v_lshrrev_b64 v[0:1], 20, v[0:1]
	v_cmp_gt_i32_e32 vcc, 16, v2
	v_cndmask_b32_e32 v1, 0, v1, vcc
	v_cndmask_b32_e32 v0, 7, v0, vcc
	v_cmp_eq_u64_e64 s[40:41], 0, v[0:1]
	v_min_i32_e32 v1, 15, v2
	v_lshlrev_b32_e32 v1, 3, v1
	v_cmp_eq_u32_e32 vcc, 0, v2
	v_and_b32_e32 v1, 0xf8, v1
	v_and_or_b32 v0, v0, 7, v1
	s_and_b64 s[40:41], vcc, s[40:41]
	v_cndmask_b32_e64 v0, v0, 0, s[40:41]
	v_or_b32_e32 v32, v0, v3
.LBB6_7389:                             ;   in Loop: Header=BB6_5679 Depth=3
	s_or_b64 exec, exec, s[50:51]
                                        ; implicit-def: $vgpr3
.LBB6_7390:                             ;   in Loop: Header=BB6_5679 Depth=3
	s_andn2_saveexec_b64 s[40:41], s[48:49]
; %bb.7391:                             ;   in Loop: Header=BB6_5679 Depth=3
	v_or_b32_e32 v32, 0x7e, v3
; %bb.7392:                             ;   in Loop: Header=BB6_5679 Depth=3
	s_or_b64 exec, exec, s[40:41]
                                        ; implicit-def: $vgpr1
.LBB6_7393:                             ;   in Loop: Header=BB6_5679 Depth=3
	s_andn2_saveexec_b64 s[40:41], s[38:39]
; %bb.7394:                             ;   in Loop: Header=BB6_5679 Depth=3
	v_or_b32_sdwa v32, v1, s83 dst_sel:DWORD dst_unused:UNUSED_PAD src0_sel:BYTE_3 src1_sel:DWORD
; %bb.7395:                             ;   in Loop: Header=BB6_5679 Depth=3
	s_or_b64 exec, exec, s[40:41]
	v_cmp_lt_u64_e64 s[40:41], s[62:63], v[20:21]
	v_lshrrev_b32_e32 v2, 24, v21
	v_lshrrev_b32_e32 v0, 24, v17
	s_and_b64 vcc, exec, s[28:29]
	s_mov_b64 s[38:39], -1
                                        ; implicit-def: $vgpr1
	s_cbranch_vccnz .LBB6_7409
; %bb.7396:                             ;   in Loop: Header=BB6_5679 Depth=3
	v_mov_b32_e32 v3, 0
	v_mov_b32_e32 v1, 0
	s_and_saveexec_b64 s[38:39], s[40:41]
	s_cbranch_execz .LBB6_7402
; %bb.7397:                             ;   in Loop: Header=BB6_5679 Depth=3
	v_cmp_ne_u32_e32 vcc, s82, v2
	v_bfrev_b32_e32 v1, 1
	s_and_saveexec_b64 s[48:49], vcc
	s_cbranch_execz .LBB6_7401
; %bb.7398:                             ;   in Loop: Header=BB6_5679 Depth=3
	v_bfe_u32 v6, v21, 24, 7
	v_cmp_ne_u32_e32 vcc, s83, v6
	v_mov_b32_e32 v1, 0x7f800001
	s_and_saveexec_b64 s[50:51], vcc
	s_cbranch_execz .LBB6_7400
; %bb.7399:                             ;   in Loop: Header=BB6_5679 Depth=3
	v_and_b32_e32 v1, 7, v2
	v_lshrrev_b32_e32 v20, 3, v6
	v_cmp_gt_u32_e32 vcc, 8, v6
	v_ffbh_u32_e32 v6, v1
	v_min_u32_e32 v31, 32, v6
	v_subrev_u32_e32 v6, 28, v31
	v_lshlrev_b64 v[6:7], v6, v[2:3]
	v_sub_u32_e32 v7, 29, v31
	v_and_b32_e32 v6, 7, v6
	v_cndmask_b32_e32 v7, v20, v7, vcc
	v_cndmask_b32_e32 v1, v1, v6, vcc
	v_lshlrev_b32_e32 v6, 24, v2
	v_bfrev_b32_e32 v20, 60
	v_lshlrev_b32_e32 v1, 20, v1
	v_and_b32_e32 v6, 0x80000000, v6
	v_lshl_add_u32 v7, v7, 23, v20
	v_or3_b32 v1, v6, v7, v1
.LBB6_7400:                             ;   in Loop: Header=BB6_5679 Depth=3
	s_or_b64 exec, exec, s[50:51]
.LBB6_7401:                             ;   in Loop: Header=BB6_5679 Depth=3
	s_or_b64 exec, exec, s[48:49]
.LBB6_7402:                             ;   in Loop: Header=BB6_5679 Depth=3
	s_or_b64 exec, exec, s[38:39]
	v_cmp_lt_u64_e32 vcc, s[62:63], v[16:17]
	s_and_saveexec_b64 s[38:39], vcc
	s_cbranch_execz .LBB6_7408
; %bb.7403:                             ;   in Loop: Header=BB6_5679 Depth=3
	v_cmp_ne_u32_e32 vcc, s82, v0
	v_bfrev_b32_e32 v3, 1
	s_and_saveexec_b64 s[48:49], vcc
	s_cbranch_execz .LBB6_7407
; %bb.7404:                             ;   in Loop: Header=BB6_5679 Depth=3
	v_bfe_u32 v6, v17, 24, 7
	v_cmp_ne_u32_e32 vcc, s83, v6
	v_mov_b32_e32 v3, 0x7f800001
	s_and_saveexec_b64 s[50:51], vcc
	s_cbranch_execz .LBB6_7406
; %bb.7405:                             ;   in Loop: Header=BB6_5679 Depth=3
	v_and_b32_e32 v3, 7, v0
	v_lshrrev_b32_e32 v20, 3, v6
	v_cmp_gt_u32_e32 vcc, 8, v6
	v_ffbh_u32_e32 v6, v3
	v_min_u32_e32 v31, 32, v6
	v_subrev_u32_e32 v6, 28, v31
	v_lshlrev_b64 v[6:7], v6, v[0:1]
	v_sub_u32_e32 v7, 29, v31
	v_and_b32_e32 v6, 7, v6
	v_cndmask_b32_e32 v7, v20, v7, vcc
	v_cndmask_b32_e32 v3, v3, v6, vcc
	v_lshlrev_b32_e32 v6, 24, v0
	v_bfrev_b32_e32 v20, 60
	v_lshlrev_b32_e32 v3, 20, v3
	v_and_b32_e32 v6, 0x80000000, v6
	v_lshl_add_u32 v7, v7, 23, v20
	v_or3_b32 v3, v6, v7, v3
.LBB6_7406:                             ;   in Loop: Header=BB6_5679 Depth=3
	s_or_b64 exec, exec, s[50:51]
.LBB6_7407:                             ;   in Loop: Header=BB6_5679 Depth=3
	s_or_b64 exec, exec, s[48:49]
.LBB6_7408:                             ;   in Loop: Header=BB6_5679 Depth=3
	s_or_b64 exec, exec, s[38:39]
	v_max_f32_e32 v3, v3, v3
	v_max_f32_e32 v1, v1, v1
	v_max_f32_e32 v1, v1, v3
	s_mov_b64 s[38:39], 0
.LBB6_7409:                             ;   in Loop: Header=BB6_5679 Depth=3
	s_and_b64 vcc, exec, s[38:39]
	s_cbranch_vccz .LBB6_7423
; %bb.7410:                             ;   in Loop: Header=BB6_5679 Depth=3
	v_mov_b32_e32 v3, 0
	v_mov_b32_e32 v1, 0
	s_and_saveexec_b64 s[38:39], s[40:41]
	s_cbranch_execz .LBB6_7416
; %bb.7411:                             ;   in Loop: Header=BB6_5679 Depth=3
	v_cmp_ne_u32_e32 vcc, s82, v2
	v_bfrev_b32_e32 v1, 1
	s_and_saveexec_b64 s[40:41], vcc
	s_cbranch_execz .LBB6_7415
; %bb.7412:                             ;   in Loop: Header=BB6_5679 Depth=3
	v_bfe_u32 v6, v21, 24, 7
	v_cmp_ne_u32_e32 vcc, s83, v6
	v_mov_b32_e32 v1, 0x7f800001
	s_and_saveexec_b64 s[48:49], vcc
	s_cbranch_execz .LBB6_7414
; %bb.7413:                             ;   in Loop: Header=BB6_5679 Depth=3
	v_and_b32_e32 v1, 7, v2
	v_lshrrev_b32_e32 v20, 3, v6
	v_cmp_gt_u32_e32 vcc, 8, v6
	v_ffbh_u32_e32 v6, v1
	v_min_u32_e32 v21, 32, v6
	v_subrev_u32_e32 v6, 28, v21
	v_lshlrev_b64 v[6:7], v6, v[2:3]
	v_sub_u32_e32 v7, 29, v21
	v_and_b32_e32 v6, 7, v6
	v_cndmask_b32_e32 v7, v20, v7, vcc
	v_cndmask_b32_e32 v1, v1, v6, vcc
	v_lshlrev_b32_e32 v2, 24, v2
	v_bfrev_b32_e32 v6, 60
	v_lshlrev_b32_e32 v1, 20, v1
	v_and_b32_e32 v2, 0x80000000, v2
	v_lshl_add_u32 v6, v7, 23, v6
	v_or3_b32 v1, v2, v6, v1
.LBB6_7414:                             ;   in Loop: Header=BB6_5679 Depth=3
	s_or_b64 exec, exec, s[48:49]
.LBB6_7415:                             ;   in Loop: Header=BB6_5679 Depth=3
	s_or_b64 exec, exec, s[40:41]
.LBB6_7416:                             ;   in Loop: Header=BB6_5679 Depth=3
	s_or_b64 exec, exec, s[38:39]
	v_cmp_lt_u64_e32 vcc, s[62:63], v[16:17]
	s_and_saveexec_b64 s[40:41], vcc
	s_cbranch_execz .LBB6_7422
; %bb.7417:                             ;   in Loop: Header=BB6_5679 Depth=3
	v_cmp_ne_u32_e32 vcc, s82, v0
	v_bfrev_b32_e32 v3, 1
	s_and_saveexec_b64 s[38:39], vcc
	s_cbranch_execz .LBB6_7421
; %bb.7418:                             ;   in Loop: Header=BB6_5679 Depth=3
	v_bfe_u32 v2, v17, 24, 7
	v_cmp_ne_u32_e32 vcc, s83, v2
	v_mov_b32_e32 v3, 0x7f800001
	s_and_saveexec_b64 s[48:49], vcc
	s_cbranch_execz .LBB6_7420
; %bb.7419:                             ;   in Loop: Header=BB6_5679 Depth=3
	v_and_b32_e32 v6, 7, v0
	v_lshrrev_b32_e32 v7, 3, v2
	v_cmp_gt_u32_e32 vcc, 8, v2
	v_ffbh_u32_e32 v2, v6
	v_min_u32_e32 v16, 32, v2
	v_subrev_u32_e32 v2, 28, v16
	v_lshlrev_b64 v[2:3], v2, v[0:1]
	v_sub_u32_e32 v3, 29, v16
	v_and_b32_e32 v2, 7, v2
	v_cndmask_b32_e32 v3, v7, v3, vcc
	v_cndmask_b32_e32 v2, v6, v2, vcc
	v_lshlrev_b32_e32 v0, 24, v0
	v_bfrev_b32_e32 v6, 60
	v_lshlrev_b32_e32 v2, 20, v2
	v_and_b32_e32 v0, 0x80000000, v0
	v_lshl_add_u32 v3, v3, 23, v6
	v_or3_b32 v3, v0, v3, v2
.LBB6_7420:                             ;   in Loop: Header=BB6_5679 Depth=3
	s_or_b64 exec, exec, s[48:49]
.LBB6_7421:                             ;   in Loop: Header=BB6_5679 Depth=3
	s_or_b64 exec, exec, s[38:39]
.LBB6_7422:                             ;   in Loop: Header=BB6_5679 Depth=3
	s_or_b64 exec, exec, s[40:41]
	v_max_f32_e32 v0, v3, v3
	v_max_f32_e32 v1, v1, v1
	v_min_f32_e32 v1, v1, v0
.LBB6_7423:                             ;   in Loop: Header=BB6_5679 Depth=3
	v_and_b32_e32 v52, 0x7f800000, v1
	v_cmp_ne_u64_e32 vcc, s[76:77], v[52:53]
                                        ; implicit-def: $vgpr17
	s_and_saveexec_b64 s[40:41], vcc
	s_xor_b64 s[38:39], exec, s[40:41]
	s_cbranch_execz .LBB6_7437
; %bb.7424:                             ;   in Loop: Header=BB6_5679 Depth=3
	v_and_b32_e32 v52, 0x7fffffff, v1
	v_cmp_gt_u64_e32 vcc, s[78:79], v[52:53]
	v_and_b32_sdwa v3, v1, s82 dst_sel:DWORD dst_unused:UNUSED_PAD src0_sel:BYTE_3 src1_sel:DWORD
                                        ; implicit-def: $vgpr17
	s_and_saveexec_b64 s[40:41], vcc
	s_xor_b64 s[48:49], exec, s[40:41]
	s_cbranch_execz .LBB6_7434
; %bb.7425:                             ;   in Loop: Header=BB6_5679 Depth=3
	v_mov_b32_e32 v17, 0
	v_cmp_ne_u32_e32 vcc, 0, v1
	s_and_saveexec_b64 s[50:51], vcc
	s_cbranch_execz .LBB6_7433
; %bb.7426:                             ;   in Loop: Header=BB6_5679 Depth=3
	v_bfe_u32 v6, v1, 23, 8
	v_and_b32_e32 v0, 0x7fffff, v1
	v_cmp_gt_u32_e64 s[40:41], s85, v6
	v_sub_u32_e32 v1, 0x79, v6
	v_cmp_eq_u32_e32 vcc, 0, v6
	v_cndmask_b32_e64 v1, 0, v1, s[40:41]
	v_mov_b32_e32 v7, 0x78
	v_or_b32_e32 v2, 0x800000, v0
	v_cndmask_b32_e32 v7, v1, v7, vcc
	v_cndmask_b32_e32 v52, v2, v0, vcc
	v_add_u32_e32 v0, 20, v7
	v_lshlrev_b64 v[0:1], v0, -1
	v_add_u32_e32 v2, 19, v7
	v_lshlrev_b64 v[16:17], v2, 1
	v_bfi_b32 v1, v1, 0, 0
	v_bfi_b32 v0, v0, 0, v52
	v_cmp_eq_u64_e64 s[40:41], v[0:1], v[16:17]
	v_lshrrev_b64 v[0:1], v7, v[52:53]
	v_mov_b32_e32 v2, v1
	v_mov_b32_e32 v1, v0
	s_and_saveexec_b64 s[52:53], s[40:41]
; %bb.7427:                             ;   in Loop: Header=BB6_5679 Depth=3
	v_bfe_u32 v1, v0, 20, 1
	v_add_co_u32_e64 v1, s[40:41], v0, v1
	v_add_co_u32_e64 v1, s[40:41], -1, v1
; %bb.7428:                             ;   in Loop: Header=BB6_5679 Depth=3
	s_or_b64 exec, exec, s[52:53]
	v_add_u32_e32 v2, 0xffffff81, v6
	v_mov_b32_e32 v6, 0xffffff82
	v_cndmask_b32_e32 v2, v2, v6, vcc
	v_lshrrev_b32_e32 v6, 23, v0
	v_add3_u32 v7, v7, v2, v6
	v_add_u32_e32 v6, 6, v7
	v_and_b32_e32 v1, 0xfffff, v1
	v_add_u32_e32 v52, v1, v0
	v_cmp_ne_u32_e32 vcc, 0, v6
                                        ; implicit-def: $vgpr0_vgpr1
                                        ; implicit-def: $vgpr2
	s_and_saveexec_b64 s[40:41], vcc
	s_xor_b64 s[40:41], exec, s[40:41]
; %bb.7429:                             ;   in Loop: Header=BB6_5679 Depth=3
	v_cmp_lt_u64_e32 vcc, s[88:89], v[52:53]
	v_add_u32_e32 v0, 7, v7
	v_cndmask_b32_e32 v2, v6, v0, vcc
	v_cndmask_b32_e64 v0, 0, 1, vcc
	v_lshrrev_b64 v[0:1], v0, v[52:53]
; %bb.7430:                             ;   in Loop: Header=BB6_5679 Depth=3
	s_andn2_saveexec_b64 s[40:41], s[40:41]
; %bb.7431:                             ;   in Loop: Header=BB6_5679 Depth=3
	v_mov_b32_e32 v0, v52
	v_mov_b32_e32 v1, v53
	v_bfe_u32 v2, v52, 23, 1
; %bb.7432:                             ;   in Loop: Header=BB6_5679 Depth=3
	s_or_b64 exec, exec, s[40:41]
	v_lshrrev_b64 v[0:1], 20, v[0:1]
	v_cmp_gt_i32_e32 vcc, 16, v2
	v_cndmask_b32_e32 v1, 0, v1, vcc
	v_cndmask_b32_e32 v0, 7, v0, vcc
	v_cmp_eq_u64_e64 s[40:41], 0, v[0:1]
	v_min_i32_e32 v1, 15, v2
	v_lshlrev_b32_e32 v1, 3, v1
	v_cmp_eq_u32_e32 vcc, 0, v2
	v_and_b32_e32 v1, 0xf8, v1
	v_and_or_b32 v0, v0, 7, v1
	s_and_b64 s[40:41], vcc, s[40:41]
	v_cndmask_b32_e64 v0, v0, 0, s[40:41]
	v_or_b32_e32 v17, v0, v3
.LBB6_7433:                             ;   in Loop: Header=BB6_5679 Depth=3
	s_or_b64 exec, exec, s[50:51]
                                        ; implicit-def: $vgpr3
.LBB6_7434:                             ;   in Loop: Header=BB6_5679 Depth=3
	s_andn2_saveexec_b64 s[40:41], s[48:49]
; %bb.7435:                             ;   in Loop: Header=BB6_5679 Depth=3
	v_or_b32_e32 v17, 0x7e, v3
; %bb.7436:                             ;   in Loop: Header=BB6_5679 Depth=3
	s_or_b64 exec, exec, s[40:41]
                                        ; implicit-def: $vgpr1
.LBB6_7437:                             ;   in Loop: Header=BB6_5679 Depth=3
	s_andn2_saveexec_b64 s[40:41], s[38:39]
; %bb.7438:                             ;   in Loop: Header=BB6_5679 Depth=3
	v_or_b32_sdwa v17, v1, s83 dst_sel:DWORD dst_unused:UNUSED_PAD src0_sel:BYTE_3 src1_sel:DWORD
; %bb.7439:                             ;   in Loop: Header=BB6_5679 Depth=3
	s_or_b64 exec, exec, s[40:41]
	v_cmp_ne_u16_sdwa s[40:41], v22, v53 src0_sel:BYTE_0 src1_sel:DWORD
	s_and_b64 vcc, exec, s[28:29]
	s_mov_b64 s[38:39], -1
                                        ; implicit-def: $vgpr0
	s_cbranch_vccnz .LBB6_7453
; %bb.7440:                             ;   in Loop: Header=BB6_5679 Depth=3
	v_mov_b32_e32 v1, 0
	v_mov_b32_e32 v0, 0
	s_and_saveexec_b64 s[38:39], s[40:41]
	s_cbranch_execz .LBB6_7446
; %bb.7441:                             ;   in Loop: Header=BB6_5679 Depth=3
	v_cmp_ne_u16_sdwa vcc, v22, s82 src0_sel:BYTE_0 src1_sel:DWORD
	v_bfrev_b32_e32 v0, 1
	s_and_saveexec_b64 s[48:49], vcc
	s_cbranch_execz .LBB6_7445
; %bb.7442:                             ;   in Loop: Header=BB6_5679 Depth=3
	v_and_b32_e32 v2, 0x7f, v22
	v_cmp_ne_u32_e32 vcc, s83, v2
	v_mov_b32_e32 v0, 0x7f800001
	s_and_saveexec_b64 s[50:51], vcc
	s_cbranch_execz .LBB6_7444
; %bb.7443:                             ;   in Loop: Header=BB6_5679 Depth=3
	v_and_b32_e32 v0, 7, v22
	v_ffbh_u32_e32 v0, v0
	v_min_u32_e32 v0, 32, v0
	v_lshrrev_b32_e32 v3, 3, v2
	v_cmp_gt_u32_e32 vcc, 8, v2
	v_subrev_u32_e32 v2, 28, v0
	v_sub_u32_e32 v0, 29, v0
	v_cndmask_b32_e32 v2, 0, v2, vcc
	v_cndmask_b32_e32 v0, v3, v0, vcc
	v_lshlrev_b64 v[2:3], v2, v[22:23]
	v_lshlrev_b32_e32 v3, 24, v22
	v_lshlrev_b32_e32 v2, 20, v2
	v_bfrev_b32_e32 v6, 60
	v_and_b32_e32 v2, 0x700000, v2
	v_and_b32_e32 v3, 0x80000000, v3
	v_lshl_add_u32 v0, v0, 23, v6
	v_or3_b32 v0, v3, v0, v2
.LBB6_7444:                             ;   in Loop: Header=BB6_5679 Depth=3
	s_or_b64 exec, exec, s[50:51]
.LBB6_7445:                             ;   in Loop: Header=BB6_5679 Depth=3
	s_or_b64 exec, exec, s[48:49]
.LBB6_7446:                             ;   in Loop: Header=BB6_5679 Depth=3
	s_or_b64 exec, exec, s[38:39]
	v_cmp_ne_u16_sdwa vcc, v18, v53 src0_sel:BYTE_0 src1_sel:DWORD
	s_and_saveexec_b64 s[38:39], vcc
	s_cbranch_execz .LBB6_7452
; %bb.7447:                             ;   in Loop: Header=BB6_5679 Depth=3
	v_cmp_ne_u16_sdwa vcc, v18, s82 src0_sel:BYTE_0 src1_sel:DWORD
	v_bfrev_b32_e32 v1, 1
	s_and_saveexec_b64 s[48:49], vcc
	s_cbranch_execz .LBB6_7451
; %bb.7448:                             ;   in Loop: Header=BB6_5679 Depth=3
	v_and_b32_e32 v2, 0x7f, v18
	v_cmp_ne_u32_e32 vcc, s83, v2
	v_mov_b32_e32 v1, 0x7f800001
	s_and_saveexec_b64 s[50:51], vcc
	s_cbranch_execz .LBB6_7450
; %bb.7449:                             ;   in Loop: Header=BB6_5679 Depth=3
	v_and_b32_e32 v1, 7, v18
	v_ffbh_u32_e32 v1, v1
	v_min_u32_e32 v1, 32, v1
	v_lshrrev_b32_e32 v3, 3, v2
	v_cmp_gt_u32_e32 vcc, 8, v2
	v_subrev_u32_e32 v2, 28, v1
	v_sub_u32_e32 v1, 29, v1
	v_cndmask_b32_e32 v3, v3, v1, vcc
	v_cndmask_b32_e32 v1, 0, v2, vcc
	v_lshlrev_b64 v[1:2], v1, v[18:19]
	v_lshlrev_b32_e32 v2, 24, v18
	v_lshlrev_b32_e32 v1, 20, v1
	v_bfrev_b32_e32 v6, 60
	v_and_b32_e32 v1, 0x700000, v1
	v_and_b32_e32 v2, 0x80000000, v2
	v_lshl_add_u32 v3, v3, 23, v6
	v_or3_b32 v1, v2, v3, v1
.LBB6_7450:                             ;   in Loop: Header=BB6_5679 Depth=3
	s_or_b64 exec, exec, s[50:51]
.LBB6_7451:                             ;   in Loop: Header=BB6_5679 Depth=3
	s_or_b64 exec, exec, s[48:49]
.LBB6_7452:                             ;   in Loop: Header=BB6_5679 Depth=3
	s_or_b64 exec, exec, s[38:39]
	v_max_f32_e32 v1, v1, v1
	v_max_f32_e32 v0, v0, v0
	v_max_f32_e32 v0, v0, v1
	s_mov_b64 s[38:39], 0
.LBB6_7453:                             ;   in Loop: Header=BB6_5679 Depth=3
	s_and_b64 vcc, exec, s[38:39]
	s_cbranch_vccz .LBB6_7467
; %bb.7454:                             ;   in Loop: Header=BB6_5679 Depth=3
	v_mov_b32_e32 v1, 0
	v_mov_b32_e32 v0, 0
	s_and_saveexec_b64 s[38:39], s[40:41]
	s_cbranch_execz .LBB6_7460
; %bb.7455:                             ;   in Loop: Header=BB6_5679 Depth=3
	v_cmp_ne_u16_sdwa vcc, v22, s82 src0_sel:BYTE_0 src1_sel:DWORD
	v_bfrev_b32_e32 v0, 1
	s_and_saveexec_b64 s[40:41], vcc
	s_cbranch_execz .LBB6_7459
; %bb.7456:                             ;   in Loop: Header=BB6_5679 Depth=3
	v_and_b32_e32 v2, 0x7f, v22
	v_cmp_ne_u32_e32 vcc, s83, v2
	v_mov_b32_e32 v0, 0x7f800001
	s_and_saveexec_b64 s[48:49], vcc
	s_cbranch_execz .LBB6_7458
; %bb.7457:                             ;   in Loop: Header=BB6_5679 Depth=3
	v_and_b32_e32 v0, 7, v22
	v_ffbh_u32_e32 v0, v0
	v_min_u32_e32 v0, 32, v0
	v_lshrrev_b32_e32 v3, 3, v2
	v_cmp_gt_u32_e32 vcc, 8, v2
	v_subrev_u32_e32 v2, 28, v0
	v_sub_u32_e32 v0, 29, v0
	v_cndmask_b32_e32 v2, 0, v2, vcc
	v_cndmask_b32_e32 v0, v3, v0, vcc
	v_lshlrev_b64 v[2:3], v2, v[22:23]
	v_lshlrev_b32_e32 v3, 24, v22
	v_lshlrev_b32_e32 v2, 20, v2
	v_bfrev_b32_e32 v6, 60
	v_and_b32_e32 v2, 0x700000, v2
	v_and_b32_e32 v3, 0x80000000, v3
	v_lshl_add_u32 v0, v0, 23, v6
	v_or3_b32 v0, v3, v0, v2
.LBB6_7458:                             ;   in Loop: Header=BB6_5679 Depth=3
	s_or_b64 exec, exec, s[48:49]
.LBB6_7459:                             ;   in Loop: Header=BB6_5679 Depth=3
	s_or_b64 exec, exec, s[40:41]
.LBB6_7460:                             ;   in Loop: Header=BB6_5679 Depth=3
	s_or_b64 exec, exec, s[38:39]
	v_cmp_ne_u16_sdwa vcc, v18, v53 src0_sel:BYTE_0 src1_sel:DWORD
	s_and_saveexec_b64 s[40:41], vcc
	s_cbranch_execz .LBB6_7466
; %bb.7461:                             ;   in Loop: Header=BB6_5679 Depth=3
	v_cmp_ne_u16_sdwa vcc, v18, s82 src0_sel:BYTE_0 src1_sel:DWORD
	v_bfrev_b32_e32 v1, 1
	s_and_saveexec_b64 s[38:39], vcc
	s_cbranch_execz .LBB6_7465
; %bb.7462:                             ;   in Loop: Header=BB6_5679 Depth=3
	v_and_b32_e32 v2, 0x7f, v18
	v_cmp_ne_u32_e32 vcc, s83, v2
	v_mov_b32_e32 v1, 0x7f800001
	s_and_saveexec_b64 s[48:49], vcc
	s_cbranch_execz .LBB6_7464
; %bb.7463:                             ;   in Loop: Header=BB6_5679 Depth=3
	v_and_b32_e32 v1, 7, v18
	v_ffbh_u32_e32 v1, v1
	v_min_u32_e32 v1, 32, v1
	v_lshrrev_b32_e32 v3, 3, v2
	v_cmp_gt_u32_e32 vcc, 8, v2
	v_subrev_u32_e32 v2, 28, v1
	v_sub_u32_e32 v1, 29, v1
	v_cndmask_b32_e32 v3, v3, v1, vcc
	v_cndmask_b32_e32 v1, 0, v2, vcc
	v_lshlrev_b64 v[1:2], v1, v[18:19]
	v_lshlrev_b32_e32 v2, 24, v18
	v_lshlrev_b32_e32 v1, 20, v1
	v_bfrev_b32_e32 v6, 60
	v_and_b32_e32 v1, 0x700000, v1
	v_and_b32_e32 v2, 0x80000000, v2
	v_lshl_add_u32 v3, v3, 23, v6
	v_or3_b32 v1, v2, v3, v1
.LBB6_7464:                             ;   in Loop: Header=BB6_5679 Depth=3
	s_or_b64 exec, exec, s[48:49]
.LBB6_7465:                             ;   in Loop: Header=BB6_5679 Depth=3
	s_or_b64 exec, exec, s[38:39]
.LBB6_7466:                             ;   in Loop: Header=BB6_5679 Depth=3
	s_or_b64 exec, exec, s[40:41]
	v_max_f32_e32 v1, v1, v1
	v_max_f32_e32 v0, v0, v0
	v_min_f32_e32 v0, v0, v1
.LBB6_7467:                             ;   in Loop: Header=BB6_5679 Depth=3
	v_and_b32_e32 v52, 0x7f800000, v0
	v_cmp_ne_u64_e32 vcc, s[76:77], v[52:53]
                                        ; implicit-def: $vgpr20
	s_and_saveexec_b64 s[40:41], vcc
	s_xor_b64 s[38:39], exec, s[40:41]
	s_cbranch_execz .LBB6_7481
; %bb.7468:                             ;   in Loop: Header=BB6_5679 Depth=3
	v_and_b32_e32 v52, 0x7fffffff, v0
	v_cmp_gt_u64_e32 vcc, s[78:79], v[52:53]
	v_and_b32_sdwa v3, v0, s82 dst_sel:DWORD dst_unused:UNUSED_PAD src0_sel:BYTE_3 src1_sel:DWORD
                                        ; implicit-def: $vgpr20
	s_and_saveexec_b64 s[40:41], vcc
	s_xor_b64 s[48:49], exec, s[40:41]
	s_cbranch_execz .LBB6_7478
; %bb.7469:                             ;   in Loop: Header=BB6_5679 Depth=3
	v_mov_b32_e32 v20, 0
	v_cmp_ne_u32_e32 vcc, 0, v0
	s_and_saveexec_b64 s[50:51], vcc
	s_cbranch_execz .LBB6_7477
; %bb.7470:                             ;   in Loop: Header=BB6_5679 Depth=3
	v_bfe_u32 v6, v0, 23, 8
	v_and_b32_e32 v1, 0x7fffff, v0
	v_cmp_gt_u32_e64 s[40:41], s85, v6
	v_sub_u32_e32 v0, 0x79, v6
	v_cmp_eq_u32_e32 vcc, 0, v6
	v_cndmask_b32_e64 v0, 0, v0, s[40:41]
	v_mov_b32_e32 v7, 0x78
	v_cndmask_b32_e32 v7, v0, v7, vcc
	v_or_b32_e32 v2, 0x800000, v1
	v_add_u32_e32 v0, 20, v7
	v_cndmask_b32_e32 v52, v2, v1, vcc
	v_lshlrev_b64 v[0:1], v0, -1
	v_add_u32_e32 v2, 19, v7
	v_lshlrev_b64 v[20:21], v2, 1
	v_bfi_b32 v1, v1, 0, 0
	v_bfi_b32 v0, v0, 0, v52
	v_cmp_eq_u64_e64 s[40:41], v[0:1], v[20:21]
	v_lshrrev_b64 v[0:1], v7, v[52:53]
	v_mov_b32_e32 v2, v1
	v_mov_b32_e32 v1, v0
	s_and_saveexec_b64 s[52:53], s[40:41]
; %bb.7471:                             ;   in Loop: Header=BB6_5679 Depth=3
	v_bfe_u32 v1, v0, 20, 1
	v_add_co_u32_e64 v1, s[40:41], v0, v1
	v_add_co_u32_e64 v1, s[40:41], -1, v1
; %bb.7472:                             ;   in Loop: Header=BB6_5679 Depth=3
	s_or_b64 exec, exec, s[52:53]
	v_add_u32_e32 v2, 0xffffff81, v6
	v_mov_b32_e32 v6, 0xffffff82
	v_cndmask_b32_e32 v2, v2, v6, vcc
	v_lshrrev_b32_e32 v6, 23, v0
	v_add3_u32 v7, v7, v2, v6
	v_add_u32_e32 v6, 6, v7
	v_and_b32_e32 v1, 0xfffff, v1
	v_add_u32_e32 v52, v1, v0
	v_cmp_ne_u32_e32 vcc, 0, v6
                                        ; implicit-def: $vgpr0_vgpr1
                                        ; implicit-def: $vgpr2
	s_and_saveexec_b64 s[40:41], vcc
	s_xor_b64 s[40:41], exec, s[40:41]
; %bb.7473:                             ;   in Loop: Header=BB6_5679 Depth=3
	v_cmp_lt_u64_e32 vcc, s[88:89], v[52:53]
	v_add_u32_e32 v0, 7, v7
	v_cndmask_b32_e32 v2, v6, v0, vcc
	v_cndmask_b32_e64 v0, 0, 1, vcc
	v_lshrrev_b64 v[0:1], v0, v[52:53]
; %bb.7474:                             ;   in Loop: Header=BB6_5679 Depth=3
	s_andn2_saveexec_b64 s[40:41], s[40:41]
; %bb.7475:                             ;   in Loop: Header=BB6_5679 Depth=3
	v_mov_b32_e32 v0, v52
	v_mov_b32_e32 v1, v53
	v_bfe_u32 v2, v52, 23, 1
; %bb.7476:                             ;   in Loop: Header=BB6_5679 Depth=3
	s_or_b64 exec, exec, s[40:41]
	v_lshrrev_b64 v[0:1], 20, v[0:1]
	v_cmp_gt_i32_e32 vcc, 16, v2
	v_cndmask_b32_e32 v1, 0, v1, vcc
	v_cndmask_b32_e32 v0, 7, v0, vcc
	v_cmp_eq_u64_e64 s[40:41], 0, v[0:1]
	v_min_i32_e32 v1, 15, v2
	v_lshlrev_b32_e32 v1, 3, v1
	v_cmp_eq_u32_e32 vcc, 0, v2
	v_and_b32_e32 v1, 0xf8, v1
	v_and_or_b32 v0, v0, 7, v1
	s_and_b64 s[40:41], vcc, s[40:41]
	v_cndmask_b32_e64 v0, v0, 0, s[40:41]
	v_or_b32_e32 v20, v0, v3
.LBB6_7477:                             ;   in Loop: Header=BB6_5679 Depth=3
	s_or_b64 exec, exec, s[50:51]
                                        ; implicit-def: $vgpr3
.LBB6_7478:                             ;   in Loop: Header=BB6_5679 Depth=3
	s_andn2_saveexec_b64 s[40:41], s[48:49]
; %bb.7479:                             ;   in Loop: Header=BB6_5679 Depth=3
	v_or_b32_e32 v20, 0x7e, v3
; %bb.7480:                             ;   in Loop: Header=BB6_5679 Depth=3
	s_or_b64 exec, exec, s[40:41]
                                        ; implicit-def: $vgpr0
.LBB6_7481:                             ;   in Loop: Header=BB6_5679 Depth=3
	s_andn2_saveexec_b64 s[40:41], s[38:39]
; %bb.7482:                             ;   in Loop: Header=BB6_5679 Depth=3
	v_or_b32_sdwa v20, v0, s83 dst_sel:DWORD dst_unused:UNUSED_PAD src0_sel:BYTE_3 src1_sel:DWORD
; %bb.7483:                             ;   in Loop: Header=BB6_5679 Depth=3
	s_or_b64 exec, exec, s[40:41]
	v_lshrrev_b16_e32 v2, 8, v22
	v_lshrrev_b16_e32 v0, 8, v18
	v_cmp_ne_u16_e64 s[40:41], 0, v2
	s_and_b64 vcc, exec, s[28:29]
	s_mov_b64 s[38:39], -1
                                        ; implicit-def: $vgpr1
	s_cbranch_vccnz .LBB6_7497
; %bb.7484:                             ;   in Loop: Header=BB6_5679 Depth=3
	v_mov_b32_e32 v3, 0
	v_mov_b32_e32 v1, 0
	s_and_saveexec_b64 s[38:39], s[40:41]
	s_cbranch_execz .LBB6_7490
; %bb.7485:                             ;   in Loop: Header=BB6_5679 Depth=3
	v_cmp_ne_u16_e32 vcc, s82, v2
	v_bfrev_b32_e32 v1, 1
	s_and_saveexec_b64 s[48:49], vcc
	s_cbranch_execz .LBB6_7489
; %bb.7486:                             ;   in Loop: Header=BB6_5679 Depth=3
	v_and_b32_e32 v6, 0x7f, v2
	v_cmp_ne_u32_e32 vcc, s83, v6
	v_mov_b32_e32 v1, 0x7f800001
	s_and_saveexec_b64 s[50:51], vcc
	s_cbranch_execz .LBB6_7488
; %bb.7487:                             ;   in Loop: Header=BB6_5679 Depth=3
	v_and_b32_e32 v1, 7, v2
	v_lshrrev_b32_e32 v16, 3, v6
	v_cmp_gt_u32_e32 vcc, 8, v6
	v_ffbh_u32_e32 v6, v1
	v_min_u32_e32 v21, 32, v6
	v_subrev_u32_e32 v6, 28, v21
	v_lshlrev_b64 v[6:7], v6, v[2:3]
	v_sub_u32_e32 v7, 29, v21
	v_and_b32_e32 v6, 7, v6
	v_cndmask_b32_e32 v7, v16, v7, vcc
	v_cndmask_b32_e32 v1, v1, v6, vcc
	v_lshlrev_b32_e32 v6, 16, v22
	v_bfrev_b32_e32 v16, 60
	v_lshlrev_b32_e32 v1, 20, v1
	v_and_b32_e32 v6, 0x80000000, v6
	v_lshl_add_u32 v7, v7, 23, v16
	v_or3_b32 v1, v6, v7, v1
.LBB6_7488:                             ;   in Loop: Header=BB6_5679 Depth=3
	s_or_b64 exec, exec, s[50:51]
.LBB6_7489:                             ;   in Loop: Header=BB6_5679 Depth=3
	s_or_b64 exec, exec, s[48:49]
.LBB6_7490:                             ;   in Loop: Header=BB6_5679 Depth=3
	s_or_b64 exec, exec, s[38:39]
	v_cmp_ne_u16_e32 vcc, 0, v0
	s_and_saveexec_b64 s[38:39], vcc
	s_cbranch_execz .LBB6_7496
; %bb.7491:                             ;   in Loop: Header=BB6_5679 Depth=3
	v_cmp_ne_u16_e32 vcc, s82, v0
	v_bfrev_b32_e32 v3, 1
	s_and_saveexec_b64 s[48:49], vcc
	s_cbranch_execz .LBB6_7495
; %bb.7492:                             ;   in Loop: Header=BB6_5679 Depth=3
	v_and_b32_e32 v6, 0x7f, v0
	v_cmp_ne_u32_e32 vcc, s83, v6
	v_mov_b32_e32 v3, 0x7f800001
	s_and_saveexec_b64 s[50:51], vcc
	s_cbranch_execz .LBB6_7494
; %bb.7493:                             ;   in Loop: Header=BB6_5679 Depth=3
	v_and_b32_e32 v3, 7, v0
	v_lshrrev_b32_e32 v16, 3, v6
	v_cmp_gt_u32_e32 vcc, 8, v6
	v_ffbh_u32_e32 v6, v3
	v_min_u32_e32 v21, 32, v6
	v_subrev_u32_e32 v6, 28, v21
	v_lshlrev_b64 v[6:7], v6, v[0:1]
	v_sub_u32_e32 v7, 29, v21
	v_and_b32_e32 v6, 7, v6
	v_cndmask_b32_e32 v7, v16, v7, vcc
	v_cndmask_b32_e32 v3, v3, v6, vcc
	v_lshlrev_b32_e32 v6, 16, v18
	v_bfrev_b32_e32 v16, 60
	v_lshlrev_b32_e32 v3, 20, v3
	v_and_b32_e32 v6, 0x80000000, v6
	v_lshl_add_u32 v7, v7, 23, v16
	v_or3_b32 v3, v6, v7, v3
.LBB6_7494:                             ;   in Loop: Header=BB6_5679 Depth=3
	s_or_b64 exec, exec, s[50:51]
.LBB6_7495:                             ;   in Loop: Header=BB6_5679 Depth=3
	s_or_b64 exec, exec, s[48:49]
.LBB6_7496:                             ;   in Loop: Header=BB6_5679 Depth=3
	s_or_b64 exec, exec, s[38:39]
	v_max_f32_e32 v3, v3, v3
	v_max_f32_e32 v1, v1, v1
	;; [unrolled: 1-line block ×3, first 2 shown]
	s_mov_b64 s[38:39], 0
.LBB6_7497:                             ;   in Loop: Header=BB6_5679 Depth=3
	s_and_b64 vcc, exec, s[38:39]
	s_cbranch_vccz .LBB6_7511
; %bb.7498:                             ;   in Loop: Header=BB6_5679 Depth=3
	v_mov_b32_e32 v3, 0
	v_mov_b32_e32 v1, 0
	s_and_saveexec_b64 s[38:39], s[40:41]
	s_cbranch_execz .LBB6_7504
; %bb.7499:                             ;   in Loop: Header=BB6_5679 Depth=3
	v_cmp_ne_u16_e32 vcc, s82, v2
	v_bfrev_b32_e32 v1, 1
	s_and_saveexec_b64 s[40:41], vcc
	s_cbranch_execz .LBB6_7503
; %bb.7500:                             ;   in Loop: Header=BB6_5679 Depth=3
	v_and_b32_e32 v6, 0x7f, v2
	v_cmp_ne_u32_e32 vcc, s83, v6
	v_mov_b32_e32 v1, 0x7f800001
	s_and_saveexec_b64 s[48:49], vcc
	s_cbranch_execz .LBB6_7502
; %bb.7501:                             ;   in Loop: Header=BB6_5679 Depth=3
	v_and_b32_e32 v7, 7, v2
	v_ffbh_u32_e32 v1, v7
	v_lshrrev_b32_e32 v16, 3, v6
	v_cmp_gt_u32_e32 vcc, 8, v6
	v_min_u32_e32 v6, 32, v1
	v_subrev_u32_e32 v1, 28, v6
	v_lshlrev_b64 v[1:2], v1, v[2:3]
	v_sub_u32_e32 v2, 29, v6
	v_and_b32_e32 v1, 7, v1
	v_cndmask_b32_e32 v2, v16, v2, vcc
	v_cndmask_b32_e32 v1, v7, v1, vcc
	v_lshlrev_b32_e32 v6, 16, v22
	v_bfrev_b32_e32 v7, 60
	v_lshlrev_b32_e32 v1, 20, v1
	v_and_b32_e32 v6, 0x80000000, v6
	v_lshl_add_u32 v2, v2, 23, v7
	v_or3_b32 v1, v6, v2, v1
.LBB6_7502:                             ;   in Loop: Header=BB6_5679 Depth=3
	s_or_b64 exec, exec, s[48:49]
.LBB6_7503:                             ;   in Loop: Header=BB6_5679 Depth=3
	s_or_b64 exec, exec, s[40:41]
.LBB6_7504:                             ;   in Loop: Header=BB6_5679 Depth=3
	s_or_b64 exec, exec, s[38:39]
	v_cmp_ne_u16_e32 vcc, 0, v0
	s_and_saveexec_b64 s[40:41], vcc
	s_cbranch_execz .LBB6_7510
; %bb.7505:                             ;   in Loop: Header=BB6_5679 Depth=3
	v_cmp_ne_u16_e32 vcc, s82, v0
	v_bfrev_b32_e32 v3, 1
	s_and_saveexec_b64 s[38:39], vcc
	s_cbranch_execz .LBB6_7509
; %bb.7506:                             ;   in Loop: Header=BB6_5679 Depth=3
	v_and_b32_e32 v2, 0x7f, v0
	v_cmp_ne_u32_e32 vcc, s83, v2
	v_mov_b32_e32 v3, 0x7f800001
	s_and_saveexec_b64 s[48:49], vcc
	s_cbranch_execz .LBB6_7508
; %bb.7507:                             ;   in Loop: Header=BB6_5679 Depth=3
	v_and_b32_e32 v6, 7, v0
	v_lshrrev_b32_e32 v7, 3, v2
	v_cmp_gt_u32_e32 vcc, 8, v2
	v_ffbh_u32_e32 v2, v6
	v_min_u32_e32 v16, 32, v2
	v_subrev_u32_e32 v2, 28, v16
	v_lshlrev_b64 v[2:3], v2, v[0:1]
	v_sub_u32_e32 v0, 29, v16
	v_and_b32_e32 v2, 7, v2
	v_cndmask_b32_e32 v0, v7, v0, vcc
	v_cndmask_b32_e32 v2, v6, v2, vcc
	v_lshlrev_b32_e32 v3, 16, v18
	v_bfrev_b32_e32 v6, 60
	v_lshlrev_b32_e32 v2, 20, v2
	v_and_b32_e32 v3, 0x80000000, v3
	v_lshl_add_u32 v0, v0, 23, v6
	v_or3_b32 v3, v3, v0, v2
.LBB6_7508:                             ;   in Loop: Header=BB6_5679 Depth=3
	s_or_b64 exec, exec, s[48:49]
.LBB6_7509:                             ;   in Loop: Header=BB6_5679 Depth=3
	s_or_b64 exec, exec, s[38:39]
.LBB6_7510:                             ;   in Loop: Header=BB6_5679 Depth=3
	s_or_b64 exec, exec, s[40:41]
	v_max_f32_e32 v0, v3, v3
	v_max_f32_e32 v1, v1, v1
	v_min_f32_e32 v1, v1, v0
.LBB6_7511:                             ;   in Loop: Header=BB6_5679 Depth=3
	v_and_b32_e32 v52, 0x7f800000, v1
	v_cmp_ne_u64_e32 vcc, s[76:77], v[52:53]
                                        ; implicit-def: $vgpr21
	s_and_saveexec_b64 s[40:41], vcc
	s_xor_b64 s[38:39], exec, s[40:41]
	s_cbranch_execz .LBB6_7525
; %bb.7512:                             ;   in Loop: Header=BB6_5679 Depth=3
	v_and_b32_e32 v52, 0x7fffffff, v1
	v_cmp_gt_u64_e32 vcc, s[78:79], v[52:53]
	v_and_b32_sdwa v3, v1, s82 dst_sel:DWORD dst_unused:UNUSED_PAD src0_sel:BYTE_3 src1_sel:DWORD
                                        ; implicit-def: $vgpr21
	s_and_saveexec_b64 s[40:41], vcc
	s_xor_b64 s[48:49], exec, s[40:41]
	s_cbranch_execz .LBB6_7522
; %bb.7513:                             ;   in Loop: Header=BB6_5679 Depth=3
	v_mov_b32_e32 v21, 0
	v_cmp_ne_u32_e32 vcc, 0, v1
	s_and_saveexec_b64 s[50:51], vcc
	s_cbranch_execz .LBB6_7521
; %bb.7514:                             ;   in Loop: Header=BB6_5679 Depth=3
	v_bfe_u32 v6, v1, 23, 8
	v_and_b32_e32 v0, 0x7fffff, v1
	v_cmp_gt_u32_e64 s[40:41], s85, v6
	v_sub_u32_e32 v1, 0x79, v6
	v_cmp_eq_u32_e32 vcc, 0, v6
	v_cndmask_b32_e64 v1, 0, v1, s[40:41]
	v_mov_b32_e32 v7, 0x78
	v_or_b32_e32 v2, 0x800000, v0
	v_cndmask_b32_e32 v7, v1, v7, vcc
	v_cndmask_b32_e32 v52, v2, v0, vcc
	v_add_u32_e32 v0, 20, v7
	v_lshlrev_b64 v[0:1], v0, -1
	v_add_u32_e32 v2, 19, v7
	v_lshlrev_b64 v[38:39], v2, 1
	v_bfi_b32 v1, v1, 0, 0
	v_bfi_b32 v0, v0, 0, v52
	v_cmp_eq_u64_e64 s[40:41], v[0:1], v[38:39]
	v_lshrrev_b64 v[0:1], v7, v[52:53]
	v_mov_b32_e32 v2, v1
	v_mov_b32_e32 v1, v0
	s_and_saveexec_b64 s[52:53], s[40:41]
; %bb.7515:                             ;   in Loop: Header=BB6_5679 Depth=3
	v_bfe_u32 v1, v0, 20, 1
	v_add_co_u32_e64 v1, s[40:41], v0, v1
	v_add_co_u32_e64 v1, s[40:41], -1, v1
; %bb.7516:                             ;   in Loop: Header=BB6_5679 Depth=3
	s_or_b64 exec, exec, s[52:53]
	v_add_u32_e32 v2, 0xffffff81, v6
	v_mov_b32_e32 v6, 0xffffff82
	v_cndmask_b32_e32 v2, v2, v6, vcc
	v_lshrrev_b32_e32 v6, 23, v0
	v_add3_u32 v7, v7, v2, v6
	v_add_u32_e32 v6, 6, v7
	v_and_b32_e32 v1, 0xfffff, v1
	v_add_u32_e32 v52, v1, v0
	v_cmp_ne_u32_e32 vcc, 0, v6
                                        ; implicit-def: $vgpr0_vgpr1
                                        ; implicit-def: $vgpr2
	s_and_saveexec_b64 s[40:41], vcc
	s_xor_b64 s[40:41], exec, s[40:41]
; %bb.7517:                             ;   in Loop: Header=BB6_5679 Depth=3
	v_cmp_lt_u64_e32 vcc, s[88:89], v[52:53]
	v_add_u32_e32 v0, 7, v7
	v_cndmask_b32_e32 v2, v6, v0, vcc
	v_cndmask_b32_e64 v0, 0, 1, vcc
	v_lshrrev_b64 v[0:1], v0, v[52:53]
; %bb.7518:                             ;   in Loop: Header=BB6_5679 Depth=3
	s_andn2_saveexec_b64 s[40:41], s[40:41]
; %bb.7519:                             ;   in Loop: Header=BB6_5679 Depth=3
	v_mov_b32_e32 v0, v52
	v_mov_b32_e32 v1, v53
	v_bfe_u32 v2, v52, 23, 1
; %bb.7520:                             ;   in Loop: Header=BB6_5679 Depth=3
	s_or_b64 exec, exec, s[40:41]
	v_lshrrev_b64 v[0:1], 20, v[0:1]
	v_cmp_gt_i32_e32 vcc, 16, v2
	v_cndmask_b32_e32 v1, 0, v1, vcc
	v_cndmask_b32_e32 v0, 7, v0, vcc
	v_cmp_eq_u64_e64 s[40:41], 0, v[0:1]
	v_min_i32_e32 v1, 15, v2
	v_lshlrev_b32_e32 v1, 3, v1
	v_cmp_eq_u32_e32 vcc, 0, v2
	v_and_b32_e32 v1, 0xf8, v1
	v_and_or_b32 v0, v0, 7, v1
	s_and_b64 s[40:41], vcc, s[40:41]
	v_cndmask_b32_e64 v0, v0, 0, s[40:41]
	v_or_b32_e32 v21, v0, v3
.LBB6_7521:                             ;   in Loop: Header=BB6_5679 Depth=3
	s_or_b64 exec, exec, s[50:51]
                                        ; implicit-def: $vgpr3
.LBB6_7522:                             ;   in Loop: Header=BB6_5679 Depth=3
	s_andn2_saveexec_b64 s[40:41], s[48:49]
; %bb.7523:                             ;   in Loop: Header=BB6_5679 Depth=3
	v_or_b32_e32 v21, 0x7e, v3
; %bb.7524:                             ;   in Loop: Header=BB6_5679 Depth=3
	s_or_b64 exec, exec, s[40:41]
                                        ; implicit-def: $vgpr1
.LBB6_7525:                             ;   in Loop: Header=BB6_5679 Depth=3
	s_andn2_saveexec_b64 s[40:41], s[38:39]
; %bb.7526:                             ;   in Loop: Header=BB6_5679 Depth=3
	v_or_b32_sdwa v21, v1, s83 dst_sel:DWORD dst_unused:UNUSED_PAD src0_sel:BYTE_3 src1_sel:DWORD
; %bb.7527:                             ;   in Loop: Header=BB6_5679 Depth=3
	s_or_b64 exec, exec, s[40:41]
	v_lshrrev_b32_e32 v2, 16, v22
	v_lshrrev_b32_e32 v0, 16, v18
	v_cmp_ne_u16_sdwa s[40:41], v2, v53 src0_sel:BYTE_0 src1_sel:DWORD
	s_and_b64 vcc, exec, s[28:29]
	s_mov_b64 s[38:39], -1
                                        ; implicit-def: $vgpr1
	s_cbranch_vccnz .LBB6_7541
; %bb.7528:                             ;   in Loop: Header=BB6_5679 Depth=3
	v_mov_b32_e32 v3, 0
	v_mov_b32_e32 v1, 0
	s_and_saveexec_b64 s[38:39], s[40:41]
	s_cbranch_execz .LBB6_7534
; %bb.7529:                             ;   in Loop: Header=BB6_5679 Depth=3
	v_cmp_ne_u16_sdwa vcc, v2, s82 src0_sel:BYTE_0 src1_sel:DWORD
	v_bfrev_b32_e32 v1, 1
	s_and_saveexec_b64 s[48:49], vcc
	s_cbranch_execz .LBB6_7533
; %bb.7530:                             ;   in Loop: Header=BB6_5679 Depth=3
	v_bfe_u32 v6, v22, 16, 7
	v_cmp_ne_u32_e32 vcc, s83, v6
	v_mov_b32_e32 v1, 0x7f800001
	s_and_saveexec_b64 s[50:51], vcc
	s_cbranch_execz .LBB6_7532
; %bb.7531:                             ;   in Loop: Header=BB6_5679 Depth=3
	v_and_b32_e32 v1, 7, v2
	v_lshrrev_b32_e32 v16, 3, v6
	v_cmp_gt_u32_e32 vcc, 8, v6
	v_ffbh_u32_e32 v6, v1
	v_min_u32_e32 v31, 32, v6
	v_subrev_u32_e32 v6, 28, v31
	v_lshlrev_b64 v[6:7], v6, v[2:3]
	v_sub_u32_e32 v7, 29, v31
	v_and_b32_e32 v6, 7, v6
	v_cndmask_b32_e32 v7, v16, v7, vcc
	v_cndmask_b32_e32 v1, v1, v6, vcc
	v_lshlrev_b32_e32 v6, 24, v2
	v_bfrev_b32_e32 v16, 60
	v_lshlrev_b32_e32 v1, 20, v1
	v_and_b32_e32 v6, 0x80000000, v6
	v_lshl_add_u32 v7, v7, 23, v16
	v_or3_b32 v1, v6, v7, v1
.LBB6_7532:                             ;   in Loop: Header=BB6_5679 Depth=3
	s_or_b64 exec, exec, s[50:51]
.LBB6_7533:                             ;   in Loop: Header=BB6_5679 Depth=3
	s_or_b64 exec, exec, s[48:49]
.LBB6_7534:                             ;   in Loop: Header=BB6_5679 Depth=3
	s_or_b64 exec, exec, s[38:39]
	v_cmp_ne_u16_sdwa vcc, v0, v53 src0_sel:BYTE_0 src1_sel:DWORD
	s_and_saveexec_b64 s[38:39], vcc
	s_cbranch_execz .LBB6_7540
; %bb.7535:                             ;   in Loop: Header=BB6_5679 Depth=3
	v_cmp_ne_u16_sdwa vcc, v0, s82 src0_sel:BYTE_0 src1_sel:DWORD
	v_bfrev_b32_e32 v3, 1
	s_and_saveexec_b64 s[48:49], vcc
	s_cbranch_execz .LBB6_7539
; %bb.7536:                             ;   in Loop: Header=BB6_5679 Depth=3
	v_bfe_u32 v6, v18, 16, 7
	v_cmp_ne_u32_e32 vcc, s83, v6
	v_mov_b32_e32 v3, 0x7f800001
	s_and_saveexec_b64 s[50:51], vcc
	s_cbranch_execz .LBB6_7538
; %bb.7537:                             ;   in Loop: Header=BB6_5679 Depth=3
	v_and_b32_e32 v3, 7, v0
	v_lshrrev_b32_e32 v16, 3, v6
	v_cmp_gt_u32_e32 vcc, 8, v6
	v_ffbh_u32_e32 v6, v3
	v_min_u32_e32 v31, 32, v6
	v_subrev_u32_e32 v6, 28, v31
	v_lshlrev_b64 v[6:7], v6, v[0:1]
	v_sub_u32_e32 v7, 29, v31
	v_and_b32_e32 v6, 7, v6
	v_cndmask_b32_e32 v7, v16, v7, vcc
	v_cndmask_b32_e32 v3, v3, v6, vcc
	v_lshlrev_b32_e32 v6, 24, v0
	v_bfrev_b32_e32 v16, 60
	v_lshlrev_b32_e32 v3, 20, v3
	v_and_b32_e32 v6, 0x80000000, v6
	v_lshl_add_u32 v7, v7, 23, v16
	v_or3_b32 v3, v6, v7, v3
.LBB6_7538:                             ;   in Loop: Header=BB6_5679 Depth=3
	s_or_b64 exec, exec, s[50:51]
.LBB6_7539:                             ;   in Loop: Header=BB6_5679 Depth=3
	s_or_b64 exec, exec, s[48:49]
.LBB6_7540:                             ;   in Loop: Header=BB6_5679 Depth=3
	s_or_b64 exec, exec, s[38:39]
	v_max_f32_e32 v3, v3, v3
	v_max_f32_e32 v1, v1, v1
	;; [unrolled: 1-line block ×3, first 2 shown]
	s_mov_b64 s[38:39], 0
.LBB6_7541:                             ;   in Loop: Header=BB6_5679 Depth=3
	s_and_b64 vcc, exec, s[38:39]
	s_cbranch_vccz .LBB6_7555
; %bb.7542:                             ;   in Loop: Header=BB6_5679 Depth=3
	v_mov_b32_e32 v3, 0
	v_mov_b32_e32 v1, 0
	s_and_saveexec_b64 s[38:39], s[40:41]
	s_cbranch_execz .LBB6_7548
; %bb.7543:                             ;   in Loop: Header=BB6_5679 Depth=3
	v_cmp_ne_u16_sdwa vcc, v2, s82 src0_sel:BYTE_0 src1_sel:DWORD
	v_bfrev_b32_e32 v1, 1
	s_and_saveexec_b64 s[40:41], vcc
	s_cbranch_execz .LBB6_7547
; %bb.7544:                             ;   in Loop: Header=BB6_5679 Depth=3
	v_bfe_u32 v6, v22, 16, 7
	v_cmp_ne_u32_e32 vcc, s83, v6
	v_mov_b32_e32 v1, 0x7f800001
	s_and_saveexec_b64 s[48:49], vcc
	s_cbranch_execz .LBB6_7546
; %bb.7545:                             ;   in Loop: Header=BB6_5679 Depth=3
	v_and_b32_e32 v1, 7, v2
	v_lshrrev_b32_e32 v16, 3, v6
	v_cmp_gt_u32_e32 vcc, 8, v6
	v_ffbh_u32_e32 v6, v1
	v_min_u32_e32 v31, 32, v6
	v_subrev_u32_e32 v6, 28, v31
	v_lshlrev_b64 v[6:7], v6, v[2:3]
	v_sub_u32_e32 v7, 29, v31
	v_and_b32_e32 v6, 7, v6
	v_cndmask_b32_e32 v7, v16, v7, vcc
	v_cndmask_b32_e32 v1, v1, v6, vcc
	v_lshlrev_b32_e32 v2, 24, v2
	v_bfrev_b32_e32 v6, 60
	v_lshlrev_b32_e32 v1, 20, v1
	v_and_b32_e32 v2, 0x80000000, v2
	v_lshl_add_u32 v6, v7, 23, v6
	v_or3_b32 v1, v2, v6, v1
.LBB6_7546:                             ;   in Loop: Header=BB6_5679 Depth=3
	s_or_b64 exec, exec, s[48:49]
.LBB6_7547:                             ;   in Loop: Header=BB6_5679 Depth=3
	s_or_b64 exec, exec, s[40:41]
.LBB6_7548:                             ;   in Loop: Header=BB6_5679 Depth=3
	s_or_b64 exec, exec, s[38:39]
	v_cmp_ne_u16_sdwa vcc, v0, v53 src0_sel:BYTE_0 src1_sel:DWORD
	s_and_saveexec_b64 s[40:41], vcc
	s_cbranch_execz .LBB6_7554
; %bb.7549:                             ;   in Loop: Header=BB6_5679 Depth=3
	v_cmp_ne_u16_sdwa vcc, v0, s82 src0_sel:BYTE_0 src1_sel:DWORD
	v_bfrev_b32_e32 v3, 1
	s_and_saveexec_b64 s[38:39], vcc
	s_cbranch_execz .LBB6_7553
; %bb.7550:                             ;   in Loop: Header=BB6_5679 Depth=3
	v_bfe_u32 v2, v18, 16, 7
	v_cmp_ne_u32_e32 vcc, s83, v2
	v_mov_b32_e32 v3, 0x7f800001
	s_and_saveexec_b64 s[48:49], vcc
	s_cbranch_execz .LBB6_7552
; %bb.7551:                             ;   in Loop: Header=BB6_5679 Depth=3
	v_and_b32_e32 v6, 7, v0
	v_lshrrev_b32_e32 v7, 3, v2
	v_cmp_gt_u32_e32 vcc, 8, v2
	v_ffbh_u32_e32 v2, v6
	v_min_u32_e32 v16, 32, v2
	v_subrev_u32_e32 v2, 28, v16
	v_lshlrev_b64 v[2:3], v2, v[0:1]
	v_sub_u32_e32 v3, 29, v16
	v_and_b32_e32 v2, 7, v2
	v_cndmask_b32_e32 v3, v7, v3, vcc
	v_cndmask_b32_e32 v2, v6, v2, vcc
	v_lshlrev_b32_e32 v0, 24, v0
	v_bfrev_b32_e32 v6, 60
	v_lshlrev_b32_e32 v2, 20, v2
	v_and_b32_e32 v0, 0x80000000, v0
	v_lshl_add_u32 v3, v3, 23, v6
	v_or3_b32 v3, v0, v3, v2
.LBB6_7552:                             ;   in Loop: Header=BB6_5679 Depth=3
	s_or_b64 exec, exec, s[48:49]
.LBB6_7553:                             ;   in Loop: Header=BB6_5679 Depth=3
	s_or_b64 exec, exec, s[38:39]
.LBB6_7554:                             ;   in Loop: Header=BB6_5679 Depth=3
	s_or_b64 exec, exec, s[40:41]
	v_max_f32_e32 v0, v3, v3
	v_max_f32_e32 v1, v1, v1
	v_min_f32_e32 v1, v1, v0
.LBB6_7555:                             ;   in Loop: Header=BB6_5679 Depth=3
	v_and_b32_e32 v52, 0x7f800000, v1
	v_cmp_ne_u64_e32 vcc, s[76:77], v[52:53]
	buffer_store_dword v20, off, s[0:3], s33 offset:312 ; 4-byte Folded Spill
	v_mov_b32_e32 v20, v17
	v_mov_b32_e32 v17, v32
	;; [unrolled: 1-line block ×7, first 2 shown]
                                        ; implicit-def: $vgpr40
	s_and_saveexec_b64 s[40:41], vcc
	s_xor_b64 s[38:39], exec, s[40:41]
	s_cbranch_execz .LBB6_7569
; %bb.7556:                             ;   in Loop: Header=BB6_5679 Depth=3
	v_and_b32_e32 v52, 0x7fffffff, v1
	v_cmp_gt_u64_e32 vcc, s[78:79], v[52:53]
	v_and_b32_sdwa v3, v1, s82 dst_sel:DWORD dst_unused:UNUSED_PAD src0_sel:BYTE_3 src1_sel:DWORD
                                        ; implicit-def: $vgpr40
	s_and_saveexec_b64 s[40:41], vcc
	s_xor_b64 s[48:49], exec, s[40:41]
	s_cbranch_execz .LBB6_7566
; %bb.7557:                             ;   in Loop: Header=BB6_5679 Depth=3
	v_mov_b32_e32 v40, 0
	v_cmp_ne_u32_e32 vcc, 0, v1
	s_and_saveexec_b64 s[50:51], vcc
	s_cbranch_execz .LBB6_7565
; %bb.7558:                             ;   in Loop: Header=BB6_5679 Depth=3
	v_bfe_u32 v6, v1, 23, 8
	v_and_b32_e32 v0, 0x7fffff, v1
	v_cmp_gt_u32_e64 s[40:41], s85, v6
	v_sub_u32_e32 v1, 0x79, v6
	v_cmp_eq_u32_e32 vcc, 0, v6
	v_cndmask_b32_e64 v1, 0, v1, s[40:41]
	v_mov_b32_e32 v7, 0x78
	v_or_b32_e32 v2, 0x800000, v0
	v_cndmask_b32_e32 v7, v1, v7, vcc
	v_cndmask_b32_e32 v52, v2, v0, vcc
	v_add_u32_e32 v0, 20, v7
	v_lshlrev_b64 v[0:1], v0, -1
	v_add_u32_e32 v2, 19, v7
	v_lshlrev_b64 v[38:39], v2, 1
	v_bfi_b32 v1, v1, 0, 0
	v_bfi_b32 v0, v0, 0, v52
	v_cmp_eq_u64_e64 s[40:41], v[0:1], v[38:39]
	v_lshrrev_b64 v[0:1], v7, v[52:53]
	v_mov_b32_e32 v2, v1
	v_mov_b32_e32 v1, v0
	s_and_saveexec_b64 s[52:53], s[40:41]
; %bb.7559:                             ;   in Loop: Header=BB6_5679 Depth=3
	v_bfe_u32 v1, v0, 20, 1
	v_add_co_u32_e64 v1, s[40:41], v0, v1
	v_add_co_u32_e64 v1, s[40:41], -1, v1
; %bb.7560:                             ;   in Loop: Header=BB6_5679 Depth=3
	s_or_b64 exec, exec, s[52:53]
	v_add_u32_e32 v2, 0xffffff81, v6
	v_mov_b32_e32 v6, 0xffffff82
	v_cndmask_b32_e32 v2, v2, v6, vcc
	v_lshrrev_b32_e32 v6, 23, v0
	v_add3_u32 v7, v7, v2, v6
	v_add_u32_e32 v6, 6, v7
	v_and_b32_e32 v1, 0xfffff, v1
	v_add_u32_e32 v52, v1, v0
	v_cmp_ne_u32_e32 vcc, 0, v6
                                        ; implicit-def: $vgpr0_vgpr1
                                        ; implicit-def: $vgpr2
	s_and_saveexec_b64 s[40:41], vcc
	s_xor_b64 s[40:41], exec, s[40:41]
; %bb.7561:                             ;   in Loop: Header=BB6_5679 Depth=3
	v_cmp_lt_u64_e32 vcc, s[88:89], v[52:53]
	v_add_u32_e32 v0, 7, v7
	v_cndmask_b32_e32 v2, v6, v0, vcc
	v_cndmask_b32_e64 v0, 0, 1, vcc
	v_lshrrev_b64 v[0:1], v0, v[52:53]
; %bb.7562:                             ;   in Loop: Header=BB6_5679 Depth=3
	s_andn2_saveexec_b64 s[40:41], s[40:41]
; %bb.7563:                             ;   in Loop: Header=BB6_5679 Depth=3
	v_mov_b32_e32 v0, v52
	v_mov_b32_e32 v1, v53
	v_bfe_u32 v2, v52, 23, 1
; %bb.7564:                             ;   in Loop: Header=BB6_5679 Depth=3
	s_or_b64 exec, exec, s[40:41]
	v_lshrrev_b64 v[0:1], 20, v[0:1]
	v_cmp_gt_i32_e32 vcc, 16, v2
	v_cndmask_b32_e32 v1, 0, v1, vcc
	v_cndmask_b32_e32 v0, 7, v0, vcc
	v_cmp_eq_u64_e64 s[40:41], 0, v[0:1]
	v_min_i32_e32 v1, 15, v2
	v_lshlrev_b32_e32 v1, 3, v1
	v_cmp_eq_u32_e32 vcc, 0, v2
	v_and_b32_e32 v1, 0xf8, v1
	v_and_or_b32 v0, v0, 7, v1
	s_and_b64 s[40:41], vcc, s[40:41]
	v_cndmask_b32_e64 v0, v0, 0, s[40:41]
	v_or_b32_e32 v40, v0, v3
.LBB6_7565:                             ;   in Loop: Header=BB6_5679 Depth=3
	s_or_b64 exec, exec, s[50:51]
                                        ; implicit-def: $vgpr3
.LBB6_7566:                             ;   in Loop: Header=BB6_5679 Depth=3
	s_andn2_saveexec_b64 s[40:41], s[48:49]
; %bb.7567:                             ;   in Loop: Header=BB6_5679 Depth=3
	v_or_b32_e32 v40, 0x7e, v3
; %bb.7568:                             ;   in Loop: Header=BB6_5679 Depth=3
	s_or_b64 exec, exec, s[40:41]
                                        ; implicit-def: $vgpr1
.LBB6_7569:                             ;   in Loop: Header=BB6_5679 Depth=3
	s_andn2_saveexec_b64 s[40:41], s[38:39]
; %bb.7570:                             ;   in Loop: Header=BB6_5679 Depth=3
	v_or_b32_sdwa v40, v1, s83 dst_sel:DWORD dst_unused:UNUSED_PAD src0_sel:BYTE_3 src1_sel:DWORD
; %bb.7571:                             ;   in Loop: Header=BB6_5679 Depth=3
	s_or_b64 exec, exec, s[40:41]
	v_lshrrev_b32_e32 v2, 24, v22
	v_lshrrev_b32_e32 v0, 24, v18
	v_cmp_lt_u32_e64 s[40:41], s63, v22
	s_and_b64 vcc, exec, s[28:29]
	s_mov_b64 s[38:39], -1
                                        ; implicit-def: $vgpr1
	s_cbranch_vccnz .LBB6_7585
; %bb.7572:                             ;   in Loop: Header=BB6_5679 Depth=3
	v_mov_b32_e32 v3, 0
	v_mov_b32_e32 v1, 0
	s_and_saveexec_b64 s[38:39], s[40:41]
	s_cbranch_execz .LBB6_7578
; %bb.7573:                             ;   in Loop: Header=BB6_5679 Depth=3
	v_cmp_ne_u32_e32 vcc, s82, v2
	v_bfrev_b32_e32 v1, 1
	s_and_saveexec_b64 s[48:49], vcc
	s_cbranch_execz .LBB6_7577
; %bb.7574:                             ;   in Loop: Header=BB6_5679 Depth=3
	v_bfe_u32 v6, v22, 24, 7
	v_cmp_ne_u32_e32 vcc, s83, v6
	v_mov_b32_e32 v1, 0x7f800001
	s_and_saveexec_b64 s[50:51], vcc
	s_cbranch_execz .LBB6_7576
; %bb.7575:                             ;   in Loop: Header=BB6_5679 Depth=3
	v_and_b32_e32 v1, 7, v2
	v_lshrrev_b32_e32 v16, 3, v6
	v_cmp_gt_u32_e32 vcc, 8, v6
	v_ffbh_u32_e32 v6, v1
	v_min_u32_e32 v31, 32, v6
	v_subrev_u32_e32 v6, 28, v31
	v_lshlrev_b64 v[6:7], v6, v[2:3]
	v_sub_u32_e32 v7, 29, v31
	v_and_b32_e32 v6, 7, v6
	v_cndmask_b32_e32 v7, v16, v7, vcc
	v_cndmask_b32_e32 v1, v1, v6, vcc
	v_lshlrev_b32_e32 v6, 24, v2
	v_bfrev_b32_e32 v16, 60
	v_lshlrev_b32_e32 v1, 20, v1
	v_and_b32_e32 v6, 0x80000000, v6
	v_lshl_add_u32 v7, v7, 23, v16
	v_or3_b32 v1, v6, v7, v1
.LBB6_7576:                             ;   in Loop: Header=BB6_5679 Depth=3
	s_or_b64 exec, exec, s[50:51]
.LBB6_7577:                             ;   in Loop: Header=BB6_5679 Depth=3
	s_or_b64 exec, exec, s[48:49]
.LBB6_7578:                             ;   in Loop: Header=BB6_5679 Depth=3
	s_or_b64 exec, exec, s[38:39]
	v_cmp_lt_u32_e32 vcc, s63, v18
	s_and_saveexec_b64 s[38:39], vcc
	s_cbranch_execz .LBB6_7584
; %bb.7579:                             ;   in Loop: Header=BB6_5679 Depth=3
	v_cmp_ne_u32_e32 vcc, s82, v0
	v_bfrev_b32_e32 v3, 1
	s_and_saveexec_b64 s[48:49], vcc
	s_cbranch_execz .LBB6_7583
; %bb.7580:                             ;   in Loop: Header=BB6_5679 Depth=3
	v_bfe_u32 v6, v18, 24, 7
	v_cmp_ne_u32_e32 vcc, s83, v6
	v_mov_b32_e32 v3, 0x7f800001
	s_and_saveexec_b64 s[50:51], vcc
	s_cbranch_execz .LBB6_7582
; %bb.7581:                             ;   in Loop: Header=BB6_5679 Depth=3
	v_and_b32_e32 v3, 7, v0
	v_lshrrev_b32_e32 v16, 3, v6
	v_cmp_gt_u32_e32 vcc, 8, v6
	v_ffbh_u32_e32 v6, v3
	v_min_u32_e32 v31, 32, v6
	v_subrev_u32_e32 v6, 28, v31
	v_lshlrev_b64 v[6:7], v6, v[0:1]
	v_sub_u32_e32 v7, 29, v31
	v_and_b32_e32 v6, 7, v6
	v_cndmask_b32_e32 v7, v16, v7, vcc
	v_cndmask_b32_e32 v3, v3, v6, vcc
	v_lshlrev_b32_e32 v6, 24, v0
	v_bfrev_b32_e32 v16, 60
	v_lshlrev_b32_e32 v3, 20, v3
	v_and_b32_e32 v6, 0x80000000, v6
	v_lshl_add_u32 v7, v7, 23, v16
	v_or3_b32 v3, v6, v7, v3
.LBB6_7582:                             ;   in Loop: Header=BB6_5679 Depth=3
	s_or_b64 exec, exec, s[50:51]
.LBB6_7583:                             ;   in Loop: Header=BB6_5679 Depth=3
	s_or_b64 exec, exec, s[48:49]
.LBB6_7584:                             ;   in Loop: Header=BB6_5679 Depth=3
	s_or_b64 exec, exec, s[38:39]
	v_max_f32_e32 v3, v3, v3
	v_max_f32_e32 v1, v1, v1
	;; [unrolled: 1-line block ×3, first 2 shown]
	s_mov_b64 s[38:39], 0
.LBB6_7585:                             ;   in Loop: Header=BB6_5679 Depth=3
	s_and_b64 vcc, exec, s[38:39]
	s_cbranch_vccz .LBB6_7599
; %bb.7586:                             ;   in Loop: Header=BB6_5679 Depth=3
	v_mov_b32_e32 v3, 0
	v_mov_b32_e32 v1, 0
	s_and_saveexec_b64 s[38:39], s[40:41]
	s_cbranch_execz .LBB6_7592
; %bb.7587:                             ;   in Loop: Header=BB6_5679 Depth=3
	v_cmp_ne_u32_e32 vcc, s82, v2
	v_bfrev_b32_e32 v1, 1
	s_and_saveexec_b64 s[40:41], vcc
	s_cbranch_execz .LBB6_7591
; %bb.7588:                             ;   in Loop: Header=BB6_5679 Depth=3
	v_bfe_u32 v6, v22, 24, 7
	v_cmp_ne_u32_e32 vcc, s83, v6
	v_mov_b32_e32 v1, 0x7f800001
	s_and_saveexec_b64 s[48:49], vcc
	s_cbranch_execz .LBB6_7590
; %bb.7589:                             ;   in Loop: Header=BB6_5679 Depth=3
	v_and_b32_e32 v1, 7, v2
	v_lshrrev_b32_e32 v16, 3, v6
	v_cmp_gt_u32_e32 vcc, 8, v6
	v_ffbh_u32_e32 v6, v1
	v_min_u32_e32 v31, 32, v6
	v_subrev_u32_e32 v6, 28, v31
	v_lshlrev_b64 v[6:7], v6, v[2:3]
	v_sub_u32_e32 v7, 29, v31
	v_and_b32_e32 v6, 7, v6
	v_cndmask_b32_e32 v7, v16, v7, vcc
	v_cndmask_b32_e32 v1, v1, v6, vcc
	v_lshlrev_b32_e32 v2, 24, v2
	v_bfrev_b32_e32 v6, 60
	v_lshlrev_b32_e32 v1, 20, v1
	v_and_b32_e32 v2, 0x80000000, v2
	v_lshl_add_u32 v6, v7, 23, v6
	v_or3_b32 v1, v2, v6, v1
.LBB6_7590:                             ;   in Loop: Header=BB6_5679 Depth=3
	s_or_b64 exec, exec, s[48:49]
.LBB6_7591:                             ;   in Loop: Header=BB6_5679 Depth=3
	s_or_b64 exec, exec, s[40:41]
.LBB6_7592:                             ;   in Loop: Header=BB6_5679 Depth=3
	s_or_b64 exec, exec, s[38:39]
	v_cmp_lt_u32_e32 vcc, s63, v18
	s_and_saveexec_b64 s[40:41], vcc
	s_cbranch_execz .LBB6_7598
; %bb.7593:                             ;   in Loop: Header=BB6_5679 Depth=3
	v_cmp_ne_u32_e32 vcc, s82, v0
	v_bfrev_b32_e32 v3, 1
	s_and_saveexec_b64 s[38:39], vcc
	s_cbranch_execz .LBB6_7597
; %bb.7594:                             ;   in Loop: Header=BB6_5679 Depth=3
	v_bfe_u32 v2, v18, 24, 7
	v_cmp_ne_u32_e32 vcc, s83, v2
	v_mov_b32_e32 v3, 0x7f800001
	s_and_saveexec_b64 s[48:49], vcc
	s_cbranch_execz .LBB6_7596
; %bb.7595:                             ;   in Loop: Header=BB6_5679 Depth=3
	v_and_b32_e32 v6, 7, v0
	v_lshrrev_b32_e32 v7, 3, v2
	v_cmp_gt_u32_e32 vcc, 8, v2
	v_ffbh_u32_e32 v2, v6
	v_min_u32_e32 v16, 32, v2
	v_subrev_u32_e32 v2, 28, v16
	v_lshlrev_b64 v[2:3], v2, v[0:1]
	v_sub_u32_e32 v3, 29, v16
	v_and_b32_e32 v2, 7, v2
	v_cndmask_b32_e32 v3, v7, v3, vcc
	v_cndmask_b32_e32 v2, v6, v2, vcc
	v_lshlrev_b32_e32 v0, 24, v0
	v_bfrev_b32_e32 v6, 60
	v_lshlrev_b32_e32 v2, 20, v2
	v_and_b32_e32 v0, 0x80000000, v0
	v_lshl_add_u32 v3, v3, 23, v6
	v_or3_b32 v3, v0, v3, v2
.LBB6_7596:                             ;   in Loop: Header=BB6_5679 Depth=3
	s_or_b64 exec, exec, s[48:49]
.LBB6_7597:                             ;   in Loop: Header=BB6_5679 Depth=3
	s_or_b64 exec, exec, s[38:39]
.LBB6_7598:                             ;   in Loop: Header=BB6_5679 Depth=3
	s_or_b64 exec, exec, s[40:41]
	v_max_f32_e32 v0, v3, v3
	v_max_f32_e32 v1, v1, v1
	v_min_f32_e32 v1, v1, v0
.LBB6_7599:                             ;   in Loop: Header=BB6_5679 Depth=3
	v_and_b32_e32 v52, 0x7f800000, v1
	v_cmp_ne_u64_e32 vcc, s[76:77], v[52:53]
	v_mov_b32_e32 v42, v49
	v_mov_b32_e32 v49, v41
                                        ; implicit-def: $vgpr41
	s_and_saveexec_b64 s[40:41], vcc
	s_xor_b64 s[38:39], exec, s[40:41]
	s_cbranch_execz .LBB6_7613
; %bb.7600:                             ;   in Loop: Header=BB6_5679 Depth=3
	v_and_b32_e32 v52, 0x7fffffff, v1
	v_cmp_gt_u64_e32 vcc, s[78:79], v[52:53]
	v_and_b32_sdwa v3, v1, s82 dst_sel:DWORD dst_unused:UNUSED_PAD src0_sel:BYTE_3 src1_sel:DWORD
                                        ; implicit-def: $vgpr41
	s_and_saveexec_b64 s[40:41], vcc
	s_xor_b64 s[48:49], exec, s[40:41]
	s_cbranch_execz .LBB6_7610
; %bb.7601:                             ;   in Loop: Header=BB6_5679 Depth=3
	v_mov_b32_e32 v41, 0
	v_cmp_ne_u32_e32 vcc, 0, v1
	s_and_saveexec_b64 s[50:51], vcc
	s_cbranch_execz .LBB6_7609
; %bb.7602:                             ;   in Loop: Header=BB6_5679 Depth=3
	v_bfe_u32 v6, v1, 23, 8
	v_and_b32_e32 v0, 0x7fffff, v1
	v_cmp_gt_u32_e64 s[40:41], s85, v6
	v_sub_u32_e32 v1, 0x79, v6
	v_cmp_eq_u32_e32 vcc, 0, v6
	v_cndmask_b32_e64 v1, 0, v1, s[40:41]
	v_mov_b32_e32 v7, 0x78
	v_or_b32_e32 v2, 0x800000, v0
	v_cndmask_b32_e32 v7, v1, v7, vcc
	v_cndmask_b32_e32 v52, v2, v0, vcc
	v_add_u32_e32 v0, 20, v7
	v_lshlrev_b64 v[0:1], v0, -1
	v_add_u32_e32 v2, 19, v7
	v_lshlrev_b64 v[38:39], v2, 1
	v_bfi_b32 v1, v1, 0, 0
	v_bfi_b32 v0, v0, 0, v52
	v_cmp_eq_u64_e64 s[40:41], v[0:1], v[38:39]
	v_lshrrev_b64 v[0:1], v7, v[52:53]
	v_mov_b32_e32 v2, v1
	v_mov_b32_e32 v1, v0
	s_and_saveexec_b64 s[52:53], s[40:41]
; %bb.7603:                             ;   in Loop: Header=BB6_5679 Depth=3
	v_bfe_u32 v1, v0, 20, 1
	v_add_co_u32_e64 v1, s[40:41], v0, v1
	v_add_co_u32_e64 v1, s[40:41], -1, v1
; %bb.7604:                             ;   in Loop: Header=BB6_5679 Depth=3
	s_or_b64 exec, exec, s[52:53]
	v_add_u32_e32 v2, 0xffffff81, v6
	v_mov_b32_e32 v6, 0xffffff82
	v_cndmask_b32_e32 v2, v2, v6, vcc
	v_lshrrev_b32_e32 v6, 23, v0
	v_add3_u32 v7, v7, v2, v6
	v_add_u32_e32 v6, 6, v7
	v_and_b32_e32 v1, 0xfffff, v1
	v_add_u32_e32 v52, v1, v0
	v_cmp_ne_u32_e32 vcc, 0, v6
                                        ; implicit-def: $vgpr0_vgpr1
                                        ; implicit-def: $vgpr2
	s_and_saveexec_b64 s[40:41], vcc
	s_xor_b64 s[40:41], exec, s[40:41]
; %bb.7605:                             ;   in Loop: Header=BB6_5679 Depth=3
	v_cmp_lt_u64_e32 vcc, s[88:89], v[52:53]
	v_add_u32_e32 v0, 7, v7
	v_cndmask_b32_e32 v2, v6, v0, vcc
	v_cndmask_b32_e64 v0, 0, 1, vcc
	v_lshrrev_b64 v[0:1], v0, v[52:53]
; %bb.7606:                             ;   in Loop: Header=BB6_5679 Depth=3
	s_andn2_saveexec_b64 s[40:41], s[40:41]
; %bb.7607:                             ;   in Loop: Header=BB6_5679 Depth=3
	v_mov_b32_e32 v0, v52
	v_mov_b32_e32 v1, v53
	v_bfe_u32 v2, v52, 23, 1
; %bb.7608:                             ;   in Loop: Header=BB6_5679 Depth=3
	s_or_b64 exec, exec, s[40:41]
	v_lshrrev_b64 v[0:1], 20, v[0:1]
	v_cmp_gt_i32_e32 vcc, 16, v2
	v_cndmask_b32_e32 v1, 0, v1, vcc
	v_cndmask_b32_e32 v0, 7, v0, vcc
	v_cmp_eq_u64_e64 s[40:41], 0, v[0:1]
	v_min_i32_e32 v1, 15, v2
	v_lshlrev_b32_e32 v1, 3, v1
	v_cmp_eq_u32_e32 vcc, 0, v2
	v_and_b32_e32 v1, 0xf8, v1
	v_and_or_b32 v0, v0, 7, v1
	s_and_b64 s[40:41], vcc, s[40:41]
	v_cndmask_b32_e64 v0, v0, 0, s[40:41]
	v_or_b32_e32 v41, v0, v3
.LBB6_7609:                             ;   in Loop: Header=BB6_5679 Depth=3
	s_or_b64 exec, exec, s[50:51]
                                        ; implicit-def: $vgpr3
.LBB6_7610:                             ;   in Loop: Header=BB6_5679 Depth=3
	s_andn2_saveexec_b64 s[40:41], s[48:49]
; %bb.7611:                             ;   in Loop: Header=BB6_5679 Depth=3
	v_or_b32_e32 v41, 0x7e, v3
; %bb.7612:                             ;   in Loop: Header=BB6_5679 Depth=3
	s_or_b64 exec, exec, s[40:41]
                                        ; implicit-def: $vgpr1
.LBB6_7613:                             ;   in Loop: Header=BB6_5679 Depth=3
	s_andn2_saveexec_b64 s[40:41], s[38:39]
; %bb.7614:                             ;   in Loop: Header=BB6_5679 Depth=3
	v_or_b32_sdwa v41, v1, s83 dst_sel:DWORD dst_unused:UNUSED_PAD src0_sel:BYTE_3 src1_sel:DWORD
; %bb.7615:                             ;   in Loop: Header=BB6_5679 Depth=3
	s_or_b64 exec, exec, s[40:41]
	v_mov_b32_e32 v52, v23
	v_mov_b32_e32 v2, v19
	;; [unrolled: 1-line block ×3, first 2 shown]
	v_cmp_ne_u16_sdwa s[40:41], v23, v53 src0_sel:BYTE_0 src1_sel:DWORD
	s_and_b64 vcc, exec, s[28:29]
	s_mov_b64 s[38:39], -1
                                        ; implicit-def: $vgpr0
	s_cbranch_vccnz .LBB6_7629
; %bb.7616:                             ;   in Loop: Header=BB6_5679 Depth=3
	v_mov_b32_e32 v1, 0
	v_mov_b32_e32 v0, 0
	s_and_saveexec_b64 s[38:39], s[40:41]
	s_cbranch_execz .LBB6_7622
; %bb.7617:                             ;   in Loop: Header=BB6_5679 Depth=3
	v_cmp_ne_u16_sdwa vcc, v23, s82 src0_sel:BYTE_0 src1_sel:DWORD
	v_bfrev_b32_e32 v0, 1
	s_and_saveexec_b64 s[48:49], vcc
	s_cbranch_execz .LBB6_7621
; %bb.7618:                             ;   in Loop: Header=BB6_5679 Depth=3
	v_and_b32_e32 v6, 0x7f, v23
	v_cmp_ne_u32_e32 vcc, s83, v6
	v_mov_b32_e32 v0, 0x7f800001
	s_and_saveexec_b64 s[50:51], vcc
	s_cbranch_execz .LBB6_7620
; %bb.7619:                             ;   in Loop: Header=BB6_5679 Depth=3
	v_and_b32_e32 v0, 7, v23
	v_ffbh_u32_e32 v0, v0
	v_min_u32_e32 v0, 32, v0
	v_lshrrev_b32_e32 v7, 3, v6
	v_cmp_gt_u32_e32 vcc, 8, v6
	v_subrev_u32_e32 v6, 28, v0
	v_sub_u32_e32 v0, 29, v0
	v_cndmask_b32_e32 v6, 0, v6, vcc
	v_cndmask_b32_e32 v0, v7, v0, vcc
	v_lshlrev_b64 v[6:7], v6, v[52:53]
	v_lshlrev_b32_e32 v7, 24, v52
	v_lshlrev_b32_e32 v6, 20, v6
	v_bfrev_b32_e32 v16, 60
	v_and_b32_e32 v6, 0x700000, v6
	v_and_b32_e32 v7, 0x80000000, v7
	v_lshl_add_u32 v0, v0, 23, v16
	v_or3_b32 v0, v7, v0, v6
.LBB6_7620:                             ;   in Loop: Header=BB6_5679 Depth=3
	s_or_b64 exec, exec, s[50:51]
.LBB6_7621:                             ;   in Loop: Header=BB6_5679 Depth=3
	s_or_b64 exec, exec, s[48:49]
.LBB6_7622:                             ;   in Loop: Header=BB6_5679 Depth=3
	s_or_b64 exec, exec, s[38:39]
	v_cmp_ne_u16_sdwa vcc, v19, v53 src0_sel:BYTE_0 src1_sel:DWORD
	s_and_saveexec_b64 s[38:39], vcc
	s_cbranch_execz .LBB6_7628
; %bb.7623:                             ;   in Loop: Header=BB6_5679 Depth=3
	v_cmp_ne_u16_sdwa vcc, v19, s82 src0_sel:BYTE_0 src1_sel:DWORD
	v_bfrev_b32_e32 v1, 1
	s_and_saveexec_b64 s[48:49], vcc
	s_cbranch_execz .LBB6_7627
; %bb.7624:                             ;   in Loop: Header=BB6_5679 Depth=3
	v_and_b32_e32 v6, 0x7f, v19
	v_cmp_ne_u32_e32 vcc, s83, v6
	v_mov_b32_e32 v1, 0x7f800001
	s_and_saveexec_b64 s[50:51], vcc
	s_cbranch_execz .LBB6_7626
; %bb.7625:                             ;   in Loop: Header=BB6_5679 Depth=3
	v_and_b32_e32 v1, 7, v19
	v_ffbh_u32_e32 v1, v1
	v_min_u32_e32 v1, 32, v1
	v_lshrrev_b32_e32 v7, 3, v6
	v_cmp_gt_u32_e32 vcc, 8, v6
	v_subrev_u32_e32 v6, 28, v1
	v_sub_u32_e32 v1, 29, v1
	v_cndmask_b32_e32 v6, 0, v6, vcc
	v_cndmask_b32_e32 v1, v7, v1, vcc
	v_lshlrev_b64 v[6:7], v6, v[2:3]
	v_lshlrev_b32_e32 v7, 24, v2
	v_lshlrev_b32_e32 v6, 20, v6
	v_bfrev_b32_e32 v16, 60
	v_and_b32_e32 v6, 0x700000, v6
	v_and_b32_e32 v7, 0x80000000, v7
	v_lshl_add_u32 v1, v1, 23, v16
	v_or3_b32 v1, v7, v1, v6
.LBB6_7626:                             ;   in Loop: Header=BB6_5679 Depth=3
	s_or_b64 exec, exec, s[50:51]
.LBB6_7627:                             ;   in Loop: Header=BB6_5679 Depth=3
	s_or_b64 exec, exec, s[48:49]
.LBB6_7628:                             ;   in Loop: Header=BB6_5679 Depth=3
	s_or_b64 exec, exec, s[38:39]
	v_max_f32_e32 v1, v1, v1
	v_max_f32_e32 v0, v0, v0
	;; [unrolled: 1-line block ×3, first 2 shown]
	s_mov_b64 s[38:39], 0
.LBB6_7629:                             ;   in Loop: Header=BB6_5679 Depth=3
	s_and_b64 vcc, exec, s[38:39]
	s_cbranch_vccz .LBB6_7643
; %bb.7630:                             ;   in Loop: Header=BB6_5679 Depth=3
	v_mov_b32_e32 v1, 0
	v_mov_b32_e32 v0, 0
	s_and_saveexec_b64 s[38:39], s[40:41]
	s_cbranch_execz .LBB6_7636
; %bb.7631:                             ;   in Loop: Header=BB6_5679 Depth=3
	v_cmp_ne_u16_sdwa vcc, v23, s82 src0_sel:BYTE_0 src1_sel:DWORD
	v_bfrev_b32_e32 v0, 1
	s_and_saveexec_b64 s[40:41], vcc
	s_cbranch_execz .LBB6_7635
; %bb.7632:                             ;   in Loop: Header=BB6_5679 Depth=3
	v_and_b32_e32 v6, 0x7f, v23
	v_cmp_ne_u32_e32 vcc, s83, v6
	v_mov_b32_e32 v0, 0x7f800001
	s_and_saveexec_b64 s[48:49], vcc
	s_cbranch_execz .LBB6_7634
; %bb.7633:                             ;   in Loop: Header=BB6_5679 Depth=3
	v_and_b32_e32 v0, 7, v23
	v_ffbh_u32_e32 v0, v0
	v_min_u32_e32 v0, 32, v0
	v_lshrrev_b32_e32 v7, 3, v6
	v_cmp_gt_u32_e32 vcc, 8, v6
	v_subrev_u32_e32 v6, 28, v0
	v_sub_u32_e32 v0, 29, v0
	v_cndmask_b32_e32 v6, 0, v6, vcc
	v_cndmask_b32_e32 v0, v7, v0, vcc
	v_lshlrev_b64 v[6:7], v6, v[52:53]
	v_lshlrev_b32_e32 v7, 24, v52
	v_lshlrev_b32_e32 v6, 20, v6
	v_bfrev_b32_e32 v16, 60
	v_and_b32_e32 v6, 0x700000, v6
	v_and_b32_e32 v7, 0x80000000, v7
	v_lshl_add_u32 v0, v0, 23, v16
	v_or3_b32 v0, v7, v0, v6
.LBB6_7634:                             ;   in Loop: Header=BB6_5679 Depth=3
	s_or_b64 exec, exec, s[48:49]
.LBB6_7635:                             ;   in Loop: Header=BB6_5679 Depth=3
	s_or_b64 exec, exec, s[40:41]
.LBB6_7636:                             ;   in Loop: Header=BB6_5679 Depth=3
	s_or_b64 exec, exec, s[38:39]
	v_cmp_ne_u16_sdwa vcc, v19, v53 src0_sel:BYTE_0 src1_sel:DWORD
	s_and_saveexec_b64 s[40:41], vcc
	s_cbranch_execz .LBB6_7642
; %bb.7637:                             ;   in Loop: Header=BB6_5679 Depth=3
	v_cmp_ne_u16_sdwa vcc, v19, s82 src0_sel:BYTE_0 src1_sel:DWORD
	v_bfrev_b32_e32 v1, 1
	s_and_saveexec_b64 s[38:39], vcc
	s_cbranch_execz .LBB6_7641
; %bb.7638:                             ;   in Loop: Header=BB6_5679 Depth=3
	v_and_b32_e32 v6, 0x7f, v19
	v_cmp_ne_u32_e32 vcc, s83, v6
	v_mov_b32_e32 v1, 0x7f800001
	s_and_saveexec_b64 s[48:49], vcc
	s_cbranch_execz .LBB6_7640
; %bb.7639:                             ;   in Loop: Header=BB6_5679 Depth=3
	v_and_b32_e32 v1, 7, v19
	v_ffbh_u32_e32 v1, v1
	v_min_u32_e32 v1, 32, v1
	v_lshrrev_b32_e32 v7, 3, v6
	v_cmp_gt_u32_e32 vcc, 8, v6
	v_subrev_u32_e32 v6, 28, v1
	v_sub_u32_e32 v1, 29, v1
	v_cndmask_b32_e32 v6, 0, v6, vcc
	v_cndmask_b32_e32 v1, v7, v1, vcc
	v_lshlrev_b64 v[6:7], v6, v[2:3]
	v_bfrev_b32_e32 v7, 60
	v_lshlrev_b32_e32 v3, 20, v6
	v_lshlrev_b32_e32 v6, 24, v2
	v_and_b32_e32 v3, 0x700000, v3
	v_and_b32_e32 v6, 0x80000000, v6
	v_lshl_add_u32 v1, v1, 23, v7
	v_or3_b32 v1, v6, v1, v3
.LBB6_7640:                             ;   in Loop: Header=BB6_5679 Depth=3
	s_or_b64 exec, exec, s[48:49]
.LBB6_7641:                             ;   in Loop: Header=BB6_5679 Depth=3
	s_or_b64 exec, exec, s[38:39]
.LBB6_7642:                             ;   in Loop: Header=BB6_5679 Depth=3
	s_or_b64 exec, exec, s[40:41]
	v_max_f32_e32 v1, v1, v1
	v_max_f32_e32 v0, v0, v0
	v_min_f32_e32 v0, v0, v1
.LBB6_7643:                             ;   in Loop: Header=BB6_5679 Depth=3
	v_and_b32_e32 v6, 0x7f800000, v0
	v_mov_b32_e32 v7, v53
	v_cmp_ne_u64_e32 vcc, s[76:77], v[6:7]
                                        ; implicit-def: $vgpr38
	s_and_saveexec_b64 s[40:41], vcc
	s_xor_b64 s[38:39], exec, s[40:41]
	s_cbranch_execz .LBB6_7657
; %bb.7644:                             ;   in Loop: Header=BB6_5679 Depth=3
	v_and_b32_e32 v6, 0x7fffffff, v0
	v_mov_b32_e32 v7, v53
	v_cmp_gt_u64_e32 vcc, s[78:79], v[6:7]
	v_and_b32_sdwa v3, v0, s82 dst_sel:DWORD dst_unused:UNUSED_PAD src0_sel:BYTE_3 src1_sel:DWORD
                                        ; implicit-def: $vgpr38
	s_and_saveexec_b64 s[40:41], vcc
	s_xor_b64 s[48:49], exec, s[40:41]
	s_cbranch_execz .LBB6_7654
; %bb.7645:                             ;   in Loop: Header=BB6_5679 Depth=3
	v_mov_b32_e32 v38, 0
	v_cmp_ne_u32_e32 vcc, 0, v0
	s_and_saveexec_b64 s[50:51], vcc
	s_cbranch_execz .LBB6_7653
; %bb.7646:                             ;   in Loop: Header=BB6_5679 Depth=3
	v_bfe_u32 v16, v0, 23, 8
	v_and_b32_e32 v1, 0x7fffff, v0
	v_cmp_gt_u32_e64 s[40:41], s85, v16
	v_sub_u32_e32 v0, 0x79, v16
	v_cmp_eq_u32_e32 vcc, 0, v16
	v_cndmask_b32_e64 v0, 0, v0, s[40:41]
	v_mov_b32_e32 v7, 0x78
	v_or_b32_e32 v6, 0x800000, v1
	v_cndmask_b32_e32 v38, v0, v7, vcc
	v_cndmask_b32_e32 v0, v6, v1, vcc
	v_add_u32_e32 v6, 20, v38
	v_lshlrev_b64 v[6:7], v6, -1
	v_mov_b32_e32 v1, v53
	v_add_u32_e32 v31, 19, v38
	v_bfi_b32 v6, v6, 0, v0
	v_lshlrev_b64 v[50:51], v31, 1
	v_lshrrev_b64 v[0:1], v38, v[0:1]
	v_bfi_b32 v7, v7, 0, 0
	v_cmp_eq_u64_e64 s[40:41], v[6:7], v[50:51]
	v_mov_b32_e32 v7, v1
	v_mov_b32_e32 v6, v0
	s_and_saveexec_b64 s[52:53], s[40:41]
; %bb.7647:                             ;   in Loop: Header=BB6_5679 Depth=3
	v_bfe_u32 v1, v0, 20, 1
	v_add_co_u32_e64 v1, s[40:41], v0, v1
	v_add_co_u32_e64 v6, s[40:41], -1, v1
; %bb.7648:                             ;   in Loop: Header=BB6_5679 Depth=3
	s_or_b64 exec, exec, s[52:53]
	v_add_u32_e32 v1, 0xffffff81, v16
	v_mov_b32_e32 v7, 0xffffff82
	v_cndmask_b32_e32 v1, v1, v7, vcc
	v_lshrrev_b32_e32 v7, 23, v0
	v_add3_u32 v16, v38, v1, v7
	v_add_u32_e32 v7, 6, v16
	v_and_b32_e32 v1, 0xfffff, v6
	v_add_u32_e32 v0, v1, v0
	v_mov_b32_e32 v1, v53
	v_cmp_ne_u32_e32 vcc, 0, v7
                                        ; implicit-def: $vgpr6
	s_and_saveexec_b64 s[40:41], vcc
	s_xor_b64 s[40:41], exec, s[40:41]
; %bb.7649:                             ;   in Loop: Header=BB6_5679 Depth=3
	v_cmp_lt_u64_e32 vcc, s[88:89], v[0:1]
	v_add_u32_e32 v6, 7, v16
	v_cndmask_b32_e32 v6, v7, v6, vcc
	v_cndmask_b32_e64 v7, 0, 1, vcc
	v_lshrrev_b64 v[0:1], v7, v[0:1]
; %bb.7650:                             ;   in Loop: Header=BB6_5679 Depth=3
	s_andn2_saveexec_b64 s[40:41], s[40:41]
; %bb.7651:                             ;   in Loop: Header=BB6_5679 Depth=3
	v_bfe_u32 v6, v0, 23, 1
; %bb.7652:                             ;   in Loop: Header=BB6_5679 Depth=3
	s_or_b64 exec, exec, s[40:41]
	v_lshrrev_b64 v[0:1], 20, v[0:1]
	v_cmp_gt_i32_e32 vcc, 16, v6
	v_cndmask_b32_e32 v1, 0, v1, vcc
	v_cndmask_b32_e32 v0, 7, v0, vcc
	v_cmp_eq_u64_e64 s[40:41], 0, v[0:1]
	v_min_i32_e32 v1, 15, v6
	v_lshlrev_b32_e32 v1, 3, v1
	v_cmp_eq_u32_e32 vcc, 0, v6
	v_and_b32_e32 v1, 0xf8, v1
	v_and_or_b32 v0, v0, 7, v1
	s_and_b64 s[40:41], vcc, s[40:41]
	v_cndmask_b32_e64 v0, v0, 0, s[40:41]
	v_or_b32_e32 v38, v0, v3
.LBB6_7653:                             ;   in Loop: Header=BB6_5679 Depth=3
	s_or_b64 exec, exec, s[50:51]
                                        ; implicit-def: $vgpr3
.LBB6_7654:                             ;   in Loop: Header=BB6_5679 Depth=3
	s_andn2_saveexec_b64 s[40:41], s[48:49]
; %bb.7655:                             ;   in Loop: Header=BB6_5679 Depth=3
	v_or_b32_e32 v38, 0x7e, v3
; %bb.7656:                             ;   in Loop: Header=BB6_5679 Depth=3
	s_or_b64 exec, exec, s[40:41]
                                        ; implicit-def: $vgpr0
.LBB6_7657:                             ;   in Loop: Header=BB6_5679 Depth=3
	s_andn2_saveexec_b64 s[40:41], s[38:39]
; %bb.7658:                             ;   in Loop: Header=BB6_5679 Depth=3
	v_or_b32_sdwa v38, v0, s83 dst_sel:DWORD dst_unused:UNUSED_PAD src0_sel:BYTE_3 src1_sel:DWORD
; %bb.7659:                             ;   in Loop: Header=BB6_5679 Depth=3
	s_or_b64 exec, exec, s[40:41]
	v_lshrrev_b16_e32 v16, 8, v52
	v_lshrrev_b16_e32 v3, 8, v2
	v_cmp_ne_u16_e64 s[40:41], 0, v16
	s_and_b64 vcc, exec, s[28:29]
	s_mov_b64 s[38:39], -1
                                        ; implicit-def: $vgpr0
	s_cbranch_vccnz .LBB6_7673
; %bb.7660:                             ;   in Loop: Header=BB6_5679 Depth=3
	v_mov_b32_e32 v1, 0
	v_mov_b32_e32 v0, 0
	s_and_saveexec_b64 s[38:39], s[40:41]
	s_cbranch_execz .LBB6_7666
; %bb.7661:                             ;   in Loop: Header=BB6_5679 Depth=3
	v_cmp_ne_u16_e32 vcc, s82, v16
	v_bfrev_b32_e32 v0, 1
	s_and_saveexec_b64 s[48:49], vcc
	s_cbranch_execz .LBB6_7665
; %bb.7662:                             ;   in Loop: Header=BB6_5679 Depth=3
	v_and_b32_e32 v6, 0x7f, v16
	v_cmp_ne_u32_e32 vcc, s83, v6
	v_mov_b32_e32 v0, 0x7f800001
	s_and_saveexec_b64 s[50:51], vcc
	s_cbranch_execz .LBB6_7664
; %bb.7663:                             ;   in Loop: Header=BB6_5679 Depth=3
	v_and_b32_e32 v0, 7, v16
	v_lshrrev_b32_e32 v31, 3, v6
	v_cmp_gt_u32_e32 vcc, 8, v6
	v_ffbh_u32_e32 v6, v0
	v_min_u32_e32 v32, 32, v6
	v_subrev_u32_e32 v6, 28, v32
	v_lshlrev_b64 v[6:7], v6, v[16:17]
	v_sub_u32_e32 v7, 29, v32
	v_and_b32_e32 v6, 7, v6
	v_cndmask_b32_e32 v7, v31, v7, vcc
	v_cndmask_b32_e32 v0, v0, v6, vcc
	v_lshlrev_b32_e32 v6, 16, v52
	v_bfrev_b32_e32 v31, 60
	v_lshlrev_b32_e32 v0, 20, v0
	v_and_b32_e32 v6, 0x80000000, v6
	v_lshl_add_u32 v7, v7, 23, v31
	v_or3_b32 v0, v6, v7, v0
.LBB6_7664:                             ;   in Loop: Header=BB6_5679 Depth=3
	s_or_b64 exec, exec, s[50:51]
.LBB6_7665:                             ;   in Loop: Header=BB6_5679 Depth=3
	s_or_b64 exec, exec, s[48:49]
.LBB6_7666:                             ;   in Loop: Header=BB6_5679 Depth=3
	s_or_b64 exec, exec, s[38:39]
	v_cmp_ne_u16_e32 vcc, 0, v3
	s_and_saveexec_b64 s[38:39], vcc
	s_cbranch_execz .LBB6_7672
; %bb.7667:                             ;   in Loop: Header=BB6_5679 Depth=3
	v_cmp_ne_u16_e32 vcc, s82, v3
	v_bfrev_b32_e32 v1, 1
	s_and_saveexec_b64 s[48:49], vcc
	s_cbranch_execz .LBB6_7671
; %bb.7668:                             ;   in Loop: Header=BB6_5679 Depth=3
	v_and_b32_e32 v6, 0x7f, v3
	v_cmp_ne_u32_e32 vcc, s83, v6
	v_mov_b32_e32 v1, 0x7f800001
	s_and_saveexec_b64 s[50:51], vcc
	s_cbranch_execz .LBB6_7670
; %bb.7669:                             ;   in Loop: Header=BB6_5679 Depth=3
	v_and_b32_e32 v1, 7, v3
	v_lshrrev_b32_e32 v31, 3, v6
	v_cmp_gt_u32_e32 vcc, 8, v6
	v_ffbh_u32_e32 v6, v1
	v_min_u32_e32 v32, 32, v6
	v_subrev_u32_e32 v6, 28, v32
	v_lshlrev_b64 v[6:7], v6, v[3:4]
	v_sub_u32_e32 v7, 29, v32
	v_and_b32_e32 v6, 7, v6
	v_cndmask_b32_e32 v7, v31, v7, vcc
	v_cndmask_b32_e32 v1, v1, v6, vcc
	v_lshlrev_b32_e32 v6, 16, v2
	v_bfrev_b32_e32 v31, 60
	v_lshlrev_b32_e32 v1, 20, v1
	v_and_b32_e32 v6, 0x80000000, v6
	v_lshl_add_u32 v7, v7, 23, v31
	v_or3_b32 v1, v6, v7, v1
.LBB6_7670:                             ;   in Loop: Header=BB6_5679 Depth=3
	s_or_b64 exec, exec, s[50:51]
.LBB6_7671:                             ;   in Loop: Header=BB6_5679 Depth=3
	s_or_b64 exec, exec, s[48:49]
.LBB6_7672:                             ;   in Loop: Header=BB6_5679 Depth=3
	s_or_b64 exec, exec, s[38:39]
	v_max_f32_e32 v1, v1, v1
	v_max_f32_e32 v0, v0, v0
	v_max_f32_e32 v0, v0, v1
	s_mov_b64 s[38:39], 0
.LBB6_7673:                             ;   in Loop: Header=BB6_5679 Depth=3
	s_and_b64 vcc, exec, s[38:39]
	s_cbranch_vccz .LBB6_7687
; %bb.7674:                             ;   in Loop: Header=BB6_5679 Depth=3
	v_mov_b32_e32 v1, 0
	v_mov_b32_e32 v0, 0
	s_and_saveexec_b64 s[38:39], s[40:41]
	s_cbranch_execz .LBB6_7680
; %bb.7675:                             ;   in Loop: Header=BB6_5679 Depth=3
	v_cmp_ne_u16_e32 vcc, s82, v16
	v_bfrev_b32_e32 v0, 1
	s_and_saveexec_b64 s[40:41], vcc
	s_cbranch_execz .LBB6_7679
; %bb.7676:                             ;   in Loop: Header=BB6_5679 Depth=3
	v_and_b32_e32 v6, 0x7f, v16
	v_cmp_ne_u32_e32 vcc, s83, v6
	v_mov_b32_e32 v0, 0x7f800001
	s_and_saveexec_b64 s[48:49], vcc
	s_cbranch_execz .LBB6_7678
; %bb.7677:                             ;   in Loop: Header=BB6_5679 Depth=3
	v_and_b32_e32 v0, 7, v16
	v_lshrrev_b32_e32 v31, 3, v6
	v_cmp_gt_u32_e32 vcc, 8, v6
	v_ffbh_u32_e32 v6, v0
	v_min_u32_e32 v32, 32, v6
	v_subrev_u32_e32 v6, 28, v32
	v_lshlrev_b64 v[6:7], v6, v[16:17]
	v_sub_u32_e32 v7, 29, v32
	v_and_b32_e32 v6, 7, v6
	v_cndmask_b32_e32 v7, v31, v7, vcc
	v_cndmask_b32_e32 v0, v0, v6, vcc
	v_lshlrev_b32_e32 v6, 16, v52
	v_bfrev_b32_e32 v16, 60
	v_lshlrev_b32_e32 v0, 20, v0
	v_and_b32_e32 v6, 0x80000000, v6
	v_lshl_add_u32 v7, v7, 23, v16
	v_or3_b32 v0, v6, v7, v0
.LBB6_7678:                             ;   in Loop: Header=BB6_5679 Depth=3
	s_or_b64 exec, exec, s[48:49]
.LBB6_7679:                             ;   in Loop: Header=BB6_5679 Depth=3
	s_or_b64 exec, exec, s[40:41]
.LBB6_7680:                             ;   in Loop: Header=BB6_5679 Depth=3
	s_or_b64 exec, exec, s[38:39]
	v_cmp_ne_u16_e32 vcc, 0, v3
	s_and_saveexec_b64 s[40:41], vcc
	s_cbranch_execz .LBB6_7686
; %bb.7681:                             ;   in Loop: Header=BB6_5679 Depth=3
	v_cmp_ne_u16_e32 vcc, s82, v3
	v_bfrev_b32_e32 v1, 1
	s_and_saveexec_b64 s[38:39], vcc
	s_cbranch_execz .LBB6_7685
; %bb.7682:                             ;   in Loop: Header=BB6_5679 Depth=3
	v_and_b32_e32 v6, 0x7f, v3
	v_cmp_ne_u32_e32 vcc, s83, v6
	v_mov_b32_e32 v1, 0x7f800001
	s_and_saveexec_b64 s[48:49], vcc
	s_cbranch_execz .LBB6_7684
; %bb.7683:                             ;   in Loop: Header=BB6_5679 Depth=3
	v_and_b32_e32 v1, 7, v3
	v_lshrrev_b32_e32 v16, 3, v6
	v_cmp_gt_u32_e32 vcc, 8, v6
	v_ffbh_u32_e32 v6, v1
	v_min_u32_e32 v31, 32, v6
	v_subrev_u32_e32 v6, 28, v31
	v_lshlrev_b64 v[6:7], v6, v[3:4]
	v_sub_u32_e32 v3, 29, v31
	v_and_b32_e32 v6, 7, v6
	v_cndmask_b32_e32 v3, v16, v3, vcc
	v_cndmask_b32_e32 v1, v1, v6, vcc
	v_lshlrev_b32_e32 v2, 16, v2
	v_bfrev_b32_e32 v6, 60
	v_lshlrev_b32_e32 v1, 20, v1
	v_and_b32_e32 v2, 0x80000000, v2
	v_lshl_add_u32 v3, v3, 23, v6
	v_or3_b32 v1, v2, v3, v1
.LBB6_7684:                             ;   in Loop: Header=BB6_5679 Depth=3
	s_or_b64 exec, exec, s[48:49]
.LBB6_7685:                             ;   in Loop: Header=BB6_5679 Depth=3
	s_or_b64 exec, exec, s[38:39]
.LBB6_7686:                             ;   in Loop: Header=BB6_5679 Depth=3
	s_or_b64 exec, exec, s[40:41]
	v_max_f32_e32 v1, v1, v1
	v_max_f32_e32 v0, v0, v0
	v_min_f32_e32 v0, v0, v1
.LBB6_7687:                             ;   in Loop: Header=BB6_5679 Depth=3
	v_and_b32_e32 v52, 0x7f800000, v0
	v_cmp_ne_u64_e32 vcc, s[76:77], v[52:53]
                                        ; implicit-def: $vgpr39
	s_and_saveexec_b64 s[40:41], vcc
	s_xor_b64 s[38:39], exec, s[40:41]
	s_cbranch_execz .LBB6_7701
; %bb.7688:                             ;   in Loop: Header=BB6_5679 Depth=3
	v_and_b32_e32 v52, 0x7fffffff, v0
	v_cmp_gt_u64_e32 vcc, s[78:79], v[52:53]
	v_and_b32_sdwa v3, v0, s82 dst_sel:DWORD dst_unused:UNUSED_PAD src0_sel:BYTE_3 src1_sel:DWORD
                                        ; implicit-def: $vgpr39
	s_and_saveexec_b64 s[40:41], vcc
	s_xor_b64 s[48:49], exec, s[40:41]
	s_cbranch_execz .LBB6_7698
; %bb.7689:                             ;   in Loop: Header=BB6_5679 Depth=3
	v_mov_b32_e32 v39, 0
	v_cmp_ne_u32_e32 vcc, 0, v0
	s_and_saveexec_b64 s[50:51], vcc
	s_cbranch_execz .LBB6_7697
; %bb.7690:                             ;   in Loop: Header=BB6_5679 Depth=3
	v_bfe_u32 v6, v0, 23, 8
	v_and_b32_e32 v1, 0x7fffff, v0
	v_cmp_gt_u32_e64 s[40:41], s85, v6
	v_sub_u32_e32 v0, 0x79, v6
	v_cmp_eq_u32_e32 vcc, 0, v6
	v_cndmask_b32_e64 v0, 0, v0, s[40:41]
	v_mov_b32_e32 v7, 0x78
	v_cndmask_b32_e32 v7, v0, v7, vcc
	v_or_b32_e32 v2, 0x800000, v1
	v_add_u32_e32 v0, 20, v7
	v_cndmask_b32_e32 v52, v2, v1, vcc
	v_lshlrev_b64 v[0:1], v0, -1
	v_add_u32_e32 v2, 19, v7
	v_lshlrev_b64 v[50:51], v2, 1
	v_bfi_b32 v1, v1, 0, 0
	v_bfi_b32 v0, v0, 0, v52
	v_cmp_eq_u64_e64 s[40:41], v[0:1], v[50:51]
	v_lshrrev_b64 v[0:1], v7, v[52:53]
	v_mov_b32_e32 v2, v1
	v_mov_b32_e32 v1, v0
	s_and_saveexec_b64 s[52:53], s[40:41]
; %bb.7691:                             ;   in Loop: Header=BB6_5679 Depth=3
	v_bfe_u32 v1, v0, 20, 1
	v_add_co_u32_e64 v1, s[40:41], v0, v1
	v_add_co_u32_e64 v1, s[40:41], -1, v1
; %bb.7692:                             ;   in Loop: Header=BB6_5679 Depth=3
	s_or_b64 exec, exec, s[52:53]
	v_add_u32_e32 v2, 0xffffff81, v6
	v_mov_b32_e32 v6, 0xffffff82
	v_cndmask_b32_e32 v2, v2, v6, vcc
	v_lshrrev_b32_e32 v6, 23, v0
	v_add3_u32 v7, v7, v2, v6
	v_add_u32_e32 v6, 6, v7
	v_and_b32_e32 v1, 0xfffff, v1
	v_add_u32_e32 v52, v1, v0
	v_cmp_ne_u32_e32 vcc, 0, v6
                                        ; implicit-def: $vgpr0_vgpr1
                                        ; implicit-def: $vgpr2
	s_and_saveexec_b64 s[40:41], vcc
	s_xor_b64 s[40:41], exec, s[40:41]
; %bb.7693:                             ;   in Loop: Header=BB6_5679 Depth=3
	v_cmp_lt_u64_e32 vcc, s[88:89], v[52:53]
	v_add_u32_e32 v0, 7, v7
	v_cndmask_b32_e32 v2, v6, v0, vcc
	v_cndmask_b32_e64 v0, 0, 1, vcc
	v_lshrrev_b64 v[0:1], v0, v[52:53]
; %bb.7694:                             ;   in Loop: Header=BB6_5679 Depth=3
	s_andn2_saveexec_b64 s[40:41], s[40:41]
; %bb.7695:                             ;   in Loop: Header=BB6_5679 Depth=3
	v_mov_b32_e32 v0, v52
	v_mov_b32_e32 v1, v53
	v_bfe_u32 v2, v52, 23, 1
; %bb.7696:                             ;   in Loop: Header=BB6_5679 Depth=3
	s_or_b64 exec, exec, s[40:41]
	v_lshrrev_b64 v[0:1], 20, v[0:1]
	v_cmp_gt_i32_e32 vcc, 16, v2
	v_cndmask_b32_e32 v1, 0, v1, vcc
	v_cndmask_b32_e32 v0, 7, v0, vcc
	v_cmp_eq_u64_e64 s[40:41], 0, v[0:1]
	v_min_i32_e32 v1, 15, v2
	v_lshlrev_b32_e32 v1, 3, v1
	v_cmp_eq_u32_e32 vcc, 0, v2
	v_and_b32_e32 v1, 0xf8, v1
	v_and_or_b32 v0, v0, 7, v1
	s_and_b64 s[40:41], vcc, s[40:41]
	v_cndmask_b32_e64 v0, v0, 0, s[40:41]
	v_or_b32_e32 v39, v0, v3
.LBB6_7697:                             ;   in Loop: Header=BB6_5679 Depth=3
	s_or_b64 exec, exec, s[50:51]
                                        ; implicit-def: $vgpr3
.LBB6_7698:                             ;   in Loop: Header=BB6_5679 Depth=3
	s_andn2_saveexec_b64 s[40:41], s[48:49]
; %bb.7699:                             ;   in Loop: Header=BB6_5679 Depth=3
	v_or_b32_e32 v39, 0x7e, v3
; %bb.7700:                             ;   in Loop: Header=BB6_5679 Depth=3
	s_or_b64 exec, exec, s[40:41]
                                        ; implicit-def: $vgpr0
.LBB6_7701:                             ;   in Loop: Header=BB6_5679 Depth=3
	s_andn2_saveexec_b64 s[40:41], s[38:39]
; %bb.7702:                             ;   in Loop: Header=BB6_5679 Depth=3
	v_or_b32_sdwa v39, v0, s83 dst_sel:DWORD dst_unused:UNUSED_PAD src0_sel:BYTE_3 src1_sel:DWORD
; %bb.7703:                             ;   in Loop: Header=BB6_5679 Depth=3
	s_or_b64 exec, exec, s[40:41]
	v_lshrrev_b32_e32 v2, 16, v23
	v_lshrrev_b32_e32 v0, 16, v19
	v_cmp_ne_u16_sdwa s[40:41], v2, v53 src0_sel:BYTE_0 src1_sel:DWORD
	s_and_b64 vcc, exec, s[28:29]
	s_mov_b64 s[38:39], -1
                                        ; implicit-def: $vgpr1
	s_cbranch_vccnz .LBB6_7717
; %bb.7704:                             ;   in Loop: Header=BB6_5679 Depth=3
	v_mov_b32_e32 v3, 0
	v_mov_b32_e32 v1, 0
	s_and_saveexec_b64 s[38:39], s[40:41]
	s_cbranch_execz .LBB6_7710
; %bb.7705:                             ;   in Loop: Header=BB6_5679 Depth=3
	v_cmp_ne_u16_sdwa vcc, v2, s82 src0_sel:BYTE_0 src1_sel:DWORD
	v_bfrev_b32_e32 v1, 1
	s_and_saveexec_b64 s[48:49], vcc
	s_cbranch_execz .LBB6_7709
; %bb.7706:                             ;   in Loop: Header=BB6_5679 Depth=3
	v_bfe_u32 v6, v23, 16, 7
	v_cmp_ne_u32_e32 vcc, s83, v6
	v_mov_b32_e32 v1, 0x7f800001
	s_and_saveexec_b64 s[50:51], vcc
	s_cbranch_execz .LBB6_7708
; %bb.7707:                             ;   in Loop: Header=BB6_5679 Depth=3
	v_and_b32_e32 v1, 7, v2
	v_lshrrev_b32_e32 v16, 3, v6
	v_cmp_gt_u32_e32 vcc, 8, v6
	v_ffbh_u32_e32 v6, v1
	v_min_u32_e32 v31, 32, v6
	v_subrev_u32_e32 v6, 28, v31
	v_lshlrev_b64 v[6:7], v6, v[2:3]
	v_sub_u32_e32 v7, 29, v31
	v_and_b32_e32 v6, 7, v6
	v_cndmask_b32_e32 v7, v16, v7, vcc
	v_cndmask_b32_e32 v1, v1, v6, vcc
	v_lshlrev_b32_e32 v6, 24, v2
	v_bfrev_b32_e32 v16, 60
	v_lshlrev_b32_e32 v1, 20, v1
	v_and_b32_e32 v6, 0x80000000, v6
	v_lshl_add_u32 v7, v7, 23, v16
	v_or3_b32 v1, v6, v7, v1
.LBB6_7708:                             ;   in Loop: Header=BB6_5679 Depth=3
	s_or_b64 exec, exec, s[50:51]
.LBB6_7709:                             ;   in Loop: Header=BB6_5679 Depth=3
	s_or_b64 exec, exec, s[48:49]
.LBB6_7710:                             ;   in Loop: Header=BB6_5679 Depth=3
	s_or_b64 exec, exec, s[38:39]
	v_cmp_ne_u16_sdwa vcc, v0, v53 src0_sel:BYTE_0 src1_sel:DWORD
	s_and_saveexec_b64 s[38:39], vcc
	s_cbranch_execz .LBB6_7716
; %bb.7711:                             ;   in Loop: Header=BB6_5679 Depth=3
	v_cmp_ne_u16_sdwa vcc, v0, s82 src0_sel:BYTE_0 src1_sel:DWORD
	v_bfrev_b32_e32 v3, 1
	s_and_saveexec_b64 s[48:49], vcc
	s_cbranch_execz .LBB6_7715
; %bb.7712:                             ;   in Loop: Header=BB6_5679 Depth=3
	v_bfe_u32 v6, v19, 16, 7
	v_cmp_ne_u32_e32 vcc, s83, v6
	v_mov_b32_e32 v3, 0x7f800001
	s_and_saveexec_b64 s[50:51], vcc
	s_cbranch_execz .LBB6_7714
; %bb.7713:                             ;   in Loop: Header=BB6_5679 Depth=3
	v_and_b32_e32 v3, 7, v0
	v_lshrrev_b32_e32 v16, 3, v6
	v_cmp_gt_u32_e32 vcc, 8, v6
	v_ffbh_u32_e32 v6, v3
	v_min_u32_e32 v31, 32, v6
	v_subrev_u32_e32 v6, 28, v31
	v_lshlrev_b64 v[6:7], v6, v[0:1]
	v_sub_u32_e32 v7, 29, v31
	v_and_b32_e32 v6, 7, v6
	v_cndmask_b32_e32 v7, v16, v7, vcc
	v_cndmask_b32_e32 v3, v3, v6, vcc
	v_lshlrev_b32_e32 v6, 24, v0
	v_bfrev_b32_e32 v16, 60
	v_lshlrev_b32_e32 v3, 20, v3
	v_and_b32_e32 v6, 0x80000000, v6
	v_lshl_add_u32 v7, v7, 23, v16
	v_or3_b32 v3, v6, v7, v3
.LBB6_7714:                             ;   in Loop: Header=BB6_5679 Depth=3
	s_or_b64 exec, exec, s[50:51]
.LBB6_7715:                             ;   in Loop: Header=BB6_5679 Depth=3
	s_or_b64 exec, exec, s[48:49]
.LBB6_7716:                             ;   in Loop: Header=BB6_5679 Depth=3
	s_or_b64 exec, exec, s[38:39]
	v_max_f32_e32 v3, v3, v3
	v_max_f32_e32 v1, v1, v1
	;; [unrolled: 1-line block ×3, first 2 shown]
	s_mov_b64 s[38:39], 0
.LBB6_7717:                             ;   in Loop: Header=BB6_5679 Depth=3
	s_and_b64 vcc, exec, s[38:39]
	s_cbranch_vccz .LBB6_7731
; %bb.7718:                             ;   in Loop: Header=BB6_5679 Depth=3
	v_mov_b32_e32 v3, 0
	v_mov_b32_e32 v1, 0
	s_and_saveexec_b64 s[38:39], s[40:41]
	s_cbranch_execz .LBB6_7724
; %bb.7719:                             ;   in Loop: Header=BB6_5679 Depth=3
	v_cmp_ne_u16_sdwa vcc, v2, s82 src0_sel:BYTE_0 src1_sel:DWORD
	v_bfrev_b32_e32 v1, 1
	s_and_saveexec_b64 s[40:41], vcc
	s_cbranch_execz .LBB6_7723
; %bb.7720:                             ;   in Loop: Header=BB6_5679 Depth=3
	v_bfe_u32 v6, v23, 16, 7
	v_cmp_ne_u32_e32 vcc, s83, v6
	v_mov_b32_e32 v1, 0x7f800001
	s_and_saveexec_b64 s[48:49], vcc
	s_cbranch_execz .LBB6_7722
; %bb.7721:                             ;   in Loop: Header=BB6_5679 Depth=3
	v_and_b32_e32 v1, 7, v2
	v_lshrrev_b32_e32 v16, 3, v6
	v_cmp_gt_u32_e32 vcc, 8, v6
	v_ffbh_u32_e32 v6, v1
	v_min_u32_e32 v31, 32, v6
	v_subrev_u32_e32 v6, 28, v31
	v_lshlrev_b64 v[6:7], v6, v[2:3]
	v_sub_u32_e32 v7, 29, v31
	v_and_b32_e32 v6, 7, v6
	v_cndmask_b32_e32 v7, v16, v7, vcc
	v_cndmask_b32_e32 v1, v1, v6, vcc
	v_lshlrev_b32_e32 v2, 24, v2
	v_bfrev_b32_e32 v6, 60
	v_lshlrev_b32_e32 v1, 20, v1
	v_and_b32_e32 v2, 0x80000000, v2
	v_lshl_add_u32 v6, v7, 23, v6
	v_or3_b32 v1, v2, v6, v1
.LBB6_7722:                             ;   in Loop: Header=BB6_5679 Depth=3
	s_or_b64 exec, exec, s[48:49]
.LBB6_7723:                             ;   in Loop: Header=BB6_5679 Depth=3
	s_or_b64 exec, exec, s[40:41]
.LBB6_7724:                             ;   in Loop: Header=BB6_5679 Depth=3
	s_or_b64 exec, exec, s[38:39]
	v_cmp_ne_u16_sdwa vcc, v0, v53 src0_sel:BYTE_0 src1_sel:DWORD
	s_and_saveexec_b64 s[40:41], vcc
	s_cbranch_execz .LBB6_7730
; %bb.7725:                             ;   in Loop: Header=BB6_5679 Depth=3
	v_cmp_ne_u16_sdwa vcc, v0, s82 src0_sel:BYTE_0 src1_sel:DWORD
	v_bfrev_b32_e32 v3, 1
	s_and_saveexec_b64 s[38:39], vcc
	s_cbranch_execz .LBB6_7729
; %bb.7726:                             ;   in Loop: Header=BB6_5679 Depth=3
	v_bfe_u32 v2, v19, 16, 7
	v_cmp_ne_u32_e32 vcc, s83, v2
	v_mov_b32_e32 v3, 0x7f800001
	s_and_saveexec_b64 s[48:49], vcc
	s_cbranch_execz .LBB6_7728
; %bb.7727:                             ;   in Loop: Header=BB6_5679 Depth=3
	v_and_b32_e32 v6, 7, v0
	v_lshrrev_b32_e32 v7, 3, v2
	v_cmp_gt_u32_e32 vcc, 8, v2
	v_ffbh_u32_e32 v2, v6
	v_min_u32_e32 v16, 32, v2
	v_subrev_u32_e32 v2, 28, v16
	v_lshlrev_b64 v[2:3], v2, v[0:1]
	v_sub_u32_e32 v3, 29, v16
	v_and_b32_e32 v2, 7, v2
	v_cndmask_b32_e32 v3, v7, v3, vcc
	v_cndmask_b32_e32 v2, v6, v2, vcc
	v_lshlrev_b32_e32 v0, 24, v0
	v_bfrev_b32_e32 v6, 60
	v_lshlrev_b32_e32 v2, 20, v2
	v_and_b32_e32 v0, 0x80000000, v0
	v_lshl_add_u32 v3, v3, 23, v6
	v_or3_b32 v3, v0, v3, v2
.LBB6_7728:                             ;   in Loop: Header=BB6_5679 Depth=3
	s_or_b64 exec, exec, s[48:49]
.LBB6_7729:                             ;   in Loop: Header=BB6_5679 Depth=3
	s_or_b64 exec, exec, s[38:39]
.LBB6_7730:                             ;   in Loop: Header=BB6_5679 Depth=3
	s_or_b64 exec, exec, s[40:41]
	v_max_f32_e32 v0, v3, v3
	v_max_f32_e32 v1, v1, v1
	v_min_f32_e32 v1, v1, v0
.LBB6_7731:                             ;   in Loop: Header=BB6_5679 Depth=3
	v_and_b32_e32 v52, 0x7f800000, v1
	v_cmp_ne_u64_e32 vcc, s[76:77], v[52:53]
	v_mov_b32_e32 v35, v24
	v_mov_b32_e32 v24, v58
                                        ; implicit-def: $vgpr58
	s_and_saveexec_b64 s[40:41], vcc
	s_xor_b64 s[38:39], exec, s[40:41]
	s_cbranch_execz .LBB6_7745
; %bb.7732:                             ;   in Loop: Header=BB6_5679 Depth=3
	v_and_b32_e32 v52, 0x7fffffff, v1
	v_cmp_gt_u64_e32 vcc, s[78:79], v[52:53]
	v_and_b32_sdwa v3, v1, s82 dst_sel:DWORD dst_unused:UNUSED_PAD src0_sel:BYTE_3 src1_sel:DWORD
                                        ; implicit-def: $vgpr58
	s_and_saveexec_b64 s[40:41], vcc
	s_xor_b64 s[48:49], exec, s[40:41]
	s_cbranch_execz .LBB6_7742
; %bb.7733:                             ;   in Loop: Header=BB6_5679 Depth=3
	v_mov_b32_e32 v58, 0
	v_cmp_ne_u32_e32 vcc, 0, v1
	s_and_saveexec_b64 s[50:51], vcc
	s_cbranch_execz .LBB6_7741
; %bb.7734:                             ;   in Loop: Header=BB6_5679 Depth=3
	v_bfe_u32 v6, v1, 23, 8
	v_and_b32_e32 v0, 0x7fffff, v1
	v_cmp_gt_u32_e64 s[40:41], s85, v6
	v_sub_u32_e32 v1, 0x79, v6
	v_cmp_eq_u32_e32 vcc, 0, v6
	v_cndmask_b32_e64 v1, 0, v1, s[40:41]
	v_mov_b32_e32 v7, 0x78
	v_or_b32_e32 v2, 0x800000, v0
	v_cndmask_b32_e32 v7, v1, v7, vcc
	v_cndmask_b32_e32 v52, v2, v0, vcc
	v_add_u32_e32 v0, 20, v7
	v_lshlrev_b64 v[0:1], v0, -1
	v_add_u32_e32 v2, 19, v7
	v_lshlrev_b64 v[50:51], v2, 1
	v_bfi_b32 v1, v1, 0, 0
	v_bfi_b32 v0, v0, 0, v52
	v_cmp_eq_u64_e64 s[40:41], v[0:1], v[50:51]
	v_lshrrev_b64 v[0:1], v7, v[52:53]
	v_mov_b32_e32 v2, v1
	v_mov_b32_e32 v1, v0
	s_and_saveexec_b64 s[52:53], s[40:41]
; %bb.7735:                             ;   in Loop: Header=BB6_5679 Depth=3
	v_bfe_u32 v1, v0, 20, 1
	v_add_co_u32_e64 v1, s[40:41], v0, v1
	v_add_co_u32_e64 v1, s[40:41], -1, v1
; %bb.7736:                             ;   in Loop: Header=BB6_5679 Depth=3
	s_or_b64 exec, exec, s[52:53]
	v_add_u32_e32 v2, 0xffffff81, v6
	v_mov_b32_e32 v6, 0xffffff82
	v_cndmask_b32_e32 v2, v2, v6, vcc
	v_lshrrev_b32_e32 v6, 23, v0
	v_add3_u32 v7, v7, v2, v6
	v_add_u32_e32 v6, 6, v7
	v_and_b32_e32 v1, 0xfffff, v1
	v_add_u32_e32 v52, v1, v0
	v_cmp_ne_u32_e32 vcc, 0, v6
                                        ; implicit-def: $vgpr0_vgpr1
                                        ; implicit-def: $vgpr2
	s_and_saveexec_b64 s[40:41], vcc
	s_xor_b64 s[40:41], exec, s[40:41]
; %bb.7737:                             ;   in Loop: Header=BB6_5679 Depth=3
	v_cmp_lt_u64_e32 vcc, s[88:89], v[52:53]
	v_add_u32_e32 v0, 7, v7
	v_cndmask_b32_e32 v2, v6, v0, vcc
	v_cndmask_b32_e64 v0, 0, 1, vcc
	v_lshrrev_b64 v[0:1], v0, v[52:53]
; %bb.7738:                             ;   in Loop: Header=BB6_5679 Depth=3
	s_andn2_saveexec_b64 s[40:41], s[40:41]
; %bb.7739:                             ;   in Loop: Header=BB6_5679 Depth=3
	v_mov_b32_e32 v0, v52
	v_mov_b32_e32 v1, v53
	v_bfe_u32 v2, v52, 23, 1
; %bb.7740:                             ;   in Loop: Header=BB6_5679 Depth=3
	s_or_b64 exec, exec, s[40:41]
	v_lshrrev_b64 v[0:1], 20, v[0:1]
	v_cmp_gt_i32_e32 vcc, 16, v2
	v_cndmask_b32_e32 v1, 0, v1, vcc
	v_cndmask_b32_e32 v0, 7, v0, vcc
	v_cmp_eq_u64_e64 s[40:41], 0, v[0:1]
	v_min_i32_e32 v1, 15, v2
	v_lshlrev_b32_e32 v1, 3, v1
	v_cmp_eq_u32_e32 vcc, 0, v2
	v_and_b32_e32 v1, 0xf8, v1
	v_and_or_b32 v0, v0, 7, v1
	s_and_b64 s[40:41], vcc, s[40:41]
	v_cndmask_b32_e64 v0, v0, 0, s[40:41]
	v_or_b32_e32 v58, v0, v3
.LBB6_7741:                             ;   in Loop: Header=BB6_5679 Depth=3
	s_or_b64 exec, exec, s[50:51]
                                        ; implicit-def: $vgpr3
.LBB6_7742:                             ;   in Loop: Header=BB6_5679 Depth=3
	s_andn2_saveexec_b64 s[40:41], s[48:49]
; %bb.7743:                             ;   in Loop: Header=BB6_5679 Depth=3
	v_or_b32_e32 v58, 0x7e, v3
; %bb.7744:                             ;   in Loop: Header=BB6_5679 Depth=3
	s_or_b64 exec, exec, s[40:41]
                                        ; implicit-def: $vgpr1
.LBB6_7745:                             ;   in Loop: Header=BB6_5679 Depth=3
	s_andn2_saveexec_b64 s[40:41], s[38:39]
; %bb.7746:                             ;   in Loop: Header=BB6_5679 Depth=3
	v_or_b32_sdwa v58, v1, s83 dst_sel:DWORD dst_unused:UNUSED_PAD src0_sel:BYTE_3 src1_sel:DWORD
; %bb.7747:                             ;   in Loop: Header=BB6_5679 Depth=3
	s_or_b64 exec, exec, s[40:41]
	v_cmp_lt_u64_e64 s[40:41], s[62:63], v[22:23]
	v_lshrrev_b32_e32 v2, 24, v23
	v_lshrrev_b32_e32 v0, 24, v19
	s_and_b64 vcc, exec, s[28:29]
	s_mov_b64 s[38:39], -1
                                        ; implicit-def: $vgpr1
	s_cbranch_vccnz .LBB6_7761
; %bb.7748:                             ;   in Loop: Header=BB6_5679 Depth=3
	v_mov_b32_e32 v3, 0
	v_mov_b32_e32 v1, 0
	s_and_saveexec_b64 s[38:39], s[40:41]
	s_cbranch_execz .LBB6_7754
; %bb.7749:                             ;   in Loop: Header=BB6_5679 Depth=3
	v_cmp_ne_u32_e32 vcc, s82, v2
	v_bfrev_b32_e32 v1, 1
	s_and_saveexec_b64 s[48:49], vcc
	s_cbranch_execz .LBB6_7753
; %bb.7750:                             ;   in Loop: Header=BB6_5679 Depth=3
	v_bfe_u32 v6, v23, 24, 7
	v_cmp_ne_u32_e32 vcc, s83, v6
	v_mov_b32_e32 v1, 0x7f800001
	s_and_saveexec_b64 s[50:51], vcc
	s_cbranch_execz .LBB6_7752
; %bb.7751:                             ;   in Loop: Header=BB6_5679 Depth=3
	v_and_b32_e32 v1, 7, v2
	v_lshrrev_b32_e32 v16, 3, v6
	v_cmp_gt_u32_e32 vcc, 8, v6
	v_ffbh_u32_e32 v6, v1
	v_min_u32_e32 v22, 32, v6
	v_subrev_u32_e32 v6, 28, v22
	v_lshlrev_b64 v[6:7], v6, v[2:3]
	v_sub_u32_e32 v7, 29, v22
	v_and_b32_e32 v6, 7, v6
	v_cndmask_b32_e32 v7, v16, v7, vcc
	v_cndmask_b32_e32 v1, v1, v6, vcc
	v_lshlrev_b32_e32 v6, 24, v2
	v_bfrev_b32_e32 v16, 60
	v_lshlrev_b32_e32 v1, 20, v1
	v_and_b32_e32 v6, 0x80000000, v6
	v_lshl_add_u32 v7, v7, 23, v16
	v_or3_b32 v1, v6, v7, v1
.LBB6_7752:                             ;   in Loop: Header=BB6_5679 Depth=3
	s_or_b64 exec, exec, s[50:51]
.LBB6_7753:                             ;   in Loop: Header=BB6_5679 Depth=3
	s_or_b64 exec, exec, s[48:49]
.LBB6_7754:                             ;   in Loop: Header=BB6_5679 Depth=3
	s_or_b64 exec, exec, s[38:39]
	v_cmp_lt_u64_e32 vcc, s[62:63], v[18:19]
	s_and_saveexec_b64 s[38:39], vcc
	s_cbranch_execz .LBB6_7760
; %bb.7755:                             ;   in Loop: Header=BB6_5679 Depth=3
	v_cmp_ne_u32_e32 vcc, s82, v0
	v_bfrev_b32_e32 v3, 1
	s_and_saveexec_b64 s[48:49], vcc
	s_cbranch_execz .LBB6_7759
; %bb.7756:                             ;   in Loop: Header=BB6_5679 Depth=3
	v_bfe_u32 v6, v19, 24, 7
	v_cmp_ne_u32_e32 vcc, s83, v6
	v_mov_b32_e32 v3, 0x7f800001
	s_and_saveexec_b64 s[50:51], vcc
	s_cbranch_execz .LBB6_7758
; %bb.7757:                             ;   in Loop: Header=BB6_5679 Depth=3
	v_and_b32_e32 v3, 7, v0
	v_lshrrev_b32_e32 v16, 3, v6
	v_cmp_gt_u32_e32 vcc, 8, v6
	v_ffbh_u32_e32 v6, v3
	v_min_u32_e32 v22, 32, v6
	v_subrev_u32_e32 v6, 28, v22
	v_lshlrev_b64 v[6:7], v6, v[0:1]
	v_sub_u32_e32 v7, 29, v22
	v_and_b32_e32 v6, 7, v6
	v_cndmask_b32_e32 v7, v16, v7, vcc
	v_cndmask_b32_e32 v3, v3, v6, vcc
	v_lshlrev_b32_e32 v6, 24, v0
	v_bfrev_b32_e32 v16, 60
	v_lshlrev_b32_e32 v3, 20, v3
	v_and_b32_e32 v6, 0x80000000, v6
	v_lshl_add_u32 v7, v7, 23, v16
	v_or3_b32 v3, v6, v7, v3
.LBB6_7758:                             ;   in Loop: Header=BB6_5679 Depth=3
	s_or_b64 exec, exec, s[50:51]
.LBB6_7759:                             ;   in Loop: Header=BB6_5679 Depth=3
	s_or_b64 exec, exec, s[48:49]
.LBB6_7760:                             ;   in Loop: Header=BB6_5679 Depth=3
	s_or_b64 exec, exec, s[38:39]
	v_max_f32_e32 v3, v3, v3
	v_max_f32_e32 v1, v1, v1
	v_max_f32_e32 v1, v1, v3
	s_mov_b64 s[38:39], 0
.LBB6_7761:                             ;   in Loop: Header=BB6_5679 Depth=3
	s_and_b64 vcc, exec, s[38:39]
	s_cbranch_vccz .LBB6_7775
; %bb.7762:                             ;   in Loop: Header=BB6_5679 Depth=3
	v_mov_b32_e32 v3, 0
	v_mov_b32_e32 v1, 0
	s_and_saveexec_b64 s[38:39], s[40:41]
	s_cbranch_execz .LBB6_7768
; %bb.7763:                             ;   in Loop: Header=BB6_5679 Depth=3
	v_cmp_ne_u32_e32 vcc, s82, v2
	v_bfrev_b32_e32 v1, 1
	s_and_saveexec_b64 s[40:41], vcc
	s_cbranch_execz .LBB6_7767
; %bb.7764:                             ;   in Loop: Header=BB6_5679 Depth=3
	v_bfe_u32 v6, v23, 24, 7
	v_cmp_ne_u32_e32 vcc, s83, v6
	v_mov_b32_e32 v1, 0x7f800001
	s_and_saveexec_b64 s[48:49], vcc
	s_cbranch_execz .LBB6_7766
; %bb.7765:                             ;   in Loop: Header=BB6_5679 Depth=3
	v_and_b32_e32 v1, 7, v2
	v_lshrrev_b32_e32 v16, 3, v6
	v_cmp_gt_u32_e32 vcc, 8, v6
	v_ffbh_u32_e32 v6, v1
	v_min_u32_e32 v22, 32, v6
	v_subrev_u32_e32 v6, 28, v22
	v_lshlrev_b64 v[6:7], v6, v[2:3]
	v_sub_u32_e32 v7, 29, v22
	v_and_b32_e32 v6, 7, v6
	v_cndmask_b32_e32 v7, v16, v7, vcc
	v_cndmask_b32_e32 v1, v1, v6, vcc
	v_lshlrev_b32_e32 v2, 24, v2
	v_bfrev_b32_e32 v6, 60
	v_lshlrev_b32_e32 v1, 20, v1
	v_and_b32_e32 v2, 0x80000000, v2
	v_lshl_add_u32 v6, v7, 23, v6
	v_or3_b32 v1, v2, v6, v1
.LBB6_7766:                             ;   in Loop: Header=BB6_5679 Depth=3
	s_or_b64 exec, exec, s[48:49]
.LBB6_7767:                             ;   in Loop: Header=BB6_5679 Depth=3
	s_or_b64 exec, exec, s[40:41]
.LBB6_7768:                             ;   in Loop: Header=BB6_5679 Depth=3
	s_or_b64 exec, exec, s[38:39]
	v_cmp_lt_u64_e32 vcc, s[62:63], v[18:19]
	s_and_saveexec_b64 s[40:41], vcc
	s_cbranch_execz .LBB6_7774
; %bb.7769:                             ;   in Loop: Header=BB6_5679 Depth=3
	v_cmp_ne_u32_e32 vcc, s82, v0
	v_bfrev_b32_e32 v3, 1
	s_and_saveexec_b64 s[38:39], vcc
	s_cbranch_execz .LBB6_7773
; %bb.7770:                             ;   in Loop: Header=BB6_5679 Depth=3
	v_bfe_u32 v2, v19, 24, 7
	v_cmp_ne_u32_e32 vcc, s83, v2
	v_mov_b32_e32 v3, 0x7f800001
	s_and_saveexec_b64 s[48:49], vcc
	s_cbranch_execz .LBB6_7772
; %bb.7771:                             ;   in Loop: Header=BB6_5679 Depth=3
	v_and_b32_e32 v6, 7, v0
	v_lshrrev_b32_e32 v7, 3, v2
	v_cmp_gt_u32_e32 vcc, 8, v2
	v_ffbh_u32_e32 v2, v6
	v_min_u32_e32 v16, 32, v2
	v_subrev_u32_e32 v2, 28, v16
	v_lshlrev_b64 v[2:3], v2, v[0:1]
	v_sub_u32_e32 v3, 29, v16
	v_and_b32_e32 v2, 7, v2
	v_cndmask_b32_e32 v3, v7, v3, vcc
	v_cndmask_b32_e32 v2, v6, v2, vcc
	v_lshlrev_b32_e32 v0, 24, v0
	v_bfrev_b32_e32 v6, 60
	v_lshlrev_b32_e32 v2, 20, v2
	v_and_b32_e32 v0, 0x80000000, v0
	v_lshl_add_u32 v3, v3, 23, v6
	v_or3_b32 v3, v0, v3, v2
.LBB6_7772:                             ;   in Loop: Header=BB6_5679 Depth=3
	s_or_b64 exec, exec, s[48:49]
.LBB6_7773:                             ;   in Loop: Header=BB6_5679 Depth=3
	s_or_b64 exec, exec, s[38:39]
.LBB6_7774:                             ;   in Loop: Header=BB6_5679 Depth=3
	s_or_b64 exec, exec, s[40:41]
	v_max_f32_e32 v0, v3, v3
	v_max_f32_e32 v1, v1, v1
	v_min_f32_e32 v1, v1, v0
.LBB6_7775:                             ;   in Loop: Header=BB6_5679 Depth=3
	v_and_b32_e32 v52, 0x7f800000, v1
	v_cmp_ne_u64_e32 vcc, s[76:77], v[52:53]
                                        ; implicit-def: $vgpr18
	s_and_saveexec_b64 s[40:41], vcc
	s_xor_b64 s[38:39], exec, s[40:41]
	s_cbranch_execz .LBB6_7789
; %bb.7776:                             ;   in Loop: Header=BB6_5679 Depth=3
	v_and_b32_e32 v52, 0x7fffffff, v1
	v_cmp_gt_u64_e32 vcc, s[78:79], v[52:53]
	v_and_b32_sdwa v3, v1, s82 dst_sel:DWORD dst_unused:UNUSED_PAD src0_sel:BYTE_3 src1_sel:DWORD
                                        ; implicit-def: $vgpr18
	s_and_saveexec_b64 s[40:41], vcc
	s_xor_b64 s[48:49], exec, s[40:41]
	s_cbranch_execz .LBB6_7786
; %bb.7777:                             ;   in Loop: Header=BB6_5679 Depth=3
	v_mov_b32_e32 v18, 0
	v_cmp_ne_u32_e32 vcc, 0, v1
	s_and_saveexec_b64 s[50:51], vcc
	s_cbranch_execz .LBB6_7785
; %bb.7778:                             ;   in Loop: Header=BB6_5679 Depth=3
	v_bfe_u32 v6, v1, 23, 8
	v_and_b32_e32 v0, 0x7fffff, v1
	v_cmp_gt_u32_e64 s[40:41], s85, v6
	v_sub_u32_e32 v1, 0x79, v6
	v_cmp_eq_u32_e32 vcc, 0, v6
	v_cndmask_b32_e64 v1, 0, v1, s[40:41]
	v_mov_b32_e32 v7, 0x78
	v_or_b32_e32 v2, 0x800000, v0
	v_cndmask_b32_e32 v7, v1, v7, vcc
	v_cndmask_b32_e32 v52, v2, v0, vcc
	v_add_u32_e32 v0, 20, v7
	v_lshlrev_b64 v[0:1], v0, -1
	v_add_u32_e32 v2, 19, v7
	v_lshlrev_b64 v[18:19], v2, 1
	v_bfi_b32 v1, v1, 0, 0
	v_bfi_b32 v0, v0, 0, v52
	v_cmp_eq_u64_e64 s[40:41], v[0:1], v[18:19]
	v_lshrrev_b64 v[0:1], v7, v[52:53]
	v_mov_b32_e32 v2, v1
	v_mov_b32_e32 v1, v0
	s_and_saveexec_b64 s[52:53], s[40:41]
; %bb.7779:                             ;   in Loop: Header=BB6_5679 Depth=3
	v_bfe_u32 v1, v0, 20, 1
	v_add_co_u32_e64 v1, s[40:41], v0, v1
	v_add_co_u32_e64 v1, s[40:41], -1, v1
; %bb.7780:                             ;   in Loop: Header=BB6_5679 Depth=3
	s_or_b64 exec, exec, s[52:53]
	v_add_u32_e32 v2, 0xffffff81, v6
	v_mov_b32_e32 v6, 0xffffff82
	v_cndmask_b32_e32 v2, v2, v6, vcc
	v_lshrrev_b32_e32 v6, 23, v0
	v_add3_u32 v7, v7, v2, v6
	v_add_u32_e32 v6, 6, v7
	v_and_b32_e32 v1, 0xfffff, v1
	v_add_u32_e32 v52, v1, v0
	v_cmp_ne_u32_e32 vcc, 0, v6
                                        ; implicit-def: $vgpr0_vgpr1
                                        ; implicit-def: $vgpr2
	s_and_saveexec_b64 s[40:41], vcc
	s_xor_b64 s[40:41], exec, s[40:41]
; %bb.7781:                             ;   in Loop: Header=BB6_5679 Depth=3
	v_cmp_lt_u64_e32 vcc, s[88:89], v[52:53]
	v_add_u32_e32 v0, 7, v7
	v_cndmask_b32_e32 v2, v6, v0, vcc
	v_cndmask_b32_e64 v0, 0, 1, vcc
	v_lshrrev_b64 v[0:1], v0, v[52:53]
; %bb.7782:                             ;   in Loop: Header=BB6_5679 Depth=3
	s_andn2_saveexec_b64 s[40:41], s[40:41]
; %bb.7783:                             ;   in Loop: Header=BB6_5679 Depth=3
	v_mov_b32_e32 v0, v52
	v_mov_b32_e32 v1, v53
	v_bfe_u32 v2, v52, 23, 1
; %bb.7784:                             ;   in Loop: Header=BB6_5679 Depth=3
	s_or_b64 exec, exec, s[40:41]
	v_lshrrev_b64 v[0:1], 20, v[0:1]
	v_cmp_gt_i32_e32 vcc, 16, v2
	v_cndmask_b32_e32 v1, 0, v1, vcc
	v_cndmask_b32_e32 v0, 7, v0, vcc
	v_cmp_eq_u64_e64 s[40:41], 0, v[0:1]
	v_min_i32_e32 v1, 15, v2
	v_lshlrev_b32_e32 v1, 3, v1
	v_cmp_eq_u32_e32 vcc, 0, v2
	v_and_b32_e32 v1, 0xf8, v1
	v_and_or_b32 v0, v0, 7, v1
	s_and_b64 s[40:41], vcc, s[40:41]
	v_cndmask_b32_e64 v0, v0, 0, s[40:41]
	v_or_b32_e32 v18, v0, v3
.LBB6_7785:                             ;   in Loop: Header=BB6_5679 Depth=3
	s_or_b64 exec, exec, s[50:51]
                                        ; implicit-def: $vgpr3
.LBB6_7786:                             ;   in Loop: Header=BB6_5679 Depth=3
	s_andn2_saveexec_b64 s[40:41], s[48:49]
; %bb.7787:                             ;   in Loop: Header=BB6_5679 Depth=3
	v_or_b32_e32 v18, 0x7e, v3
; %bb.7788:                             ;   in Loop: Header=BB6_5679 Depth=3
	s_or_b64 exec, exec, s[40:41]
                                        ; implicit-def: $vgpr1
.LBB6_7789:                             ;   in Loop: Header=BB6_5679 Depth=3
	s_andn2_saveexec_b64 s[40:41], s[38:39]
; %bb.7790:                             ;   in Loop: Header=BB6_5679 Depth=3
	v_or_b32_sdwa v18, v1, s83 dst_sel:DWORD dst_unused:UNUSED_PAD src0_sel:BYTE_3 src1_sel:DWORD
; %bb.7791:                             ;   in Loop: Header=BB6_5679 Depth=3
	s_or_b64 exec, exec, s[40:41]
	v_cmp_ne_u16_sdwa s[40:41], v12, v53 src0_sel:BYTE_0 src1_sel:DWORD
	s_and_b64 vcc, exec, s[28:29]
	s_mov_b64 s[38:39], -1
                                        ; implicit-def: $vgpr0
	s_cbranch_vccnz .LBB6_7805
; %bb.7792:                             ;   in Loop: Header=BB6_5679 Depth=3
	v_mov_b32_e32 v1, 0
	v_mov_b32_e32 v0, 0
	s_and_saveexec_b64 s[38:39], s[40:41]
	s_cbranch_execz .LBB6_7798
; %bb.7793:                             ;   in Loop: Header=BB6_5679 Depth=3
	v_cmp_ne_u16_sdwa vcc, v12, s82 src0_sel:BYTE_0 src1_sel:DWORD
	v_bfrev_b32_e32 v0, 1
	s_and_saveexec_b64 s[48:49], vcc
	s_cbranch_execz .LBB6_7797
; %bb.7794:                             ;   in Loop: Header=BB6_5679 Depth=3
	v_and_b32_e32 v2, 0x7f, v12
	v_cmp_ne_u32_e32 vcc, s83, v2
	v_mov_b32_e32 v0, 0x7f800001
	s_and_saveexec_b64 s[50:51], vcc
	s_cbranch_execz .LBB6_7796
; %bb.7795:                             ;   in Loop: Header=BB6_5679 Depth=3
	v_and_b32_e32 v0, 7, v12
	v_ffbh_u32_e32 v0, v0
	v_min_u32_e32 v0, 32, v0
	v_lshrrev_b32_e32 v3, 3, v2
	v_cmp_gt_u32_e32 vcc, 8, v2
	v_subrev_u32_e32 v2, 28, v0
	v_sub_u32_e32 v0, 29, v0
	v_cndmask_b32_e32 v2, 0, v2, vcc
	v_cndmask_b32_e32 v0, v3, v0, vcc
	v_lshlrev_b64 v[2:3], v2, v[12:13]
	v_lshlrev_b32_e32 v3, 24, v12
	v_lshlrev_b32_e32 v2, 20, v2
	v_bfrev_b32_e32 v6, 60
	v_and_b32_e32 v2, 0x700000, v2
	v_and_b32_e32 v3, 0x80000000, v3
	v_lshl_add_u32 v0, v0, 23, v6
	v_or3_b32 v0, v3, v0, v2
.LBB6_7796:                             ;   in Loop: Header=BB6_5679 Depth=3
	s_or_b64 exec, exec, s[50:51]
.LBB6_7797:                             ;   in Loop: Header=BB6_5679 Depth=3
	s_or_b64 exec, exec, s[48:49]
.LBB6_7798:                             ;   in Loop: Header=BB6_5679 Depth=3
	s_or_b64 exec, exec, s[38:39]
	s_waitcnt vmcnt(23)
	v_cmp_ne_u16_sdwa vcc, v8, v53 src0_sel:BYTE_0 src1_sel:DWORD
	s_and_saveexec_b64 s[38:39], vcc
	s_cbranch_execz .LBB6_7804
; %bb.7799:                             ;   in Loop: Header=BB6_5679 Depth=3
	v_cmp_ne_u16_sdwa vcc, v8, s82 src0_sel:BYTE_0 src1_sel:DWORD
	v_bfrev_b32_e32 v1, 1
	s_and_saveexec_b64 s[48:49], vcc
	s_cbranch_execz .LBB6_7803
; %bb.7800:                             ;   in Loop: Header=BB6_5679 Depth=3
	v_and_b32_e32 v2, 0x7f, v8
	v_cmp_ne_u32_e32 vcc, s83, v2
	v_mov_b32_e32 v1, 0x7f800001
	s_and_saveexec_b64 s[50:51], vcc
	s_cbranch_execz .LBB6_7802
; %bb.7801:                             ;   in Loop: Header=BB6_5679 Depth=3
	v_and_b32_e32 v1, 7, v8
	v_ffbh_u32_e32 v1, v1
	v_min_u32_e32 v1, 32, v1
	v_lshrrev_b32_e32 v3, 3, v2
	v_cmp_gt_u32_e32 vcc, 8, v2
	v_subrev_u32_e32 v2, 28, v1
	v_sub_u32_e32 v1, 29, v1
	v_cndmask_b32_e32 v3, v3, v1, vcc
	v_cndmask_b32_e32 v1, 0, v2, vcc
	v_lshlrev_b64 v[1:2], v1, v[8:9]
	v_lshlrev_b32_e32 v2, 24, v8
	v_lshlrev_b32_e32 v1, 20, v1
	v_bfrev_b32_e32 v6, 60
	v_and_b32_e32 v1, 0x700000, v1
	v_and_b32_e32 v2, 0x80000000, v2
	v_lshl_add_u32 v3, v3, 23, v6
	v_or3_b32 v1, v2, v3, v1
.LBB6_7802:                             ;   in Loop: Header=BB6_5679 Depth=3
	s_or_b64 exec, exec, s[50:51]
.LBB6_7803:                             ;   in Loop: Header=BB6_5679 Depth=3
	s_or_b64 exec, exec, s[48:49]
.LBB6_7804:                             ;   in Loop: Header=BB6_5679 Depth=3
	s_or_b64 exec, exec, s[38:39]
	v_max_f32_e32 v1, v1, v1
	v_max_f32_e32 v0, v0, v0
	;; [unrolled: 1-line block ×3, first 2 shown]
	s_mov_b64 s[38:39], 0
.LBB6_7805:                             ;   in Loop: Header=BB6_5679 Depth=3
	s_and_b64 vcc, exec, s[38:39]
	s_cbranch_vccz .LBB6_7819
; %bb.7806:                             ;   in Loop: Header=BB6_5679 Depth=3
	v_mov_b32_e32 v1, 0
	v_mov_b32_e32 v0, 0
	s_and_saveexec_b64 s[38:39], s[40:41]
	s_cbranch_execz .LBB6_7812
; %bb.7807:                             ;   in Loop: Header=BB6_5679 Depth=3
	v_cmp_ne_u16_sdwa vcc, v12, s82 src0_sel:BYTE_0 src1_sel:DWORD
	v_bfrev_b32_e32 v0, 1
	s_and_saveexec_b64 s[40:41], vcc
	s_cbranch_execz .LBB6_7811
; %bb.7808:                             ;   in Loop: Header=BB6_5679 Depth=3
	v_and_b32_e32 v2, 0x7f, v12
	v_cmp_ne_u32_e32 vcc, s83, v2
	v_mov_b32_e32 v0, 0x7f800001
	s_and_saveexec_b64 s[48:49], vcc
	s_cbranch_execz .LBB6_7810
; %bb.7809:                             ;   in Loop: Header=BB6_5679 Depth=3
	v_and_b32_e32 v0, 7, v12
	v_ffbh_u32_e32 v0, v0
	v_min_u32_e32 v0, 32, v0
	v_lshrrev_b32_e32 v3, 3, v2
	v_cmp_gt_u32_e32 vcc, 8, v2
	v_subrev_u32_e32 v2, 28, v0
	v_sub_u32_e32 v0, 29, v0
	v_cndmask_b32_e32 v2, 0, v2, vcc
	v_cndmask_b32_e32 v0, v3, v0, vcc
	v_lshlrev_b64 v[2:3], v2, v[12:13]
	v_lshlrev_b32_e32 v3, 24, v12
	v_lshlrev_b32_e32 v2, 20, v2
	v_bfrev_b32_e32 v6, 60
	v_and_b32_e32 v2, 0x700000, v2
	v_and_b32_e32 v3, 0x80000000, v3
	v_lshl_add_u32 v0, v0, 23, v6
	v_or3_b32 v0, v3, v0, v2
.LBB6_7810:                             ;   in Loop: Header=BB6_5679 Depth=3
	s_or_b64 exec, exec, s[48:49]
.LBB6_7811:                             ;   in Loop: Header=BB6_5679 Depth=3
	s_or_b64 exec, exec, s[40:41]
.LBB6_7812:                             ;   in Loop: Header=BB6_5679 Depth=3
	s_or_b64 exec, exec, s[38:39]
	s_waitcnt vmcnt(23)
	v_cmp_ne_u16_sdwa vcc, v8, v53 src0_sel:BYTE_0 src1_sel:DWORD
	s_and_saveexec_b64 s[40:41], vcc
	s_cbranch_execz .LBB6_7818
; %bb.7813:                             ;   in Loop: Header=BB6_5679 Depth=3
	v_cmp_ne_u16_sdwa vcc, v8, s82 src0_sel:BYTE_0 src1_sel:DWORD
	v_bfrev_b32_e32 v1, 1
	s_and_saveexec_b64 s[38:39], vcc
	s_cbranch_execz .LBB6_7817
; %bb.7814:                             ;   in Loop: Header=BB6_5679 Depth=3
	v_and_b32_e32 v2, 0x7f, v8
	v_cmp_ne_u32_e32 vcc, s83, v2
	v_mov_b32_e32 v1, 0x7f800001
	s_and_saveexec_b64 s[48:49], vcc
	s_cbranch_execz .LBB6_7816
; %bb.7815:                             ;   in Loop: Header=BB6_5679 Depth=3
	v_and_b32_e32 v1, 7, v8
	v_ffbh_u32_e32 v1, v1
	v_min_u32_e32 v1, 32, v1
	v_lshrrev_b32_e32 v3, 3, v2
	v_cmp_gt_u32_e32 vcc, 8, v2
	v_subrev_u32_e32 v2, 28, v1
	v_sub_u32_e32 v1, 29, v1
	v_cndmask_b32_e32 v3, v3, v1, vcc
	v_cndmask_b32_e32 v1, 0, v2, vcc
	v_lshlrev_b64 v[1:2], v1, v[8:9]
	v_lshlrev_b32_e32 v2, 24, v8
	v_lshlrev_b32_e32 v1, 20, v1
	v_bfrev_b32_e32 v6, 60
	v_and_b32_e32 v1, 0x700000, v1
	v_and_b32_e32 v2, 0x80000000, v2
	v_lshl_add_u32 v3, v3, 23, v6
	v_or3_b32 v1, v2, v3, v1
.LBB6_7816:                             ;   in Loop: Header=BB6_5679 Depth=3
	s_or_b64 exec, exec, s[48:49]
.LBB6_7817:                             ;   in Loop: Header=BB6_5679 Depth=3
	s_or_b64 exec, exec, s[38:39]
.LBB6_7818:                             ;   in Loop: Header=BB6_5679 Depth=3
	s_or_b64 exec, exec, s[40:41]
	v_max_f32_e32 v1, v1, v1
	v_max_f32_e32 v0, v0, v0
	v_min_f32_e32 v0, v0, v1
.LBB6_7819:                             ;   in Loop: Header=BB6_5679 Depth=3
	v_and_b32_e32 v52, 0x7f800000, v0
	v_cmp_ne_u64_e32 vcc, s[76:77], v[52:53]
                                        ; implicit-def: $vgpr19
	s_and_saveexec_b64 s[40:41], vcc
	s_xor_b64 s[38:39], exec, s[40:41]
	s_cbranch_execz .LBB6_7833
; %bb.7820:                             ;   in Loop: Header=BB6_5679 Depth=3
	v_and_b32_e32 v52, 0x7fffffff, v0
	v_cmp_gt_u64_e32 vcc, s[78:79], v[52:53]
	v_and_b32_sdwa v3, v0, s82 dst_sel:DWORD dst_unused:UNUSED_PAD src0_sel:BYTE_3 src1_sel:DWORD
                                        ; implicit-def: $vgpr19
	s_and_saveexec_b64 s[40:41], vcc
	s_xor_b64 s[48:49], exec, s[40:41]
	s_cbranch_execz .LBB6_7830
; %bb.7821:                             ;   in Loop: Header=BB6_5679 Depth=3
	v_mov_b32_e32 v19, 0
	v_cmp_ne_u32_e32 vcc, 0, v0
	s_and_saveexec_b64 s[50:51], vcc
	s_cbranch_execz .LBB6_7829
; %bb.7822:                             ;   in Loop: Header=BB6_5679 Depth=3
	v_bfe_u32 v6, v0, 23, 8
	v_and_b32_e32 v1, 0x7fffff, v0
	v_cmp_gt_u32_e64 s[40:41], s85, v6
	v_sub_u32_e32 v0, 0x79, v6
	v_cmp_eq_u32_e32 vcc, 0, v6
	v_cndmask_b32_e64 v0, 0, v0, s[40:41]
	v_mov_b32_e32 v7, 0x78
	v_cndmask_b32_e32 v7, v0, v7, vcc
	v_or_b32_e32 v2, 0x800000, v1
	v_add_u32_e32 v0, 20, v7
	v_cndmask_b32_e32 v52, v2, v1, vcc
	v_lshlrev_b64 v[0:1], v0, -1
	v_add_u32_e32 v2, 19, v7
	v_lshlrev_b64 v[22:23], v2, 1
	v_bfi_b32 v1, v1, 0, 0
	v_bfi_b32 v0, v0, 0, v52
	v_cmp_eq_u64_e64 s[40:41], v[0:1], v[22:23]
	v_lshrrev_b64 v[0:1], v7, v[52:53]
	v_mov_b32_e32 v2, v1
	v_mov_b32_e32 v1, v0
	s_and_saveexec_b64 s[52:53], s[40:41]
; %bb.7823:                             ;   in Loop: Header=BB6_5679 Depth=3
	v_bfe_u32 v1, v0, 20, 1
	v_add_co_u32_e64 v1, s[40:41], v0, v1
	v_add_co_u32_e64 v1, s[40:41], -1, v1
; %bb.7824:                             ;   in Loop: Header=BB6_5679 Depth=3
	s_or_b64 exec, exec, s[52:53]
	v_add_u32_e32 v2, 0xffffff81, v6
	v_mov_b32_e32 v6, 0xffffff82
	v_cndmask_b32_e32 v2, v2, v6, vcc
	v_lshrrev_b32_e32 v6, 23, v0
	v_add3_u32 v7, v7, v2, v6
	v_add_u32_e32 v6, 6, v7
	v_and_b32_e32 v1, 0xfffff, v1
	v_add_u32_e32 v52, v1, v0
	v_cmp_ne_u32_e32 vcc, 0, v6
                                        ; implicit-def: $vgpr0_vgpr1
                                        ; implicit-def: $vgpr2
	s_and_saveexec_b64 s[40:41], vcc
	s_xor_b64 s[40:41], exec, s[40:41]
; %bb.7825:                             ;   in Loop: Header=BB6_5679 Depth=3
	v_cmp_lt_u64_e32 vcc, s[88:89], v[52:53]
	v_add_u32_e32 v0, 7, v7
	v_cndmask_b32_e32 v2, v6, v0, vcc
	v_cndmask_b32_e64 v0, 0, 1, vcc
	v_lshrrev_b64 v[0:1], v0, v[52:53]
; %bb.7826:                             ;   in Loop: Header=BB6_5679 Depth=3
	s_andn2_saveexec_b64 s[40:41], s[40:41]
; %bb.7827:                             ;   in Loop: Header=BB6_5679 Depth=3
	v_mov_b32_e32 v0, v52
	v_mov_b32_e32 v1, v53
	v_bfe_u32 v2, v52, 23, 1
; %bb.7828:                             ;   in Loop: Header=BB6_5679 Depth=3
	s_or_b64 exec, exec, s[40:41]
	v_lshrrev_b64 v[0:1], 20, v[0:1]
	v_cmp_gt_i32_e32 vcc, 16, v2
	v_cndmask_b32_e32 v1, 0, v1, vcc
	v_cndmask_b32_e32 v0, 7, v0, vcc
	v_cmp_eq_u64_e64 s[40:41], 0, v[0:1]
	v_min_i32_e32 v1, 15, v2
	v_lshlrev_b32_e32 v1, 3, v1
	v_cmp_eq_u32_e32 vcc, 0, v2
	v_and_b32_e32 v1, 0xf8, v1
	v_and_or_b32 v0, v0, 7, v1
	s_and_b64 s[40:41], vcc, s[40:41]
	v_cndmask_b32_e64 v0, v0, 0, s[40:41]
	v_or_b32_e32 v19, v0, v3
.LBB6_7829:                             ;   in Loop: Header=BB6_5679 Depth=3
	s_or_b64 exec, exec, s[50:51]
                                        ; implicit-def: $vgpr3
.LBB6_7830:                             ;   in Loop: Header=BB6_5679 Depth=3
	s_andn2_saveexec_b64 s[40:41], s[48:49]
; %bb.7831:                             ;   in Loop: Header=BB6_5679 Depth=3
	v_or_b32_e32 v19, 0x7e, v3
; %bb.7832:                             ;   in Loop: Header=BB6_5679 Depth=3
	s_or_b64 exec, exec, s[40:41]
                                        ; implicit-def: $vgpr0
.LBB6_7833:                             ;   in Loop: Header=BB6_5679 Depth=3
	s_andn2_saveexec_b64 s[40:41], s[38:39]
; %bb.7834:                             ;   in Loop: Header=BB6_5679 Depth=3
	v_or_b32_sdwa v19, v0, s83 dst_sel:DWORD dst_unused:UNUSED_PAD src0_sel:BYTE_3 src1_sel:DWORD
; %bb.7835:                             ;   in Loop: Header=BB6_5679 Depth=3
	s_or_b64 exec, exec, s[40:41]
	v_lshrrev_b16_e32 v2, 8, v12
	s_waitcnt vmcnt(23)
	v_lshrrev_b16_e32 v0, 8, v8
	v_cmp_ne_u16_e64 s[40:41], 0, v2
	s_and_b64 vcc, exec, s[28:29]
	s_mov_b64 s[38:39], -1
                                        ; implicit-def: $vgpr1
	s_cbranch_vccnz .LBB6_7849
; %bb.7836:                             ;   in Loop: Header=BB6_5679 Depth=3
	v_mov_b32_e32 v3, 0
	v_mov_b32_e32 v1, 0
	s_and_saveexec_b64 s[38:39], s[40:41]
	s_cbranch_execz .LBB6_7842
; %bb.7837:                             ;   in Loop: Header=BB6_5679 Depth=3
	v_cmp_ne_u16_e32 vcc, s82, v2
	v_bfrev_b32_e32 v1, 1
	s_and_saveexec_b64 s[48:49], vcc
	s_cbranch_execz .LBB6_7841
; %bb.7838:                             ;   in Loop: Header=BB6_5679 Depth=3
	v_and_b32_e32 v6, 0x7f, v2
	v_cmp_ne_u32_e32 vcc, s83, v6
	v_mov_b32_e32 v1, 0x7f800001
	s_and_saveexec_b64 s[50:51], vcc
	s_cbranch_execz .LBB6_7840
; %bb.7839:                             ;   in Loop: Header=BB6_5679 Depth=3
	v_and_b32_e32 v1, 7, v2
	v_lshrrev_b32_e32 v16, 3, v6
	v_cmp_gt_u32_e32 vcc, 8, v6
	v_ffbh_u32_e32 v6, v1
	v_min_u32_e32 v22, 32, v6
	v_subrev_u32_e32 v6, 28, v22
	v_lshlrev_b64 v[6:7], v6, v[2:3]
	v_sub_u32_e32 v7, 29, v22
	v_and_b32_e32 v6, 7, v6
	v_cndmask_b32_e32 v7, v16, v7, vcc
	v_cndmask_b32_e32 v1, v1, v6, vcc
	v_lshlrev_b32_e32 v6, 16, v12
	v_bfrev_b32_e32 v16, 60
	v_lshlrev_b32_e32 v1, 20, v1
	v_and_b32_e32 v6, 0x80000000, v6
	v_lshl_add_u32 v7, v7, 23, v16
	v_or3_b32 v1, v6, v7, v1
.LBB6_7840:                             ;   in Loop: Header=BB6_5679 Depth=3
	s_or_b64 exec, exec, s[50:51]
.LBB6_7841:                             ;   in Loop: Header=BB6_5679 Depth=3
	s_or_b64 exec, exec, s[48:49]
.LBB6_7842:                             ;   in Loop: Header=BB6_5679 Depth=3
	s_or_b64 exec, exec, s[38:39]
	v_cmp_ne_u16_e32 vcc, 0, v0
	s_and_saveexec_b64 s[38:39], vcc
	s_cbranch_execz .LBB6_7848
; %bb.7843:                             ;   in Loop: Header=BB6_5679 Depth=3
	v_cmp_ne_u16_e32 vcc, s82, v0
	v_bfrev_b32_e32 v3, 1
	s_and_saveexec_b64 s[48:49], vcc
	s_cbranch_execz .LBB6_7847
; %bb.7844:                             ;   in Loop: Header=BB6_5679 Depth=3
	v_and_b32_e32 v6, 0x7f, v0
	v_cmp_ne_u32_e32 vcc, s83, v6
	v_mov_b32_e32 v3, 0x7f800001
	s_and_saveexec_b64 s[50:51], vcc
	s_cbranch_execz .LBB6_7846
; %bb.7845:                             ;   in Loop: Header=BB6_5679 Depth=3
	v_and_b32_e32 v3, 7, v0
	v_lshrrev_b32_e32 v16, 3, v6
	v_cmp_gt_u32_e32 vcc, 8, v6
	v_ffbh_u32_e32 v6, v3
	v_min_u32_e32 v22, 32, v6
	v_subrev_u32_e32 v6, 28, v22
	v_lshlrev_b64 v[6:7], v6, v[0:1]
	v_sub_u32_e32 v7, 29, v22
	v_and_b32_e32 v6, 7, v6
	v_cndmask_b32_e32 v7, v16, v7, vcc
	v_cndmask_b32_e32 v3, v3, v6, vcc
	v_lshlrev_b32_e32 v6, 16, v8
	v_bfrev_b32_e32 v16, 60
	v_lshlrev_b32_e32 v3, 20, v3
	v_and_b32_e32 v6, 0x80000000, v6
	v_lshl_add_u32 v7, v7, 23, v16
	v_or3_b32 v3, v6, v7, v3
.LBB6_7846:                             ;   in Loop: Header=BB6_5679 Depth=3
	s_or_b64 exec, exec, s[50:51]
.LBB6_7847:                             ;   in Loop: Header=BB6_5679 Depth=3
	s_or_b64 exec, exec, s[48:49]
.LBB6_7848:                             ;   in Loop: Header=BB6_5679 Depth=3
	s_or_b64 exec, exec, s[38:39]
	v_max_f32_e32 v3, v3, v3
	v_max_f32_e32 v1, v1, v1
	;; [unrolled: 1-line block ×3, first 2 shown]
	s_mov_b64 s[38:39], 0
.LBB6_7849:                             ;   in Loop: Header=BB6_5679 Depth=3
	s_and_b64 vcc, exec, s[38:39]
	s_cbranch_vccz .LBB6_7863
; %bb.7850:                             ;   in Loop: Header=BB6_5679 Depth=3
	v_mov_b32_e32 v3, 0
	v_mov_b32_e32 v1, 0
	s_and_saveexec_b64 s[38:39], s[40:41]
	s_cbranch_execz .LBB6_7856
; %bb.7851:                             ;   in Loop: Header=BB6_5679 Depth=3
	v_cmp_ne_u16_e32 vcc, s82, v2
	v_bfrev_b32_e32 v1, 1
	s_and_saveexec_b64 s[40:41], vcc
	s_cbranch_execz .LBB6_7855
; %bb.7852:                             ;   in Loop: Header=BB6_5679 Depth=3
	v_and_b32_e32 v6, 0x7f, v2
	v_cmp_ne_u32_e32 vcc, s83, v6
	v_mov_b32_e32 v1, 0x7f800001
	s_and_saveexec_b64 s[48:49], vcc
	s_cbranch_execz .LBB6_7854
; %bb.7853:                             ;   in Loop: Header=BB6_5679 Depth=3
	v_and_b32_e32 v7, 7, v2
	v_ffbh_u32_e32 v1, v7
	v_lshrrev_b32_e32 v16, 3, v6
	v_cmp_gt_u32_e32 vcc, 8, v6
	v_min_u32_e32 v6, 32, v1
	v_subrev_u32_e32 v1, 28, v6
	v_lshlrev_b64 v[1:2], v1, v[2:3]
	v_sub_u32_e32 v2, 29, v6
	v_and_b32_e32 v1, 7, v1
	v_cndmask_b32_e32 v2, v16, v2, vcc
	v_cndmask_b32_e32 v1, v7, v1, vcc
	v_lshlrev_b32_e32 v6, 16, v12
	v_bfrev_b32_e32 v7, 60
	v_lshlrev_b32_e32 v1, 20, v1
	v_and_b32_e32 v6, 0x80000000, v6
	v_lshl_add_u32 v2, v2, 23, v7
	v_or3_b32 v1, v6, v2, v1
.LBB6_7854:                             ;   in Loop: Header=BB6_5679 Depth=3
	s_or_b64 exec, exec, s[48:49]
.LBB6_7855:                             ;   in Loop: Header=BB6_5679 Depth=3
	s_or_b64 exec, exec, s[40:41]
.LBB6_7856:                             ;   in Loop: Header=BB6_5679 Depth=3
	s_or_b64 exec, exec, s[38:39]
	v_cmp_ne_u16_e32 vcc, 0, v0
	s_and_saveexec_b64 s[40:41], vcc
	s_cbranch_execz .LBB6_7862
; %bb.7857:                             ;   in Loop: Header=BB6_5679 Depth=3
	v_cmp_ne_u16_e32 vcc, s82, v0
	v_bfrev_b32_e32 v3, 1
	s_and_saveexec_b64 s[38:39], vcc
	s_cbranch_execz .LBB6_7861
; %bb.7858:                             ;   in Loop: Header=BB6_5679 Depth=3
	v_and_b32_e32 v2, 0x7f, v0
	v_cmp_ne_u32_e32 vcc, s83, v2
	v_mov_b32_e32 v3, 0x7f800001
	s_and_saveexec_b64 s[48:49], vcc
	s_cbranch_execz .LBB6_7860
; %bb.7859:                             ;   in Loop: Header=BB6_5679 Depth=3
	v_and_b32_e32 v6, 7, v0
	v_lshrrev_b32_e32 v7, 3, v2
	v_cmp_gt_u32_e32 vcc, 8, v2
	v_ffbh_u32_e32 v2, v6
	v_min_u32_e32 v16, 32, v2
	v_subrev_u32_e32 v2, 28, v16
	v_lshlrev_b64 v[2:3], v2, v[0:1]
	v_sub_u32_e32 v0, 29, v16
	v_and_b32_e32 v2, 7, v2
	v_cndmask_b32_e32 v0, v7, v0, vcc
	v_cndmask_b32_e32 v2, v6, v2, vcc
	v_lshlrev_b32_e32 v3, 16, v8
	v_bfrev_b32_e32 v6, 60
	v_lshlrev_b32_e32 v2, 20, v2
	v_and_b32_e32 v3, 0x80000000, v3
	v_lshl_add_u32 v0, v0, 23, v6
	v_or3_b32 v3, v3, v0, v2
.LBB6_7860:                             ;   in Loop: Header=BB6_5679 Depth=3
	s_or_b64 exec, exec, s[48:49]
.LBB6_7861:                             ;   in Loop: Header=BB6_5679 Depth=3
	s_or_b64 exec, exec, s[38:39]
.LBB6_7862:                             ;   in Loop: Header=BB6_5679 Depth=3
	s_or_b64 exec, exec, s[40:41]
	v_max_f32_e32 v0, v3, v3
	v_max_f32_e32 v1, v1, v1
	v_min_f32_e32 v1, v1, v0
.LBB6_7863:                             ;   in Loop: Header=BB6_5679 Depth=3
	v_and_b32_e32 v52, 0x7f800000, v1
	v_cmp_ne_u64_e32 vcc, s[76:77], v[52:53]
                                        ; implicit-def: $vgpr22
	s_and_saveexec_b64 s[40:41], vcc
	s_xor_b64 s[38:39], exec, s[40:41]
	s_cbranch_execz .LBB6_7877
; %bb.7864:                             ;   in Loop: Header=BB6_5679 Depth=3
	v_and_b32_e32 v52, 0x7fffffff, v1
	v_cmp_gt_u64_e32 vcc, s[78:79], v[52:53]
	v_and_b32_sdwa v3, v1, s82 dst_sel:DWORD dst_unused:UNUSED_PAD src0_sel:BYTE_3 src1_sel:DWORD
                                        ; implicit-def: $vgpr22
	s_and_saveexec_b64 s[40:41], vcc
	s_xor_b64 s[48:49], exec, s[40:41]
	s_cbranch_execz .LBB6_7874
; %bb.7865:                             ;   in Loop: Header=BB6_5679 Depth=3
	v_mov_b32_e32 v22, 0
	v_cmp_ne_u32_e32 vcc, 0, v1
	s_and_saveexec_b64 s[50:51], vcc
	s_cbranch_execz .LBB6_7873
; %bb.7866:                             ;   in Loop: Header=BB6_5679 Depth=3
	v_bfe_u32 v6, v1, 23, 8
	v_and_b32_e32 v0, 0x7fffff, v1
	v_cmp_gt_u32_e64 s[40:41], s85, v6
	v_sub_u32_e32 v1, 0x79, v6
	v_cmp_eq_u32_e32 vcc, 0, v6
	v_cndmask_b32_e64 v1, 0, v1, s[40:41]
	v_mov_b32_e32 v7, 0x78
	v_or_b32_e32 v2, 0x800000, v0
	v_cndmask_b32_e32 v7, v1, v7, vcc
	v_cndmask_b32_e32 v52, v2, v0, vcc
	v_add_u32_e32 v0, 20, v7
	v_lshlrev_b64 v[0:1], v0, -1
	v_add_u32_e32 v2, 19, v7
	v_lshlrev_b64 v[22:23], v2, 1
	v_bfi_b32 v1, v1, 0, 0
	v_bfi_b32 v0, v0, 0, v52
	v_cmp_eq_u64_e64 s[40:41], v[0:1], v[22:23]
	v_lshrrev_b64 v[0:1], v7, v[52:53]
	v_mov_b32_e32 v2, v1
	v_mov_b32_e32 v1, v0
	s_and_saveexec_b64 s[52:53], s[40:41]
; %bb.7867:                             ;   in Loop: Header=BB6_5679 Depth=3
	v_bfe_u32 v1, v0, 20, 1
	v_add_co_u32_e64 v1, s[40:41], v0, v1
	v_add_co_u32_e64 v1, s[40:41], -1, v1
; %bb.7868:                             ;   in Loop: Header=BB6_5679 Depth=3
	s_or_b64 exec, exec, s[52:53]
	v_add_u32_e32 v2, 0xffffff81, v6
	v_mov_b32_e32 v6, 0xffffff82
	v_cndmask_b32_e32 v2, v2, v6, vcc
	v_lshrrev_b32_e32 v6, 23, v0
	v_add3_u32 v7, v7, v2, v6
	v_add_u32_e32 v6, 6, v7
	v_and_b32_e32 v1, 0xfffff, v1
	v_add_u32_e32 v52, v1, v0
	v_cmp_ne_u32_e32 vcc, 0, v6
                                        ; implicit-def: $vgpr0_vgpr1
                                        ; implicit-def: $vgpr2
	s_and_saveexec_b64 s[40:41], vcc
	s_xor_b64 s[40:41], exec, s[40:41]
; %bb.7869:                             ;   in Loop: Header=BB6_5679 Depth=3
	v_cmp_lt_u64_e32 vcc, s[88:89], v[52:53]
	v_add_u32_e32 v0, 7, v7
	v_cndmask_b32_e32 v2, v6, v0, vcc
	v_cndmask_b32_e64 v0, 0, 1, vcc
	v_lshrrev_b64 v[0:1], v0, v[52:53]
; %bb.7870:                             ;   in Loop: Header=BB6_5679 Depth=3
	s_andn2_saveexec_b64 s[40:41], s[40:41]
; %bb.7871:                             ;   in Loop: Header=BB6_5679 Depth=3
	v_mov_b32_e32 v0, v52
	v_mov_b32_e32 v1, v53
	v_bfe_u32 v2, v52, 23, 1
; %bb.7872:                             ;   in Loop: Header=BB6_5679 Depth=3
	s_or_b64 exec, exec, s[40:41]
	v_lshrrev_b64 v[0:1], 20, v[0:1]
	v_cmp_gt_i32_e32 vcc, 16, v2
	v_cndmask_b32_e32 v1, 0, v1, vcc
	v_cndmask_b32_e32 v0, 7, v0, vcc
	v_cmp_eq_u64_e64 s[40:41], 0, v[0:1]
	v_min_i32_e32 v1, 15, v2
	v_lshlrev_b32_e32 v1, 3, v1
	v_cmp_eq_u32_e32 vcc, 0, v2
	v_and_b32_e32 v1, 0xf8, v1
	v_and_or_b32 v0, v0, 7, v1
	s_and_b64 s[40:41], vcc, s[40:41]
	v_cndmask_b32_e64 v0, v0, 0, s[40:41]
	v_or_b32_e32 v22, v0, v3
.LBB6_7873:                             ;   in Loop: Header=BB6_5679 Depth=3
	s_or_b64 exec, exec, s[50:51]
                                        ; implicit-def: $vgpr3
.LBB6_7874:                             ;   in Loop: Header=BB6_5679 Depth=3
	s_andn2_saveexec_b64 s[40:41], s[48:49]
; %bb.7875:                             ;   in Loop: Header=BB6_5679 Depth=3
	v_or_b32_e32 v22, 0x7e, v3
; %bb.7876:                             ;   in Loop: Header=BB6_5679 Depth=3
	s_or_b64 exec, exec, s[40:41]
                                        ; implicit-def: $vgpr1
.LBB6_7877:                             ;   in Loop: Header=BB6_5679 Depth=3
	s_andn2_saveexec_b64 s[40:41], s[38:39]
; %bb.7878:                             ;   in Loop: Header=BB6_5679 Depth=3
	v_or_b32_sdwa v22, v1, s83 dst_sel:DWORD dst_unused:UNUSED_PAD src0_sel:BYTE_3 src1_sel:DWORD
; %bb.7879:                             ;   in Loop: Header=BB6_5679 Depth=3
	s_or_b64 exec, exec, s[40:41]
	v_lshrrev_b32_e32 v2, 16, v12
	v_lshrrev_b32_e32 v0, 16, v8
	v_cmp_ne_u16_sdwa s[40:41], v2, v53 src0_sel:BYTE_0 src1_sel:DWORD
	s_and_b64 vcc, exec, s[28:29]
	s_mov_b64 s[38:39], -1
                                        ; implicit-def: $vgpr1
	s_cbranch_vccnz .LBB6_7893
; %bb.7880:                             ;   in Loop: Header=BB6_5679 Depth=3
	v_mov_b32_e32 v3, 0
	v_mov_b32_e32 v1, 0
	s_and_saveexec_b64 s[38:39], s[40:41]
	s_cbranch_execz .LBB6_7886
; %bb.7881:                             ;   in Loop: Header=BB6_5679 Depth=3
	v_cmp_ne_u16_sdwa vcc, v2, s82 src0_sel:BYTE_0 src1_sel:DWORD
	v_bfrev_b32_e32 v1, 1
	s_and_saveexec_b64 s[48:49], vcc
	s_cbranch_execz .LBB6_7885
; %bb.7882:                             ;   in Loop: Header=BB6_5679 Depth=3
	v_bfe_u32 v6, v12, 16, 7
	v_cmp_ne_u32_e32 vcc, s83, v6
	v_mov_b32_e32 v1, 0x7f800001
	s_and_saveexec_b64 s[50:51], vcc
	s_cbranch_execz .LBB6_7884
; %bb.7883:                             ;   in Loop: Header=BB6_5679 Depth=3
	v_and_b32_e32 v1, 7, v2
	v_lshrrev_b32_e32 v16, 3, v6
	v_cmp_gt_u32_e32 vcc, 8, v6
	v_ffbh_u32_e32 v6, v1
	v_min_u32_e32 v23, 32, v6
	v_subrev_u32_e32 v6, 28, v23
	v_lshlrev_b64 v[6:7], v6, v[2:3]
	v_sub_u32_e32 v7, 29, v23
	v_and_b32_e32 v6, 7, v6
	v_cndmask_b32_e32 v7, v16, v7, vcc
	v_cndmask_b32_e32 v1, v1, v6, vcc
	v_lshlrev_b32_e32 v6, 24, v2
	v_bfrev_b32_e32 v16, 60
	v_lshlrev_b32_e32 v1, 20, v1
	v_and_b32_e32 v6, 0x80000000, v6
	v_lshl_add_u32 v7, v7, 23, v16
	v_or3_b32 v1, v6, v7, v1
.LBB6_7884:                             ;   in Loop: Header=BB6_5679 Depth=3
	s_or_b64 exec, exec, s[50:51]
.LBB6_7885:                             ;   in Loop: Header=BB6_5679 Depth=3
	s_or_b64 exec, exec, s[48:49]
.LBB6_7886:                             ;   in Loop: Header=BB6_5679 Depth=3
	s_or_b64 exec, exec, s[38:39]
	v_cmp_ne_u16_sdwa vcc, v0, v53 src0_sel:BYTE_0 src1_sel:DWORD
	s_and_saveexec_b64 s[38:39], vcc
	s_cbranch_execz .LBB6_7892
; %bb.7887:                             ;   in Loop: Header=BB6_5679 Depth=3
	v_cmp_ne_u16_sdwa vcc, v0, s82 src0_sel:BYTE_0 src1_sel:DWORD
	v_bfrev_b32_e32 v3, 1
	s_and_saveexec_b64 s[48:49], vcc
	s_cbranch_execz .LBB6_7891
; %bb.7888:                             ;   in Loop: Header=BB6_5679 Depth=3
	v_bfe_u32 v6, v8, 16, 7
	v_cmp_ne_u32_e32 vcc, s83, v6
	v_mov_b32_e32 v3, 0x7f800001
	s_and_saveexec_b64 s[50:51], vcc
	s_cbranch_execz .LBB6_7890
; %bb.7889:                             ;   in Loop: Header=BB6_5679 Depth=3
	v_and_b32_e32 v3, 7, v0
	v_lshrrev_b32_e32 v16, 3, v6
	v_cmp_gt_u32_e32 vcc, 8, v6
	v_ffbh_u32_e32 v6, v3
	v_min_u32_e32 v23, 32, v6
	v_subrev_u32_e32 v6, 28, v23
	v_lshlrev_b64 v[6:7], v6, v[0:1]
	v_sub_u32_e32 v7, 29, v23
	v_and_b32_e32 v6, 7, v6
	v_cndmask_b32_e32 v7, v16, v7, vcc
	v_cndmask_b32_e32 v3, v3, v6, vcc
	v_lshlrev_b32_e32 v6, 24, v0
	v_bfrev_b32_e32 v16, 60
	v_lshlrev_b32_e32 v3, 20, v3
	v_and_b32_e32 v6, 0x80000000, v6
	v_lshl_add_u32 v7, v7, 23, v16
	v_or3_b32 v3, v6, v7, v3
.LBB6_7890:                             ;   in Loop: Header=BB6_5679 Depth=3
	s_or_b64 exec, exec, s[50:51]
.LBB6_7891:                             ;   in Loop: Header=BB6_5679 Depth=3
	s_or_b64 exec, exec, s[48:49]
.LBB6_7892:                             ;   in Loop: Header=BB6_5679 Depth=3
	s_or_b64 exec, exec, s[38:39]
	v_max_f32_e32 v3, v3, v3
	v_max_f32_e32 v1, v1, v1
	;; [unrolled: 1-line block ×3, first 2 shown]
	s_mov_b64 s[38:39], 0
.LBB6_7893:                             ;   in Loop: Header=BB6_5679 Depth=3
	s_and_b64 vcc, exec, s[38:39]
	s_cbranch_vccz .LBB6_7907
; %bb.7894:                             ;   in Loop: Header=BB6_5679 Depth=3
	v_mov_b32_e32 v3, 0
	v_mov_b32_e32 v1, 0
	s_and_saveexec_b64 s[38:39], s[40:41]
	s_cbranch_execz .LBB6_7900
; %bb.7895:                             ;   in Loop: Header=BB6_5679 Depth=3
	v_cmp_ne_u16_sdwa vcc, v2, s82 src0_sel:BYTE_0 src1_sel:DWORD
	v_bfrev_b32_e32 v1, 1
	s_and_saveexec_b64 s[40:41], vcc
	s_cbranch_execz .LBB6_7899
; %bb.7896:                             ;   in Loop: Header=BB6_5679 Depth=3
	v_bfe_u32 v6, v12, 16, 7
	v_cmp_ne_u32_e32 vcc, s83, v6
	v_mov_b32_e32 v1, 0x7f800001
	s_and_saveexec_b64 s[48:49], vcc
	s_cbranch_execz .LBB6_7898
; %bb.7897:                             ;   in Loop: Header=BB6_5679 Depth=3
	v_and_b32_e32 v1, 7, v2
	v_lshrrev_b32_e32 v16, 3, v6
	v_cmp_gt_u32_e32 vcc, 8, v6
	v_ffbh_u32_e32 v6, v1
	v_min_u32_e32 v23, 32, v6
	v_subrev_u32_e32 v6, 28, v23
	v_lshlrev_b64 v[6:7], v6, v[2:3]
	v_sub_u32_e32 v7, 29, v23
	v_and_b32_e32 v6, 7, v6
	v_cndmask_b32_e32 v7, v16, v7, vcc
	v_cndmask_b32_e32 v1, v1, v6, vcc
	v_lshlrev_b32_e32 v2, 24, v2
	v_bfrev_b32_e32 v6, 60
	v_lshlrev_b32_e32 v1, 20, v1
	v_and_b32_e32 v2, 0x80000000, v2
	v_lshl_add_u32 v6, v7, 23, v6
	v_or3_b32 v1, v2, v6, v1
.LBB6_7898:                             ;   in Loop: Header=BB6_5679 Depth=3
	s_or_b64 exec, exec, s[48:49]
.LBB6_7899:                             ;   in Loop: Header=BB6_5679 Depth=3
	s_or_b64 exec, exec, s[40:41]
.LBB6_7900:                             ;   in Loop: Header=BB6_5679 Depth=3
	s_or_b64 exec, exec, s[38:39]
	v_cmp_ne_u16_sdwa vcc, v0, v53 src0_sel:BYTE_0 src1_sel:DWORD
	s_and_saveexec_b64 s[40:41], vcc
	s_cbranch_execz .LBB6_7906
; %bb.7901:                             ;   in Loop: Header=BB6_5679 Depth=3
	v_cmp_ne_u16_sdwa vcc, v0, s82 src0_sel:BYTE_0 src1_sel:DWORD
	v_bfrev_b32_e32 v3, 1
	s_and_saveexec_b64 s[38:39], vcc
	s_cbranch_execz .LBB6_7905
; %bb.7902:                             ;   in Loop: Header=BB6_5679 Depth=3
	v_bfe_u32 v2, v8, 16, 7
	v_cmp_ne_u32_e32 vcc, s83, v2
	v_mov_b32_e32 v3, 0x7f800001
	s_and_saveexec_b64 s[48:49], vcc
	s_cbranch_execz .LBB6_7904
; %bb.7903:                             ;   in Loop: Header=BB6_5679 Depth=3
	v_and_b32_e32 v6, 7, v0
	v_lshrrev_b32_e32 v7, 3, v2
	v_cmp_gt_u32_e32 vcc, 8, v2
	v_ffbh_u32_e32 v2, v6
	v_min_u32_e32 v16, 32, v2
	v_subrev_u32_e32 v2, 28, v16
	v_lshlrev_b64 v[2:3], v2, v[0:1]
	v_sub_u32_e32 v3, 29, v16
	v_and_b32_e32 v2, 7, v2
	v_cndmask_b32_e32 v3, v7, v3, vcc
	v_cndmask_b32_e32 v2, v6, v2, vcc
	v_lshlrev_b32_e32 v0, 24, v0
	v_bfrev_b32_e32 v6, 60
	v_lshlrev_b32_e32 v2, 20, v2
	v_and_b32_e32 v0, 0x80000000, v0
	v_lshl_add_u32 v3, v3, 23, v6
	v_or3_b32 v3, v0, v3, v2
.LBB6_7904:                             ;   in Loop: Header=BB6_5679 Depth=3
	s_or_b64 exec, exec, s[48:49]
.LBB6_7905:                             ;   in Loop: Header=BB6_5679 Depth=3
	s_or_b64 exec, exec, s[38:39]
.LBB6_7906:                             ;   in Loop: Header=BB6_5679 Depth=3
	s_or_b64 exec, exec, s[40:41]
	v_max_f32_e32 v0, v3, v3
	v_max_f32_e32 v1, v1, v1
	v_min_f32_e32 v1, v1, v0
.LBB6_7907:                             ;   in Loop: Header=BB6_5679 Depth=3
	v_and_b32_e32 v52, 0x7f800000, v1
	v_cmp_ne_u64_e32 vcc, s[76:77], v[52:53]
                                        ; implicit-def: $vgpr23
	s_and_saveexec_b64 s[40:41], vcc
	s_xor_b64 s[38:39], exec, s[40:41]
	s_cbranch_execz .LBB6_7921
; %bb.7908:                             ;   in Loop: Header=BB6_5679 Depth=3
	v_and_b32_e32 v52, 0x7fffffff, v1
	v_cmp_gt_u64_e32 vcc, s[78:79], v[52:53]
	v_and_b32_sdwa v3, v1, s82 dst_sel:DWORD dst_unused:UNUSED_PAD src0_sel:BYTE_3 src1_sel:DWORD
                                        ; implicit-def: $vgpr23
	s_and_saveexec_b64 s[40:41], vcc
	s_xor_b64 s[48:49], exec, s[40:41]
	s_cbranch_execz .LBB6_7918
; %bb.7909:                             ;   in Loop: Header=BB6_5679 Depth=3
	v_mov_b32_e32 v23, 0
	v_cmp_ne_u32_e32 vcc, 0, v1
	s_and_saveexec_b64 s[50:51], vcc
	s_cbranch_execz .LBB6_7917
; %bb.7910:                             ;   in Loop: Header=BB6_5679 Depth=3
	v_bfe_u32 v6, v1, 23, 8
	v_and_b32_e32 v0, 0x7fffff, v1
	v_cmp_gt_u32_e64 s[40:41], s85, v6
	v_sub_u32_e32 v1, 0x79, v6
	v_cmp_eq_u32_e32 vcc, 0, v6
	v_cndmask_b32_e64 v1, 0, v1, s[40:41]
	v_mov_b32_e32 v7, 0x78
	v_or_b32_e32 v2, 0x800000, v0
	v_cndmask_b32_e32 v7, v1, v7, vcc
	v_cndmask_b32_e32 v52, v2, v0, vcc
	v_add_u32_e32 v0, 20, v7
	v_lshlrev_b64 v[0:1], v0, -1
	v_add_u32_e32 v2, 19, v7
	v_lshlrev_b64 v[50:51], v2, 1
	v_bfi_b32 v1, v1, 0, 0
	v_bfi_b32 v0, v0, 0, v52
	v_cmp_eq_u64_e64 s[40:41], v[0:1], v[50:51]
	v_lshrrev_b64 v[0:1], v7, v[52:53]
	v_mov_b32_e32 v2, v1
	v_mov_b32_e32 v1, v0
	s_and_saveexec_b64 s[52:53], s[40:41]
; %bb.7911:                             ;   in Loop: Header=BB6_5679 Depth=3
	v_bfe_u32 v1, v0, 20, 1
	v_add_co_u32_e64 v1, s[40:41], v0, v1
	v_add_co_u32_e64 v1, s[40:41], -1, v1
; %bb.7912:                             ;   in Loop: Header=BB6_5679 Depth=3
	s_or_b64 exec, exec, s[52:53]
	v_add_u32_e32 v2, 0xffffff81, v6
	v_mov_b32_e32 v6, 0xffffff82
	v_cndmask_b32_e32 v2, v2, v6, vcc
	v_lshrrev_b32_e32 v6, 23, v0
	v_add3_u32 v7, v7, v2, v6
	v_add_u32_e32 v6, 6, v7
	v_and_b32_e32 v1, 0xfffff, v1
	v_add_u32_e32 v52, v1, v0
	v_cmp_ne_u32_e32 vcc, 0, v6
                                        ; implicit-def: $vgpr0_vgpr1
                                        ; implicit-def: $vgpr2
	s_and_saveexec_b64 s[40:41], vcc
	s_xor_b64 s[40:41], exec, s[40:41]
; %bb.7913:                             ;   in Loop: Header=BB6_5679 Depth=3
	v_cmp_lt_u64_e32 vcc, s[88:89], v[52:53]
	v_add_u32_e32 v0, 7, v7
	v_cndmask_b32_e32 v2, v6, v0, vcc
	v_cndmask_b32_e64 v0, 0, 1, vcc
	v_lshrrev_b64 v[0:1], v0, v[52:53]
; %bb.7914:                             ;   in Loop: Header=BB6_5679 Depth=3
	s_andn2_saveexec_b64 s[40:41], s[40:41]
; %bb.7915:                             ;   in Loop: Header=BB6_5679 Depth=3
	v_mov_b32_e32 v0, v52
	v_mov_b32_e32 v1, v53
	v_bfe_u32 v2, v52, 23, 1
; %bb.7916:                             ;   in Loop: Header=BB6_5679 Depth=3
	s_or_b64 exec, exec, s[40:41]
	v_lshrrev_b64 v[0:1], 20, v[0:1]
	v_cmp_gt_i32_e32 vcc, 16, v2
	v_cndmask_b32_e32 v1, 0, v1, vcc
	v_cndmask_b32_e32 v0, 7, v0, vcc
	v_cmp_eq_u64_e64 s[40:41], 0, v[0:1]
	v_min_i32_e32 v1, 15, v2
	v_lshlrev_b32_e32 v1, 3, v1
	v_cmp_eq_u32_e32 vcc, 0, v2
	v_and_b32_e32 v1, 0xf8, v1
	v_and_or_b32 v0, v0, 7, v1
	s_and_b64 s[40:41], vcc, s[40:41]
	v_cndmask_b32_e64 v0, v0, 0, s[40:41]
	v_or_b32_e32 v23, v0, v3
.LBB6_7917:                             ;   in Loop: Header=BB6_5679 Depth=3
	s_or_b64 exec, exec, s[50:51]
                                        ; implicit-def: $vgpr3
.LBB6_7918:                             ;   in Loop: Header=BB6_5679 Depth=3
	s_andn2_saveexec_b64 s[40:41], s[48:49]
; %bb.7919:                             ;   in Loop: Header=BB6_5679 Depth=3
	v_or_b32_e32 v23, 0x7e, v3
; %bb.7920:                             ;   in Loop: Header=BB6_5679 Depth=3
	s_or_b64 exec, exec, s[40:41]
                                        ; implicit-def: $vgpr1
.LBB6_7921:                             ;   in Loop: Header=BB6_5679 Depth=3
	s_andn2_saveexec_b64 s[40:41], s[38:39]
; %bb.7922:                             ;   in Loop: Header=BB6_5679 Depth=3
	v_or_b32_sdwa v23, v1, s83 dst_sel:DWORD dst_unused:UNUSED_PAD src0_sel:BYTE_3 src1_sel:DWORD
; %bb.7923:                             ;   in Loop: Header=BB6_5679 Depth=3
	s_or_b64 exec, exec, s[40:41]
	v_lshrrev_b32_e32 v2, 24, v12
	v_lshrrev_b32_e32 v0, 24, v8
	v_cmp_lt_u32_e64 s[40:41], s63, v12
	s_and_b64 vcc, exec, s[28:29]
	s_mov_b64 s[38:39], -1
                                        ; implicit-def: $vgpr1
	s_cbranch_vccnz .LBB6_7937
; %bb.7924:                             ;   in Loop: Header=BB6_5679 Depth=3
	v_mov_b32_e32 v3, 0
	v_mov_b32_e32 v1, 0
	s_and_saveexec_b64 s[38:39], s[40:41]
	s_cbranch_execz .LBB6_7930
; %bb.7925:                             ;   in Loop: Header=BB6_5679 Depth=3
	v_cmp_ne_u32_e32 vcc, s82, v2
	v_bfrev_b32_e32 v1, 1
	s_and_saveexec_b64 s[48:49], vcc
	s_cbranch_execz .LBB6_7929
; %bb.7926:                             ;   in Loop: Header=BB6_5679 Depth=3
	v_bfe_u32 v6, v12, 24, 7
	v_cmp_ne_u32_e32 vcc, s83, v6
	v_mov_b32_e32 v1, 0x7f800001
	s_and_saveexec_b64 s[50:51], vcc
	s_cbranch_execz .LBB6_7928
; %bb.7927:                             ;   in Loop: Header=BB6_5679 Depth=3
	v_and_b32_e32 v1, 7, v2
	v_lshrrev_b32_e32 v16, 3, v6
	v_cmp_gt_u32_e32 vcc, 8, v6
	v_ffbh_u32_e32 v6, v1
	v_min_u32_e32 v31, 32, v6
	v_subrev_u32_e32 v6, 28, v31
	v_lshlrev_b64 v[6:7], v6, v[2:3]
	v_sub_u32_e32 v7, 29, v31
	v_and_b32_e32 v6, 7, v6
	v_cndmask_b32_e32 v7, v16, v7, vcc
	v_cndmask_b32_e32 v1, v1, v6, vcc
	v_lshlrev_b32_e32 v6, 24, v2
	v_bfrev_b32_e32 v16, 60
	v_lshlrev_b32_e32 v1, 20, v1
	v_and_b32_e32 v6, 0x80000000, v6
	v_lshl_add_u32 v7, v7, 23, v16
	v_or3_b32 v1, v6, v7, v1
.LBB6_7928:                             ;   in Loop: Header=BB6_5679 Depth=3
	s_or_b64 exec, exec, s[50:51]
.LBB6_7929:                             ;   in Loop: Header=BB6_5679 Depth=3
	s_or_b64 exec, exec, s[48:49]
.LBB6_7930:                             ;   in Loop: Header=BB6_5679 Depth=3
	s_or_b64 exec, exec, s[38:39]
	v_cmp_lt_u32_e32 vcc, s63, v8
	s_and_saveexec_b64 s[38:39], vcc
	s_cbranch_execz .LBB6_7936
; %bb.7931:                             ;   in Loop: Header=BB6_5679 Depth=3
	v_cmp_ne_u32_e32 vcc, s82, v0
	v_bfrev_b32_e32 v3, 1
	s_and_saveexec_b64 s[48:49], vcc
	s_cbranch_execz .LBB6_7935
; %bb.7932:                             ;   in Loop: Header=BB6_5679 Depth=3
	v_bfe_u32 v6, v8, 24, 7
	v_cmp_ne_u32_e32 vcc, s83, v6
	v_mov_b32_e32 v3, 0x7f800001
	s_and_saveexec_b64 s[50:51], vcc
	s_cbranch_execz .LBB6_7934
; %bb.7933:                             ;   in Loop: Header=BB6_5679 Depth=3
	v_and_b32_e32 v3, 7, v0
	v_lshrrev_b32_e32 v16, 3, v6
	v_cmp_gt_u32_e32 vcc, 8, v6
	v_ffbh_u32_e32 v6, v3
	v_min_u32_e32 v31, 32, v6
	v_subrev_u32_e32 v6, 28, v31
	v_lshlrev_b64 v[6:7], v6, v[0:1]
	v_sub_u32_e32 v7, 29, v31
	v_and_b32_e32 v6, 7, v6
	v_cndmask_b32_e32 v7, v16, v7, vcc
	v_cndmask_b32_e32 v3, v3, v6, vcc
	v_lshlrev_b32_e32 v6, 24, v0
	v_bfrev_b32_e32 v16, 60
	v_lshlrev_b32_e32 v3, 20, v3
	v_and_b32_e32 v6, 0x80000000, v6
	v_lshl_add_u32 v7, v7, 23, v16
	v_or3_b32 v3, v6, v7, v3
.LBB6_7934:                             ;   in Loop: Header=BB6_5679 Depth=3
	s_or_b64 exec, exec, s[50:51]
.LBB6_7935:                             ;   in Loop: Header=BB6_5679 Depth=3
	s_or_b64 exec, exec, s[48:49]
.LBB6_7936:                             ;   in Loop: Header=BB6_5679 Depth=3
	s_or_b64 exec, exec, s[38:39]
	v_max_f32_e32 v3, v3, v3
	v_max_f32_e32 v1, v1, v1
	;; [unrolled: 1-line block ×3, first 2 shown]
	s_mov_b64 s[38:39], 0
.LBB6_7937:                             ;   in Loop: Header=BB6_5679 Depth=3
	s_and_b64 vcc, exec, s[38:39]
	s_cbranch_vccz .LBB6_7951
; %bb.7938:                             ;   in Loop: Header=BB6_5679 Depth=3
	v_mov_b32_e32 v3, 0
	v_mov_b32_e32 v1, 0
	s_and_saveexec_b64 s[38:39], s[40:41]
	s_cbranch_execz .LBB6_7944
; %bb.7939:                             ;   in Loop: Header=BB6_5679 Depth=3
	v_cmp_ne_u32_e32 vcc, s82, v2
	v_bfrev_b32_e32 v1, 1
	s_and_saveexec_b64 s[40:41], vcc
	s_cbranch_execz .LBB6_7943
; %bb.7940:                             ;   in Loop: Header=BB6_5679 Depth=3
	v_bfe_u32 v6, v12, 24, 7
	v_cmp_ne_u32_e32 vcc, s83, v6
	v_mov_b32_e32 v1, 0x7f800001
	s_and_saveexec_b64 s[48:49], vcc
	s_cbranch_execz .LBB6_7942
; %bb.7941:                             ;   in Loop: Header=BB6_5679 Depth=3
	v_and_b32_e32 v1, 7, v2
	v_lshrrev_b32_e32 v16, 3, v6
	v_cmp_gt_u32_e32 vcc, 8, v6
	v_ffbh_u32_e32 v6, v1
	v_min_u32_e32 v31, 32, v6
	v_subrev_u32_e32 v6, 28, v31
	v_lshlrev_b64 v[6:7], v6, v[2:3]
	v_sub_u32_e32 v7, 29, v31
	v_and_b32_e32 v6, 7, v6
	v_cndmask_b32_e32 v7, v16, v7, vcc
	v_cndmask_b32_e32 v1, v1, v6, vcc
	v_lshlrev_b32_e32 v2, 24, v2
	v_bfrev_b32_e32 v6, 60
	v_lshlrev_b32_e32 v1, 20, v1
	v_and_b32_e32 v2, 0x80000000, v2
	v_lshl_add_u32 v6, v7, 23, v6
	v_or3_b32 v1, v2, v6, v1
.LBB6_7942:                             ;   in Loop: Header=BB6_5679 Depth=3
	s_or_b64 exec, exec, s[48:49]
.LBB6_7943:                             ;   in Loop: Header=BB6_5679 Depth=3
	s_or_b64 exec, exec, s[40:41]
.LBB6_7944:                             ;   in Loop: Header=BB6_5679 Depth=3
	s_or_b64 exec, exec, s[38:39]
	v_cmp_lt_u32_e32 vcc, s63, v8
	s_and_saveexec_b64 s[40:41], vcc
	s_cbranch_execz .LBB6_7950
; %bb.7945:                             ;   in Loop: Header=BB6_5679 Depth=3
	v_cmp_ne_u32_e32 vcc, s82, v0
	v_bfrev_b32_e32 v3, 1
	s_and_saveexec_b64 s[38:39], vcc
	s_cbranch_execz .LBB6_7949
; %bb.7946:                             ;   in Loop: Header=BB6_5679 Depth=3
	v_bfe_u32 v2, v8, 24, 7
	v_cmp_ne_u32_e32 vcc, s83, v2
	v_mov_b32_e32 v3, 0x7f800001
	s_and_saveexec_b64 s[48:49], vcc
	s_cbranch_execz .LBB6_7948
; %bb.7947:                             ;   in Loop: Header=BB6_5679 Depth=3
	v_and_b32_e32 v6, 7, v0
	v_lshrrev_b32_e32 v7, 3, v2
	v_cmp_gt_u32_e32 vcc, 8, v2
	v_ffbh_u32_e32 v2, v6
	v_min_u32_e32 v16, 32, v2
	v_subrev_u32_e32 v2, 28, v16
	v_lshlrev_b64 v[2:3], v2, v[0:1]
	v_sub_u32_e32 v3, 29, v16
	v_and_b32_e32 v2, 7, v2
	v_cndmask_b32_e32 v3, v7, v3, vcc
	v_cndmask_b32_e32 v2, v6, v2, vcc
	v_lshlrev_b32_e32 v0, 24, v0
	v_bfrev_b32_e32 v6, 60
	v_lshlrev_b32_e32 v2, 20, v2
	v_and_b32_e32 v0, 0x80000000, v0
	v_lshl_add_u32 v3, v3, 23, v6
	v_or3_b32 v3, v0, v3, v2
.LBB6_7948:                             ;   in Loop: Header=BB6_5679 Depth=3
	s_or_b64 exec, exec, s[48:49]
.LBB6_7949:                             ;   in Loop: Header=BB6_5679 Depth=3
	s_or_b64 exec, exec, s[38:39]
.LBB6_7950:                             ;   in Loop: Header=BB6_5679 Depth=3
	s_or_b64 exec, exec, s[40:41]
	v_max_f32_e32 v0, v3, v3
	v_max_f32_e32 v1, v1, v1
	v_min_f32_e32 v1, v1, v0
.LBB6_7951:                             ;   in Loop: Header=BB6_5679 Depth=3
	v_and_b32_e32 v52, 0x7f800000, v1
	v_cmp_ne_u64_e32 vcc, s[76:77], v[52:53]
	v_mov_b32_e32 v54, v26
	v_mov_b32_e32 v26, v56
                                        ; implicit-def: $vgpr56
	s_and_saveexec_b64 s[40:41], vcc
	s_xor_b64 s[38:39], exec, s[40:41]
	s_cbranch_execz .LBB6_7965
; %bb.7952:                             ;   in Loop: Header=BB6_5679 Depth=3
	v_and_b32_e32 v52, 0x7fffffff, v1
	v_cmp_gt_u64_e32 vcc, s[78:79], v[52:53]
	v_and_b32_sdwa v3, v1, s82 dst_sel:DWORD dst_unused:UNUSED_PAD src0_sel:BYTE_3 src1_sel:DWORD
                                        ; implicit-def: $vgpr56
	s_and_saveexec_b64 s[40:41], vcc
	s_xor_b64 s[48:49], exec, s[40:41]
	s_cbranch_execz .LBB6_7962
; %bb.7953:                             ;   in Loop: Header=BB6_5679 Depth=3
	v_mov_b32_e32 v56, 0
	v_cmp_ne_u32_e32 vcc, 0, v1
	s_and_saveexec_b64 s[50:51], vcc
	s_cbranch_execz .LBB6_7961
; %bb.7954:                             ;   in Loop: Header=BB6_5679 Depth=3
	v_bfe_u32 v6, v1, 23, 8
	v_and_b32_e32 v0, 0x7fffff, v1
	v_cmp_gt_u32_e64 s[40:41], s85, v6
	v_sub_u32_e32 v1, 0x79, v6
	v_cmp_eq_u32_e32 vcc, 0, v6
	v_cndmask_b32_e64 v1, 0, v1, s[40:41]
	v_mov_b32_e32 v7, 0x78
	v_or_b32_e32 v2, 0x800000, v0
	v_cndmask_b32_e32 v7, v1, v7, vcc
	v_cndmask_b32_e32 v52, v2, v0, vcc
	v_add_u32_e32 v0, 20, v7
	v_lshlrev_b64 v[0:1], v0, -1
	v_add_u32_e32 v2, 19, v7
	v_lshlrev_b64 v[50:51], v2, 1
	v_bfi_b32 v1, v1, 0, 0
	v_bfi_b32 v0, v0, 0, v52
	v_cmp_eq_u64_e64 s[40:41], v[0:1], v[50:51]
	v_lshrrev_b64 v[0:1], v7, v[52:53]
	v_mov_b32_e32 v2, v1
	v_mov_b32_e32 v1, v0
	s_and_saveexec_b64 s[52:53], s[40:41]
; %bb.7955:                             ;   in Loop: Header=BB6_5679 Depth=3
	v_bfe_u32 v1, v0, 20, 1
	v_add_co_u32_e64 v1, s[40:41], v0, v1
	v_add_co_u32_e64 v1, s[40:41], -1, v1
; %bb.7956:                             ;   in Loop: Header=BB6_5679 Depth=3
	s_or_b64 exec, exec, s[52:53]
	v_add_u32_e32 v2, 0xffffff81, v6
	v_mov_b32_e32 v6, 0xffffff82
	v_cndmask_b32_e32 v2, v2, v6, vcc
	v_lshrrev_b32_e32 v6, 23, v0
	v_add3_u32 v7, v7, v2, v6
	v_add_u32_e32 v6, 6, v7
	v_and_b32_e32 v1, 0xfffff, v1
	v_add_u32_e32 v52, v1, v0
	v_cmp_ne_u32_e32 vcc, 0, v6
                                        ; implicit-def: $vgpr0_vgpr1
                                        ; implicit-def: $vgpr2
	s_and_saveexec_b64 s[40:41], vcc
	s_xor_b64 s[40:41], exec, s[40:41]
; %bb.7957:                             ;   in Loop: Header=BB6_5679 Depth=3
	v_cmp_lt_u64_e32 vcc, s[88:89], v[52:53]
	v_add_u32_e32 v0, 7, v7
	v_cndmask_b32_e32 v2, v6, v0, vcc
	v_cndmask_b32_e64 v0, 0, 1, vcc
	v_lshrrev_b64 v[0:1], v0, v[52:53]
; %bb.7958:                             ;   in Loop: Header=BB6_5679 Depth=3
	s_andn2_saveexec_b64 s[40:41], s[40:41]
; %bb.7959:                             ;   in Loop: Header=BB6_5679 Depth=3
	v_mov_b32_e32 v0, v52
	v_mov_b32_e32 v1, v53
	v_bfe_u32 v2, v52, 23, 1
; %bb.7960:                             ;   in Loop: Header=BB6_5679 Depth=3
	s_or_b64 exec, exec, s[40:41]
	v_lshrrev_b64 v[0:1], 20, v[0:1]
	v_cmp_gt_i32_e32 vcc, 16, v2
	v_cndmask_b32_e32 v1, 0, v1, vcc
	v_cndmask_b32_e32 v0, 7, v0, vcc
	v_cmp_eq_u64_e64 s[40:41], 0, v[0:1]
	v_min_i32_e32 v1, 15, v2
	v_lshlrev_b32_e32 v1, 3, v1
	v_cmp_eq_u32_e32 vcc, 0, v2
	v_and_b32_e32 v1, 0xf8, v1
	v_and_or_b32 v0, v0, 7, v1
	s_and_b64 s[40:41], vcc, s[40:41]
	v_cndmask_b32_e64 v0, v0, 0, s[40:41]
	v_or_b32_e32 v56, v0, v3
.LBB6_7961:                             ;   in Loop: Header=BB6_5679 Depth=3
	s_or_b64 exec, exec, s[50:51]
                                        ; implicit-def: $vgpr3
.LBB6_7962:                             ;   in Loop: Header=BB6_5679 Depth=3
	s_andn2_saveexec_b64 s[40:41], s[48:49]
; %bb.7963:                             ;   in Loop: Header=BB6_5679 Depth=3
	v_or_b32_e32 v56, 0x7e, v3
; %bb.7964:                             ;   in Loop: Header=BB6_5679 Depth=3
	s_or_b64 exec, exec, s[40:41]
                                        ; implicit-def: $vgpr1
.LBB6_7965:                             ;   in Loop: Header=BB6_5679 Depth=3
	s_andn2_saveexec_b64 s[40:41], s[38:39]
; %bb.7966:                             ;   in Loop: Header=BB6_5679 Depth=3
	v_or_b32_sdwa v56, v1, s83 dst_sel:DWORD dst_unused:UNUSED_PAD src0_sel:BYTE_3 src1_sel:DWORD
; %bb.7967:                             ;   in Loop: Header=BB6_5679 Depth=3
	s_or_b64 exec, exec, s[40:41]
	v_mov_b32_e32 v52, v13
	v_mov_b32_e32 v2, v9
	;; [unrolled: 1-line block ×3, first 2 shown]
	v_cmp_ne_u16_sdwa s[40:41], v13, v53 src0_sel:BYTE_0 src1_sel:DWORD
	s_and_b64 vcc, exec, s[28:29]
	s_mov_b64 s[38:39], -1
                                        ; implicit-def: $vgpr0
	s_cbranch_vccnz .LBB6_7981
; %bb.7968:                             ;   in Loop: Header=BB6_5679 Depth=3
	v_mov_b32_e32 v1, 0
	v_mov_b32_e32 v0, 0
	s_and_saveexec_b64 s[38:39], s[40:41]
	s_cbranch_execz .LBB6_7974
; %bb.7969:                             ;   in Loop: Header=BB6_5679 Depth=3
	v_cmp_ne_u16_sdwa vcc, v13, s82 src0_sel:BYTE_0 src1_sel:DWORD
	v_bfrev_b32_e32 v0, 1
	s_and_saveexec_b64 s[48:49], vcc
	s_cbranch_execz .LBB6_7973
; %bb.7970:                             ;   in Loop: Header=BB6_5679 Depth=3
	v_and_b32_e32 v6, 0x7f, v13
	v_cmp_ne_u32_e32 vcc, s83, v6
	v_mov_b32_e32 v0, 0x7f800001
	s_and_saveexec_b64 s[50:51], vcc
	s_cbranch_execz .LBB6_7972
; %bb.7971:                             ;   in Loop: Header=BB6_5679 Depth=3
	v_and_b32_e32 v0, 7, v13
	v_ffbh_u32_e32 v0, v0
	v_min_u32_e32 v0, 32, v0
	v_lshrrev_b32_e32 v7, 3, v6
	v_cmp_gt_u32_e32 vcc, 8, v6
	v_subrev_u32_e32 v6, 28, v0
	v_sub_u32_e32 v0, 29, v0
	v_cndmask_b32_e32 v6, 0, v6, vcc
	v_cndmask_b32_e32 v0, v7, v0, vcc
	v_lshlrev_b64 v[6:7], v6, v[52:53]
	v_lshlrev_b32_e32 v7, 24, v52
	v_lshlrev_b32_e32 v6, 20, v6
	v_bfrev_b32_e32 v16, 60
	v_and_b32_e32 v6, 0x700000, v6
	v_and_b32_e32 v7, 0x80000000, v7
	v_lshl_add_u32 v0, v0, 23, v16
	v_or3_b32 v0, v7, v0, v6
.LBB6_7972:                             ;   in Loop: Header=BB6_5679 Depth=3
	s_or_b64 exec, exec, s[50:51]
.LBB6_7973:                             ;   in Loop: Header=BB6_5679 Depth=3
	s_or_b64 exec, exec, s[48:49]
.LBB6_7974:                             ;   in Loop: Header=BB6_5679 Depth=3
	s_or_b64 exec, exec, s[38:39]
	v_cmp_ne_u16_sdwa vcc, v9, v53 src0_sel:BYTE_0 src1_sel:DWORD
	s_and_saveexec_b64 s[38:39], vcc
	s_cbranch_execz .LBB6_7980
; %bb.7975:                             ;   in Loop: Header=BB6_5679 Depth=3
	v_cmp_ne_u16_sdwa vcc, v9, s82 src0_sel:BYTE_0 src1_sel:DWORD
	v_bfrev_b32_e32 v1, 1
	s_and_saveexec_b64 s[48:49], vcc
	s_cbranch_execz .LBB6_7979
; %bb.7976:                             ;   in Loop: Header=BB6_5679 Depth=3
	v_and_b32_e32 v6, 0x7f, v9
	v_cmp_ne_u32_e32 vcc, s83, v6
	v_mov_b32_e32 v1, 0x7f800001
	s_and_saveexec_b64 s[50:51], vcc
	s_cbranch_execz .LBB6_7978
; %bb.7977:                             ;   in Loop: Header=BB6_5679 Depth=3
	v_and_b32_e32 v1, 7, v9
	v_ffbh_u32_e32 v1, v1
	v_min_u32_e32 v1, 32, v1
	v_lshrrev_b32_e32 v7, 3, v6
	v_cmp_gt_u32_e32 vcc, 8, v6
	v_subrev_u32_e32 v6, 28, v1
	v_sub_u32_e32 v1, 29, v1
	v_cndmask_b32_e32 v6, 0, v6, vcc
	v_cndmask_b32_e32 v1, v7, v1, vcc
	v_lshlrev_b64 v[6:7], v6, v[2:3]
	v_lshlrev_b32_e32 v7, 24, v2
	v_lshlrev_b32_e32 v6, 20, v6
	v_bfrev_b32_e32 v16, 60
	v_and_b32_e32 v6, 0x700000, v6
	v_and_b32_e32 v7, 0x80000000, v7
	v_lshl_add_u32 v1, v1, 23, v16
	v_or3_b32 v1, v7, v1, v6
.LBB6_7978:                             ;   in Loop: Header=BB6_5679 Depth=3
	s_or_b64 exec, exec, s[50:51]
.LBB6_7979:                             ;   in Loop: Header=BB6_5679 Depth=3
	s_or_b64 exec, exec, s[48:49]
.LBB6_7980:                             ;   in Loop: Header=BB6_5679 Depth=3
	s_or_b64 exec, exec, s[38:39]
	v_max_f32_e32 v1, v1, v1
	v_max_f32_e32 v0, v0, v0
	;; [unrolled: 1-line block ×3, first 2 shown]
	s_mov_b64 s[38:39], 0
.LBB6_7981:                             ;   in Loop: Header=BB6_5679 Depth=3
	s_and_b64 vcc, exec, s[38:39]
	s_cbranch_vccz .LBB6_7995
; %bb.7982:                             ;   in Loop: Header=BB6_5679 Depth=3
	v_mov_b32_e32 v1, 0
	v_mov_b32_e32 v0, 0
	s_and_saveexec_b64 s[38:39], s[40:41]
	s_cbranch_execz .LBB6_7988
; %bb.7983:                             ;   in Loop: Header=BB6_5679 Depth=3
	v_cmp_ne_u16_sdwa vcc, v13, s82 src0_sel:BYTE_0 src1_sel:DWORD
	v_bfrev_b32_e32 v0, 1
	s_and_saveexec_b64 s[40:41], vcc
	s_cbranch_execz .LBB6_7987
; %bb.7984:                             ;   in Loop: Header=BB6_5679 Depth=3
	v_and_b32_e32 v6, 0x7f, v13
	v_cmp_ne_u32_e32 vcc, s83, v6
	v_mov_b32_e32 v0, 0x7f800001
	s_and_saveexec_b64 s[48:49], vcc
	s_cbranch_execz .LBB6_7986
; %bb.7985:                             ;   in Loop: Header=BB6_5679 Depth=3
	v_and_b32_e32 v0, 7, v13
	v_ffbh_u32_e32 v0, v0
	v_min_u32_e32 v0, 32, v0
	v_lshrrev_b32_e32 v7, 3, v6
	v_cmp_gt_u32_e32 vcc, 8, v6
	v_subrev_u32_e32 v6, 28, v0
	v_sub_u32_e32 v0, 29, v0
	v_cndmask_b32_e32 v6, 0, v6, vcc
	v_cndmask_b32_e32 v0, v7, v0, vcc
	v_lshlrev_b64 v[6:7], v6, v[52:53]
	v_lshlrev_b32_e32 v7, 24, v52
	v_lshlrev_b32_e32 v6, 20, v6
	v_bfrev_b32_e32 v16, 60
	v_and_b32_e32 v6, 0x700000, v6
	v_and_b32_e32 v7, 0x80000000, v7
	v_lshl_add_u32 v0, v0, 23, v16
	v_or3_b32 v0, v7, v0, v6
.LBB6_7986:                             ;   in Loop: Header=BB6_5679 Depth=3
	s_or_b64 exec, exec, s[48:49]
.LBB6_7987:                             ;   in Loop: Header=BB6_5679 Depth=3
	s_or_b64 exec, exec, s[40:41]
.LBB6_7988:                             ;   in Loop: Header=BB6_5679 Depth=3
	s_or_b64 exec, exec, s[38:39]
	v_cmp_ne_u16_sdwa vcc, v9, v53 src0_sel:BYTE_0 src1_sel:DWORD
	s_and_saveexec_b64 s[40:41], vcc
	s_cbranch_execz .LBB6_7994
; %bb.7989:                             ;   in Loop: Header=BB6_5679 Depth=3
	v_cmp_ne_u16_sdwa vcc, v9, s82 src0_sel:BYTE_0 src1_sel:DWORD
	v_bfrev_b32_e32 v1, 1
	s_and_saveexec_b64 s[38:39], vcc
	s_cbranch_execz .LBB6_7993
; %bb.7990:                             ;   in Loop: Header=BB6_5679 Depth=3
	v_and_b32_e32 v6, 0x7f, v9
	v_cmp_ne_u32_e32 vcc, s83, v6
	v_mov_b32_e32 v1, 0x7f800001
	s_and_saveexec_b64 s[48:49], vcc
	s_cbranch_execz .LBB6_7992
; %bb.7991:                             ;   in Loop: Header=BB6_5679 Depth=3
	v_and_b32_e32 v1, 7, v9
	v_ffbh_u32_e32 v1, v1
	v_min_u32_e32 v1, 32, v1
	v_lshrrev_b32_e32 v7, 3, v6
	v_cmp_gt_u32_e32 vcc, 8, v6
	v_subrev_u32_e32 v6, 28, v1
	v_sub_u32_e32 v1, 29, v1
	v_cndmask_b32_e32 v6, 0, v6, vcc
	v_cndmask_b32_e32 v1, v7, v1, vcc
	v_lshlrev_b64 v[6:7], v6, v[2:3]
	v_bfrev_b32_e32 v7, 60
	v_lshlrev_b32_e32 v3, 20, v6
	v_lshlrev_b32_e32 v6, 24, v2
	v_and_b32_e32 v3, 0x700000, v3
	v_and_b32_e32 v6, 0x80000000, v6
	v_lshl_add_u32 v1, v1, 23, v7
	v_or3_b32 v1, v6, v1, v3
.LBB6_7992:                             ;   in Loop: Header=BB6_5679 Depth=3
	s_or_b64 exec, exec, s[48:49]
.LBB6_7993:                             ;   in Loop: Header=BB6_5679 Depth=3
	s_or_b64 exec, exec, s[38:39]
.LBB6_7994:                             ;   in Loop: Header=BB6_5679 Depth=3
	s_or_b64 exec, exec, s[40:41]
	v_max_f32_e32 v1, v1, v1
	v_max_f32_e32 v0, v0, v0
	v_min_f32_e32 v0, v0, v1
.LBB6_7995:                             ;   in Loop: Header=BB6_5679 Depth=3
	v_and_b32_e32 v6, 0x7f800000, v0
	v_mov_b32_e32 v7, v53
	v_cmp_ne_u64_e32 vcc, s[76:77], v[6:7]
	v_mov_b32_e32 v48, v57
                                        ; implicit-def: $vgpr57
	s_and_saveexec_b64 s[40:41], vcc
	s_xor_b64 s[38:39], exec, s[40:41]
	s_cbranch_execz .LBB6_8009
; %bb.7996:                             ;   in Loop: Header=BB6_5679 Depth=3
	v_and_b32_e32 v6, 0x7fffffff, v0
	v_mov_b32_e32 v7, v53
	v_cmp_gt_u64_e32 vcc, s[78:79], v[6:7]
	v_and_b32_sdwa v3, v0, s82 dst_sel:DWORD dst_unused:UNUSED_PAD src0_sel:BYTE_3 src1_sel:DWORD
                                        ; implicit-def: $vgpr57
	s_and_saveexec_b64 s[40:41], vcc
	s_xor_b64 s[48:49], exec, s[40:41]
	s_cbranch_execz .LBB6_8006
; %bb.7997:                             ;   in Loop: Header=BB6_5679 Depth=3
	v_mov_b32_e32 v57, 0
	v_cmp_ne_u32_e32 vcc, 0, v0
	s_and_saveexec_b64 s[50:51], vcc
	s_cbranch_execz .LBB6_8005
; %bb.7998:                             ;   in Loop: Header=BB6_5679 Depth=3
	v_bfe_u32 v16, v0, 23, 8
	v_and_b32_e32 v1, 0x7fffff, v0
	v_cmp_gt_u32_e64 s[40:41], s85, v16
	v_sub_u32_e32 v0, 0x79, v16
	v_cmp_eq_u32_e32 vcc, 0, v16
	v_cndmask_b32_e64 v0, 0, v0, s[40:41]
	v_mov_b32_e32 v7, 0x78
	v_or_b32_e32 v6, 0x800000, v1
	v_cndmask_b32_e32 v50, v0, v7, vcc
	v_cndmask_b32_e32 v0, v6, v1, vcc
	v_add_u32_e32 v6, 20, v50
	v_lshlrev_b64 v[6:7], v6, -1
	v_mov_b32_e32 v1, v53
	v_add_u32_e32 v31, 19, v50
	v_mov_b32_e32 v32, v47
	v_bfi_b32 v6, v6, 0, v0
	v_lshlrev_b64 v[46:47], v31, 1
	v_lshrrev_b64 v[0:1], v50, v[0:1]
	v_bfi_b32 v7, v7, 0, 0
	v_cmp_eq_u64_e64 s[40:41], v[6:7], v[46:47]
	v_mov_b32_e32 v7, v1
	v_mov_b32_e32 v6, v0
	s_and_saveexec_b64 s[52:53], s[40:41]
; %bb.7999:                             ;   in Loop: Header=BB6_5679 Depth=3
	v_bfe_u32 v1, v0, 20, 1
	v_add_co_u32_e64 v1, s[40:41], v0, v1
	v_add_co_u32_e64 v6, s[40:41], -1, v1
; %bb.8000:                             ;   in Loop: Header=BB6_5679 Depth=3
	s_or_b64 exec, exec, s[52:53]
	v_add_u32_e32 v1, 0xffffff81, v16
	v_mov_b32_e32 v7, 0xffffff82
	v_cndmask_b32_e32 v1, v1, v7, vcc
	v_lshrrev_b32_e32 v7, 23, v0
	v_add3_u32 v16, v50, v1, v7
	v_add_u32_e32 v7, 6, v16
	v_and_b32_e32 v1, 0xfffff, v6
	v_add_u32_e32 v0, v1, v0
	v_mov_b32_e32 v1, v53
	v_cmp_ne_u32_e32 vcc, 0, v7
                                        ; implicit-def: $vgpr6
	s_and_saveexec_b64 s[40:41], vcc
	s_xor_b64 s[40:41], exec, s[40:41]
; %bb.8001:                             ;   in Loop: Header=BB6_5679 Depth=3
	v_cmp_lt_u64_e32 vcc, s[88:89], v[0:1]
	v_add_u32_e32 v6, 7, v16
	v_cndmask_b32_e32 v6, v7, v6, vcc
	v_cndmask_b32_e64 v7, 0, 1, vcc
	v_lshrrev_b64 v[0:1], v7, v[0:1]
; %bb.8002:                             ;   in Loop: Header=BB6_5679 Depth=3
	s_or_saveexec_b64 s[40:41], s[40:41]
	v_mov_b32_e32 v47, v32
	s_xor_b64 exec, exec, s[40:41]
; %bb.8003:                             ;   in Loop: Header=BB6_5679 Depth=3
	v_bfe_u32 v6, v0, 23, 1
; %bb.8004:                             ;   in Loop: Header=BB6_5679 Depth=3
	s_or_b64 exec, exec, s[40:41]
	v_lshrrev_b64 v[0:1], 20, v[0:1]
	v_cmp_gt_i32_e32 vcc, 16, v6
	v_cndmask_b32_e32 v1, 0, v1, vcc
	v_cndmask_b32_e32 v0, 7, v0, vcc
	v_cmp_eq_u64_e64 s[40:41], 0, v[0:1]
	v_min_i32_e32 v1, 15, v6
	v_lshlrev_b32_e32 v1, 3, v1
	v_cmp_eq_u32_e32 vcc, 0, v6
	v_and_b32_e32 v1, 0xf8, v1
	v_and_or_b32 v0, v0, 7, v1
	s_and_b64 s[40:41], vcc, s[40:41]
	v_cndmask_b32_e64 v0, v0, 0, s[40:41]
	v_or_b32_e32 v57, v0, v3
.LBB6_8005:                             ;   in Loop: Header=BB6_5679 Depth=3
	s_or_b64 exec, exec, s[50:51]
                                        ; implicit-def: $vgpr3
.LBB6_8006:                             ;   in Loop: Header=BB6_5679 Depth=3
	s_andn2_saveexec_b64 s[40:41], s[48:49]
; %bb.8007:                             ;   in Loop: Header=BB6_5679 Depth=3
	v_or_b32_e32 v57, 0x7e, v3
; %bb.8008:                             ;   in Loop: Header=BB6_5679 Depth=3
	s_or_b64 exec, exec, s[40:41]
                                        ; implicit-def: $vgpr0
.LBB6_8009:                             ;   in Loop: Header=BB6_5679 Depth=3
	s_andn2_saveexec_b64 s[40:41], s[38:39]
; %bb.8010:                             ;   in Loop: Header=BB6_5679 Depth=3
	v_or_b32_sdwa v57, v0, s83 dst_sel:DWORD dst_unused:UNUSED_PAD src0_sel:BYTE_3 src1_sel:DWORD
; %bb.8011:                             ;   in Loop: Header=BB6_5679 Depth=3
	s_or_b64 exec, exec, s[40:41]
	v_lshrrev_b16_e32 v16, 8, v52
	v_lshrrev_b16_e32 v3, 8, v2
	v_cmp_ne_u16_e64 s[40:41], 0, v16
	s_and_b64 vcc, exec, s[28:29]
	s_mov_b64 s[38:39], -1
                                        ; implicit-def: $vgpr0
	s_cbranch_vccnz .LBB6_8025
; %bb.8012:                             ;   in Loop: Header=BB6_5679 Depth=3
	v_mov_b32_e32 v1, 0
	v_mov_b32_e32 v0, 0
	s_and_saveexec_b64 s[38:39], s[40:41]
	s_cbranch_execz .LBB6_8018
; %bb.8013:                             ;   in Loop: Header=BB6_5679 Depth=3
	v_cmp_ne_u16_e32 vcc, s82, v16
	v_bfrev_b32_e32 v0, 1
	s_and_saveexec_b64 s[48:49], vcc
	s_cbranch_execz .LBB6_8017
; %bb.8014:                             ;   in Loop: Header=BB6_5679 Depth=3
	v_and_b32_e32 v6, 0x7f, v16
	v_cmp_ne_u32_e32 vcc, s83, v6
	v_mov_b32_e32 v0, 0x7f800001
	s_and_saveexec_b64 s[50:51], vcc
	s_cbranch_execz .LBB6_8016
; %bb.8015:                             ;   in Loop: Header=BB6_5679 Depth=3
	v_and_b32_e32 v0, 7, v16
	v_lshrrev_b32_e32 v31, 3, v6
	v_cmp_gt_u32_e32 vcc, 8, v6
	v_ffbh_u32_e32 v6, v0
	v_min_u32_e32 v32, 32, v6
	v_subrev_u32_e32 v6, 28, v32
	v_lshlrev_b64 v[6:7], v6, v[16:17]
	v_sub_u32_e32 v7, 29, v32
	v_and_b32_e32 v6, 7, v6
	v_cndmask_b32_e32 v7, v31, v7, vcc
	v_cndmask_b32_e32 v0, v0, v6, vcc
	v_lshlrev_b32_e32 v6, 16, v52
	v_bfrev_b32_e32 v31, 60
	v_lshlrev_b32_e32 v0, 20, v0
	v_and_b32_e32 v6, 0x80000000, v6
	v_lshl_add_u32 v7, v7, 23, v31
	v_or3_b32 v0, v6, v7, v0
.LBB6_8016:                             ;   in Loop: Header=BB6_5679 Depth=3
	s_or_b64 exec, exec, s[50:51]
.LBB6_8017:                             ;   in Loop: Header=BB6_5679 Depth=3
	s_or_b64 exec, exec, s[48:49]
.LBB6_8018:                             ;   in Loop: Header=BB6_5679 Depth=3
	s_or_b64 exec, exec, s[38:39]
	v_cmp_ne_u16_e32 vcc, 0, v3
	s_and_saveexec_b64 s[38:39], vcc
	s_cbranch_execz .LBB6_8024
; %bb.8019:                             ;   in Loop: Header=BB6_5679 Depth=3
	v_cmp_ne_u16_e32 vcc, s82, v3
	v_bfrev_b32_e32 v1, 1
	s_and_saveexec_b64 s[48:49], vcc
	s_cbranch_execz .LBB6_8023
; %bb.8020:                             ;   in Loop: Header=BB6_5679 Depth=3
	v_and_b32_e32 v6, 0x7f, v3
	v_cmp_ne_u32_e32 vcc, s83, v6
	v_mov_b32_e32 v1, 0x7f800001
	s_and_saveexec_b64 s[50:51], vcc
	s_cbranch_execz .LBB6_8022
; %bb.8021:                             ;   in Loop: Header=BB6_5679 Depth=3
	v_and_b32_e32 v1, 7, v3
	v_lshrrev_b32_e32 v31, 3, v6
	v_cmp_gt_u32_e32 vcc, 8, v6
	v_ffbh_u32_e32 v6, v1
	v_min_u32_e32 v32, 32, v6
	v_subrev_u32_e32 v6, 28, v32
	v_lshlrev_b64 v[6:7], v6, v[3:4]
	v_sub_u32_e32 v7, 29, v32
	v_and_b32_e32 v6, 7, v6
	v_cndmask_b32_e32 v7, v31, v7, vcc
	v_cndmask_b32_e32 v1, v1, v6, vcc
	v_lshlrev_b32_e32 v6, 16, v2
	v_bfrev_b32_e32 v31, 60
	v_lshlrev_b32_e32 v1, 20, v1
	v_and_b32_e32 v6, 0x80000000, v6
	v_lshl_add_u32 v7, v7, 23, v31
	v_or3_b32 v1, v6, v7, v1
.LBB6_8022:                             ;   in Loop: Header=BB6_5679 Depth=3
	s_or_b64 exec, exec, s[50:51]
.LBB6_8023:                             ;   in Loop: Header=BB6_5679 Depth=3
	s_or_b64 exec, exec, s[48:49]
.LBB6_8024:                             ;   in Loop: Header=BB6_5679 Depth=3
	s_or_b64 exec, exec, s[38:39]
	v_max_f32_e32 v1, v1, v1
	v_max_f32_e32 v0, v0, v0
	;; [unrolled: 1-line block ×3, first 2 shown]
	s_mov_b64 s[38:39], 0
.LBB6_8025:                             ;   in Loop: Header=BB6_5679 Depth=3
	s_and_b64 vcc, exec, s[38:39]
	s_cbranch_vccz .LBB6_8039
; %bb.8026:                             ;   in Loop: Header=BB6_5679 Depth=3
	v_mov_b32_e32 v1, 0
	v_mov_b32_e32 v0, 0
	s_and_saveexec_b64 s[38:39], s[40:41]
	s_cbranch_execz .LBB6_8032
; %bb.8027:                             ;   in Loop: Header=BB6_5679 Depth=3
	v_cmp_ne_u16_e32 vcc, s82, v16
	v_bfrev_b32_e32 v0, 1
	s_and_saveexec_b64 s[40:41], vcc
	s_cbranch_execz .LBB6_8031
; %bb.8028:                             ;   in Loop: Header=BB6_5679 Depth=3
	v_and_b32_e32 v6, 0x7f, v16
	v_cmp_ne_u32_e32 vcc, s83, v6
	v_mov_b32_e32 v0, 0x7f800001
	s_and_saveexec_b64 s[48:49], vcc
	s_cbranch_execz .LBB6_8030
; %bb.8029:                             ;   in Loop: Header=BB6_5679 Depth=3
	v_and_b32_e32 v0, 7, v16
	v_lshrrev_b32_e32 v31, 3, v6
	v_cmp_gt_u32_e32 vcc, 8, v6
	v_ffbh_u32_e32 v6, v0
	v_min_u32_e32 v32, 32, v6
	v_subrev_u32_e32 v6, 28, v32
	v_lshlrev_b64 v[6:7], v6, v[16:17]
	v_sub_u32_e32 v7, 29, v32
	v_and_b32_e32 v6, 7, v6
	v_cndmask_b32_e32 v7, v31, v7, vcc
	v_cndmask_b32_e32 v0, v0, v6, vcc
	v_lshlrev_b32_e32 v6, 16, v52
	v_bfrev_b32_e32 v16, 60
	v_lshlrev_b32_e32 v0, 20, v0
	v_and_b32_e32 v6, 0x80000000, v6
	v_lshl_add_u32 v7, v7, 23, v16
	v_or3_b32 v0, v6, v7, v0
.LBB6_8030:                             ;   in Loop: Header=BB6_5679 Depth=3
	s_or_b64 exec, exec, s[48:49]
.LBB6_8031:                             ;   in Loop: Header=BB6_5679 Depth=3
	s_or_b64 exec, exec, s[40:41]
.LBB6_8032:                             ;   in Loop: Header=BB6_5679 Depth=3
	s_or_b64 exec, exec, s[38:39]
	v_cmp_ne_u16_e32 vcc, 0, v3
	s_and_saveexec_b64 s[40:41], vcc
	s_cbranch_execz .LBB6_8038
; %bb.8033:                             ;   in Loop: Header=BB6_5679 Depth=3
	v_cmp_ne_u16_e32 vcc, s82, v3
	v_bfrev_b32_e32 v1, 1
	s_and_saveexec_b64 s[38:39], vcc
	s_cbranch_execz .LBB6_8037
; %bb.8034:                             ;   in Loop: Header=BB6_5679 Depth=3
	v_and_b32_e32 v6, 0x7f, v3
	v_cmp_ne_u32_e32 vcc, s83, v6
	v_mov_b32_e32 v1, 0x7f800001
	s_and_saveexec_b64 s[48:49], vcc
	s_cbranch_execz .LBB6_8036
; %bb.8035:                             ;   in Loop: Header=BB6_5679 Depth=3
	v_and_b32_e32 v1, 7, v3
	v_lshrrev_b32_e32 v16, 3, v6
	v_cmp_gt_u32_e32 vcc, 8, v6
	v_ffbh_u32_e32 v6, v1
	v_min_u32_e32 v31, 32, v6
	v_subrev_u32_e32 v6, 28, v31
	v_lshlrev_b64 v[6:7], v6, v[3:4]
	v_sub_u32_e32 v3, 29, v31
	v_and_b32_e32 v6, 7, v6
	v_cndmask_b32_e32 v3, v16, v3, vcc
	v_cndmask_b32_e32 v1, v1, v6, vcc
	v_lshlrev_b32_e32 v2, 16, v2
	v_bfrev_b32_e32 v6, 60
	v_lshlrev_b32_e32 v1, 20, v1
	v_and_b32_e32 v2, 0x80000000, v2
	v_lshl_add_u32 v3, v3, 23, v6
	v_or3_b32 v1, v2, v3, v1
.LBB6_8036:                             ;   in Loop: Header=BB6_5679 Depth=3
	s_or_b64 exec, exec, s[48:49]
.LBB6_8037:                             ;   in Loop: Header=BB6_5679 Depth=3
	s_or_b64 exec, exec, s[38:39]
.LBB6_8038:                             ;   in Loop: Header=BB6_5679 Depth=3
	s_or_b64 exec, exec, s[40:41]
	v_max_f32_e32 v1, v1, v1
	v_max_f32_e32 v0, v0, v0
	v_min_f32_e32 v0, v0, v1
.LBB6_8039:                             ;   in Loop: Header=BB6_5679 Depth=3
	v_and_b32_e32 v52, 0x7f800000, v0
	v_cmp_ne_u64_e32 vcc, s[76:77], v[52:53]
                                        ; implicit-def: $vgpr16
	s_and_saveexec_b64 s[40:41], vcc
	s_xor_b64 s[38:39], exec, s[40:41]
	s_cbranch_execz .LBB6_8053
; %bb.8040:                             ;   in Loop: Header=BB6_5679 Depth=3
	v_and_b32_e32 v52, 0x7fffffff, v0
	v_cmp_gt_u64_e32 vcc, s[78:79], v[52:53]
	v_and_b32_sdwa v3, v0, s82 dst_sel:DWORD dst_unused:UNUSED_PAD src0_sel:BYTE_3 src1_sel:DWORD
                                        ; implicit-def: $vgpr16
	s_and_saveexec_b64 s[40:41], vcc
	s_xor_b64 s[48:49], exec, s[40:41]
	s_cbranch_execz .LBB6_8050
; %bb.8041:                             ;   in Loop: Header=BB6_5679 Depth=3
	v_mov_b32_e32 v16, 0
	v_cmp_ne_u32_e32 vcc, 0, v0
	s_and_saveexec_b64 s[50:51], vcc
	s_cbranch_execz .LBB6_8049
; %bb.8042:                             ;   in Loop: Header=BB6_5679 Depth=3
	v_bfe_u32 v6, v0, 23, 8
	v_and_b32_e32 v1, 0x7fffff, v0
	v_cmp_gt_u32_e64 s[40:41], s85, v6
	v_sub_u32_e32 v0, 0x79, v6
	v_cmp_eq_u32_e32 vcc, 0, v6
	v_cndmask_b32_e64 v0, 0, v0, s[40:41]
	v_mov_b32_e32 v7, 0x78
	v_cndmask_b32_e32 v7, v0, v7, vcc
	v_or_b32_e32 v2, 0x800000, v1
	v_add_u32_e32 v0, 20, v7
	v_cndmask_b32_e32 v52, v2, v1, vcc
	v_lshlrev_b64 v[0:1], v0, -1
	v_add_u32_e32 v2, 19, v7
	v_lshlrev_b64 v[50:51], v2, 1
	v_bfi_b32 v1, v1, 0, 0
	v_bfi_b32 v0, v0, 0, v52
	v_cmp_eq_u64_e64 s[40:41], v[0:1], v[50:51]
	v_lshrrev_b64 v[0:1], v7, v[52:53]
	v_mov_b32_e32 v2, v1
	v_mov_b32_e32 v1, v0
	s_and_saveexec_b64 s[52:53], s[40:41]
; %bb.8043:                             ;   in Loop: Header=BB6_5679 Depth=3
	v_bfe_u32 v1, v0, 20, 1
	v_add_co_u32_e64 v1, s[40:41], v0, v1
	v_add_co_u32_e64 v1, s[40:41], -1, v1
; %bb.8044:                             ;   in Loop: Header=BB6_5679 Depth=3
	s_or_b64 exec, exec, s[52:53]
	v_add_u32_e32 v2, 0xffffff81, v6
	v_mov_b32_e32 v6, 0xffffff82
	v_cndmask_b32_e32 v2, v2, v6, vcc
	v_lshrrev_b32_e32 v6, 23, v0
	v_add3_u32 v7, v7, v2, v6
	v_add_u32_e32 v6, 6, v7
	v_and_b32_e32 v1, 0xfffff, v1
	v_add_u32_e32 v52, v1, v0
	v_cmp_ne_u32_e32 vcc, 0, v6
                                        ; implicit-def: $vgpr0_vgpr1
                                        ; implicit-def: $vgpr2
	s_and_saveexec_b64 s[40:41], vcc
	s_xor_b64 s[40:41], exec, s[40:41]
; %bb.8045:                             ;   in Loop: Header=BB6_5679 Depth=3
	v_cmp_lt_u64_e32 vcc, s[88:89], v[52:53]
	v_add_u32_e32 v0, 7, v7
	v_cndmask_b32_e32 v2, v6, v0, vcc
	v_cndmask_b32_e64 v0, 0, 1, vcc
	v_lshrrev_b64 v[0:1], v0, v[52:53]
; %bb.8046:                             ;   in Loop: Header=BB6_5679 Depth=3
	s_andn2_saveexec_b64 s[40:41], s[40:41]
; %bb.8047:                             ;   in Loop: Header=BB6_5679 Depth=3
	v_mov_b32_e32 v0, v52
	v_mov_b32_e32 v1, v53
	v_bfe_u32 v2, v52, 23, 1
; %bb.8048:                             ;   in Loop: Header=BB6_5679 Depth=3
	s_or_b64 exec, exec, s[40:41]
	v_lshrrev_b64 v[0:1], 20, v[0:1]
	v_cmp_gt_i32_e32 vcc, 16, v2
	v_cndmask_b32_e32 v1, 0, v1, vcc
	v_cndmask_b32_e32 v0, 7, v0, vcc
	v_cmp_eq_u64_e64 s[40:41], 0, v[0:1]
	v_min_i32_e32 v1, 15, v2
	v_lshlrev_b32_e32 v1, 3, v1
	v_cmp_eq_u32_e32 vcc, 0, v2
	v_and_b32_e32 v1, 0xf8, v1
	v_and_or_b32 v0, v0, 7, v1
	s_and_b64 s[40:41], vcc, s[40:41]
	v_cndmask_b32_e64 v0, v0, 0, s[40:41]
	v_or_b32_e32 v16, v0, v3
.LBB6_8049:                             ;   in Loop: Header=BB6_5679 Depth=3
	s_or_b64 exec, exec, s[50:51]
                                        ; implicit-def: $vgpr3
.LBB6_8050:                             ;   in Loop: Header=BB6_5679 Depth=3
	s_andn2_saveexec_b64 s[40:41], s[48:49]
; %bb.8051:                             ;   in Loop: Header=BB6_5679 Depth=3
	v_or_b32_e32 v16, 0x7e, v3
; %bb.8052:                             ;   in Loop: Header=BB6_5679 Depth=3
	s_or_b64 exec, exec, s[40:41]
                                        ; implicit-def: $vgpr0
.LBB6_8053:                             ;   in Loop: Header=BB6_5679 Depth=3
	s_andn2_saveexec_b64 s[40:41], s[38:39]
; %bb.8054:                             ;   in Loop: Header=BB6_5679 Depth=3
	v_or_b32_sdwa v16, v0, s83 dst_sel:DWORD dst_unused:UNUSED_PAD src0_sel:BYTE_3 src1_sel:DWORD
; %bb.8055:                             ;   in Loop: Header=BB6_5679 Depth=3
	s_or_b64 exec, exec, s[40:41]
	v_lshrrev_b32_e32 v2, 16, v13
	v_lshrrev_b32_e32 v0, 16, v9
	v_cmp_ne_u16_sdwa s[40:41], v2, v53 src0_sel:BYTE_0 src1_sel:DWORD
	s_and_b64 vcc, exec, s[28:29]
	s_mov_b64 s[38:39], -1
                                        ; implicit-def: $vgpr1
	s_cbranch_vccnz .LBB6_8069
; %bb.8056:                             ;   in Loop: Header=BB6_5679 Depth=3
	v_mov_b32_e32 v3, 0
	v_mov_b32_e32 v1, 0
	s_and_saveexec_b64 s[38:39], s[40:41]
	s_cbranch_execz .LBB6_8062
; %bb.8057:                             ;   in Loop: Header=BB6_5679 Depth=3
	v_cmp_ne_u16_sdwa vcc, v2, s82 src0_sel:BYTE_0 src1_sel:DWORD
	v_bfrev_b32_e32 v1, 1
	s_and_saveexec_b64 s[48:49], vcc
	s_cbranch_execz .LBB6_8061
; %bb.8058:                             ;   in Loop: Header=BB6_5679 Depth=3
	v_bfe_u32 v6, v13, 16, 7
	v_cmp_ne_u32_e32 vcc, s83, v6
	v_mov_b32_e32 v1, 0x7f800001
	s_and_saveexec_b64 s[50:51], vcc
	s_cbranch_execz .LBB6_8060
; %bb.8059:                             ;   in Loop: Header=BB6_5679 Depth=3
	v_and_b32_e32 v1, 7, v2
	v_lshrrev_b32_e32 v31, 3, v6
	v_cmp_gt_u32_e32 vcc, 8, v6
	v_ffbh_u32_e32 v6, v1
	v_min_u32_e32 v32, 32, v6
	v_subrev_u32_e32 v6, 28, v32
	v_lshlrev_b64 v[6:7], v6, v[2:3]
	v_sub_u32_e32 v7, 29, v32
	v_and_b32_e32 v6, 7, v6
	v_cndmask_b32_e32 v7, v31, v7, vcc
	v_cndmask_b32_e32 v1, v1, v6, vcc
	v_lshlrev_b32_e32 v6, 24, v2
	v_bfrev_b32_e32 v31, 60
	v_lshlrev_b32_e32 v1, 20, v1
	v_and_b32_e32 v6, 0x80000000, v6
	v_lshl_add_u32 v7, v7, 23, v31
	v_or3_b32 v1, v6, v7, v1
.LBB6_8060:                             ;   in Loop: Header=BB6_5679 Depth=3
	s_or_b64 exec, exec, s[50:51]
.LBB6_8061:                             ;   in Loop: Header=BB6_5679 Depth=3
	s_or_b64 exec, exec, s[48:49]
.LBB6_8062:                             ;   in Loop: Header=BB6_5679 Depth=3
	s_or_b64 exec, exec, s[38:39]
	v_cmp_ne_u16_sdwa vcc, v0, v53 src0_sel:BYTE_0 src1_sel:DWORD
	s_and_saveexec_b64 s[38:39], vcc
	s_cbranch_execz .LBB6_8068
; %bb.8063:                             ;   in Loop: Header=BB6_5679 Depth=3
	v_cmp_ne_u16_sdwa vcc, v0, s82 src0_sel:BYTE_0 src1_sel:DWORD
	v_bfrev_b32_e32 v3, 1
	s_and_saveexec_b64 s[48:49], vcc
	s_cbranch_execz .LBB6_8067
; %bb.8064:                             ;   in Loop: Header=BB6_5679 Depth=3
	v_bfe_u32 v6, v9, 16, 7
	v_cmp_ne_u32_e32 vcc, s83, v6
	v_mov_b32_e32 v3, 0x7f800001
	s_and_saveexec_b64 s[50:51], vcc
	s_cbranch_execz .LBB6_8066
; %bb.8065:                             ;   in Loop: Header=BB6_5679 Depth=3
	v_and_b32_e32 v3, 7, v0
	v_lshrrev_b32_e32 v31, 3, v6
	v_cmp_gt_u32_e32 vcc, 8, v6
	v_ffbh_u32_e32 v6, v3
	v_min_u32_e32 v32, 32, v6
	v_subrev_u32_e32 v6, 28, v32
	v_lshlrev_b64 v[6:7], v6, v[0:1]
	v_sub_u32_e32 v7, 29, v32
	v_and_b32_e32 v6, 7, v6
	v_cndmask_b32_e32 v7, v31, v7, vcc
	v_cndmask_b32_e32 v3, v3, v6, vcc
	v_lshlrev_b32_e32 v6, 24, v0
	v_bfrev_b32_e32 v31, 60
	v_lshlrev_b32_e32 v3, 20, v3
	v_and_b32_e32 v6, 0x80000000, v6
	v_lshl_add_u32 v7, v7, 23, v31
	v_or3_b32 v3, v6, v7, v3
.LBB6_8066:                             ;   in Loop: Header=BB6_5679 Depth=3
	s_or_b64 exec, exec, s[50:51]
.LBB6_8067:                             ;   in Loop: Header=BB6_5679 Depth=3
	s_or_b64 exec, exec, s[48:49]
.LBB6_8068:                             ;   in Loop: Header=BB6_5679 Depth=3
	s_or_b64 exec, exec, s[38:39]
	v_max_f32_e32 v3, v3, v3
	v_max_f32_e32 v1, v1, v1
	;; [unrolled: 1-line block ×3, first 2 shown]
	s_mov_b64 s[38:39], 0
.LBB6_8069:                             ;   in Loop: Header=BB6_5679 Depth=3
	s_and_b64 vcc, exec, s[38:39]
	s_cbranch_vccz .LBB6_8083
; %bb.8070:                             ;   in Loop: Header=BB6_5679 Depth=3
	v_mov_b32_e32 v3, 0
	v_mov_b32_e32 v1, 0
	s_and_saveexec_b64 s[38:39], s[40:41]
	s_cbranch_execz .LBB6_8076
; %bb.8071:                             ;   in Loop: Header=BB6_5679 Depth=3
	v_cmp_ne_u16_sdwa vcc, v2, s82 src0_sel:BYTE_0 src1_sel:DWORD
	v_bfrev_b32_e32 v1, 1
	s_and_saveexec_b64 s[40:41], vcc
	s_cbranch_execz .LBB6_8075
; %bb.8072:                             ;   in Loop: Header=BB6_5679 Depth=3
	v_bfe_u32 v6, v13, 16, 7
	v_cmp_ne_u32_e32 vcc, s83, v6
	v_mov_b32_e32 v1, 0x7f800001
	s_and_saveexec_b64 s[48:49], vcc
	s_cbranch_execz .LBB6_8074
; %bb.8073:                             ;   in Loop: Header=BB6_5679 Depth=3
	v_and_b32_e32 v1, 7, v2
	v_lshrrev_b32_e32 v31, 3, v6
	v_cmp_gt_u32_e32 vcc, 8, v6
	v_ffbh_u32_e32 v6, v1
	v_min_u32_e32 v32, 32, v6
	v_subrev_u32_e32 v6, 28, v32
	v_lshlrev_b64 v[6:7], v6, v[2:3]
	v_sub_u32_e32 v7, 29, v32
	v_and_b32_e32 v6, 7, v6
	v_cndmask_b32_e32 v7, v31, v7, vcc
	v_cndmask_b32_e32 v1, v1, v6, vcc
	v_lshlrev_b32_e32 v2, 24, v2
	v_bfrev_b32_e32 v6, 60
	v_lshlrev_b32_e32 v1, 20, v1
	v_and_b32_e32 v2, 0x80000000, v2
	v_lshl_add_u32 v6, v7, 23, v6
	v_or3_b32 v1, v2, v6, v1
.LBB6_8074:                             ;   in Loop: Header=BB6_5679 Depth=3
	s_or_b64 exec, exec, s[48:49]
.LBB6_8075:                             ;   in Loop: Header=BB6_5679 Depth=3
	s_or_b64 exec, exec, s[40:41]
.LBB6_8076:                             ;   in Loop: Header=BB6_5679 Depth=3
	s_or_b64 exec, exec, s[38:39]
	v_cmp_ne_u16_sdwa vcc, v0, v53 src0_sel:BYTE_0 src1_sel:DWORD
	s_and_saveexec_b64 s[40:41], vcc
	s_cbranch_execz .LBB6_8082
; %bb.8077:                             ;   in Loop: Header=BB6_5679 Depth=3
	v_cmp_ne_u16_sdwa vcc, v0, s82 src0_sel:BYTE_0 src1_sel:DWORD
	v_bfrev_b32_e32 v3, 1
	s_and_saveexec_b64 s[38:39], vcc
	s_cbranch_execz .LBB6_8081
; %bb.8078:                             ;   in Loop: Header=BB6_5679 Depth=3
	v_bfe_u32 v2, v9, 16, 7
	v_cmp_ne_u32_e32 vcc, s83, v2
	v_mov_b32_e32 v3, 0x7f800001
	s_and_saveexec_b64 s[48:49], vcc
	s_cbranch_execz .LBB6_8080
; %bb.8079:                             ;   in Loop: Header=BB6_5679 Depth=3
	v_and_b32_e32 v6, 7, v0
	v_lshrrev_b32_e32 v7, 3, v2
	v_cmp_gt_u32_e32 vcc, 8, v2
	v_ffbh_u32_e32 v2, v6
	v_min_u32_e32 v31, 32, v2
	v_subrev_u32_e32 v2, 28, v31
	v_lshlrev_b64 v[2:3], v2, v[0:1]
	v_sub_u32_e32 v3, 29, v31
	v_and_b32_e32 v2, 7, v2
	v_cndmask_b32_e32 v3, v7, v3, vcc
	v_cndmask_b32_e32 v2, v6, v2, vcc
	v_lshlrev_b32_e32 v0, 24, v0
	v_bfrev_b32_e32 v6, 60
	v_lshlrev_b32_e32 v2, 20, v2
	v_and_b32_e32 v0, 0x80000000, v0
	v_lshl_add_u32 v3, v3, 23, v6
	v_or3_b32 v3, v0, v3, v2
.LBB6_8080:                             ;   in Loop: Header=BB6_5679 Depth=3
	s_or_b64 exec, exec, s[48:49]
.LBB6_8081:                             ;   in Loop: Header=BB6_5679 Depth=3
	s_or_b64 exec, exec, s[38:39]
.LBB6_8082:                             ;   in Loop: Header=BB6_5679 Depth=3
	s_or_b64 exec, exec, s[40:41]
	v_max_f32_e32 v0, v3, v3
	v_max_f32_e32 v1, v1, v1
	v_min_f32_e32 v1, v1, v0
.LBB6_8083:                             ;   in Loop: Header=BB6_5679 Depth=3
	v_and_b32_e32 v52, 0x7f800000, v1
	v_cmp_ne_u64_e32 vcc, s[76:77], v[52:53]
                                        ; implicit-def: $vgpr50
	s_and_saveexec_b64 s[40:41], vcc
	s_xor_b64 s[38:39], exec, s[40:41]
	s_cbranch_execz .LBB6_8097
; %bb.8084:                             ;   in Loop: Header=BB6_5679 Depth=3
	v_and_b32_e32 v52, 0x7fffffff, v1
	v_cmp_gt_u64_e32 vcc, s[78:79], v[52:53]
	v_and_b32_sdwa v3, v1, s82 dst_sel:DWORD dst_unused:UNUSED_PAD src0_sel:BYTE_3 src1_sel:DWORD
                                        ; implicit-def: $vgpr50
	s_and_saveexec_b64 s[40:41], vcc
	s_xor_b64 s[48:49], exec, s[40:41]
	s_cbranch_execz .LBB6_8094
; %bb.8085:                             ;   in Loop: Header=BB6_5679 Depth=3
	v_mov_b32_e32 v50, 0
	v_cmp_ne_u32_e32 vcc, 0, v1
	s_and_saveexec_b64 s[50:51], vcc
	s_cbranch_execz .LBB6_8093
; %bb.8086:                             ;   in Loop: Header=BB6_5679 Depth=3
	v_bfe_u32 v6, v1, 23, 8
	v_and_b32_e32 v0, 0x7fffff, v1
	v_cmp_gt_u32_e64 s[40:41], s85, v6
	v_sub_u32_e32 v1, 0x79, v6
	v_cmp_eq_u32_e32 vcc, 0, v6
	v_cndmask_b32_e64 v1, 0, v1, s[40:41]
	v_mov_b32_e32 v7, 0x78
	v_or_b32_e32 v2, 0x800000, v0
	v_cndmask_b32_e32 v7, v1, v7, vcc
	v_cndmask_b32_e32 v52, v2, v0, vcc
	v_add_u32_e32 v0, 20, v7
	v_lshlrev_b64 v[0:1], v0, -1
	v_add_u32_e32 v2, 19, v7
	v_lshlrev_b64 v[50:51], v2, 1
	v_bfi_b32 v1, v1, 0, 0
	v_bfi_b32 v0, v0, 0, v52
	v_cmp_eq_u64_e64 s[40:41], v[0:1], v[50:51]
	v_lshrrev_b64 v[0:1], v7, v[52:53]
	v_mov_b32_e32 v2, v1
	v_mov_b32_e32 v1, v0
	s_and_saveexec_b64 s[52:53], s[40:41]
; %bb.8087:                             ;   in Loop: Header=BB6_5679 Depth=3
	v_bfe_u32 v1, v0, 20, 1
	v_add_co_u32_e64 v1, s[40:41], v0, v1
	v_add_co_u32_e64 v1, s[40:41], -1, v1
; %bb.8088:                             ;   in Loop: Header=BB6_5679 Depth=3
	s_or_b64 exec, exec, s[52:53]
	v_add_u32_e32 v2, 0xffffff81, v6
	v_mov_b32_e32 v6, 0xffffff82
	v_cndmask_b32_e32 v2, v2, v6, vcc
	v_lshrrev_b32_e32 v6, 23, v0
	v_add3_u32 v7, v7, v2, v6
	v_add_u32_e32 v6, 6, v7
	v_and_b32_e32 v1, 0xfffff, v1
	v_add_u32_e32 v52, v1, v0
	v_cmp_ne_u32_e32 vcc, 0, v6
                                        ; implicit-def: $vgpr0_vgpr1
                                        ; implicit-def: $vgpr2
	s_and_saveexec_b64 s[40:41], vcc
	s_xor_b64 s[40:41], exec, s[40:41]
; %bb.8089:                             ;   in Loop: Header=BB6_5679 Depth=3
	v_cmp_lt_u64_e32 vcc, s[88:89], v[52:53]
	v_add_u32_e32 v0, 7, v7
	v_cndmask_b32_e32 v2, v6, v0, vcc
	v_cndmask_b32_e64 v0, 0, 1, vcc
	v_lshrrev_b64 v[0:1], v0, v[52:53]
; %bb.8090:                             ;   in Loop: Header=BB6_5679 Depth=3
	s_andn2_saveexec_b64 s[40:41], s[40:41]
; %bb.8091:                             ;   in Loop: Header=BB6_5679 Depth=3
	v_mov_b32_e32 v0, v52
	v_mov_b32_e32 v1, v53
	v_bfe_u32 v2, v52, 23, 1
; %bb.8092:                             ;   in Loop: Header=BB6_5679 Depth=3
	s_or_b64 exec, exec, s[40:41]
	v_lshrrev_b64 v[0:1], 20, v[0:1]
	v_cmp_gt_i32_e32 vcc, 16, v2
	v_cndmask_b32_e32 v1, 0, v1, vcc
	v_cndmask_b32_e32 v0, 7, v0, vcc
	v_cmp_eq_u64_e64 s[40:41], 0, v[0:1]
	v_min_i32_e32 v1, 15, v2
	v_lshlrev_b32_e32 v1, 3, v1
	v_cmp_eq_u32_e32 vcc, 0, v2
	v_and_b32_e32 v1, 0xf8, v1
	v_and_or_b32 v0, v0, 7, v1
	s_and_b64 s[40:41], vcc, s[40:41]
	v_cndmask_b32_e64 v0, v0, 0, s[40:41]
	v_or_b32_e32 v50, v0, v3
.LBB6_8093:                             ;   in Loop: Header=BB6_5679 Depth=3
	s_or_b64 exec, exec, s[50:51]
                                        ; implicit-def: $vgpr3
.LBB6_8094:                             ;   in Loop: Header=BB6_5679 Depth=3
	s_andn2_saveexec_b64 s[40:41], s[48:49]
; %bb.8095:                             ;   in Loop: Header=BB6_5679 Depth=3
	v_or_b32_e32 v50, 0x7e, v3
; %bb.8096:                             ;   in Loop: Header=BB6_5679 Depth=3
	s_or_b64 exec, exec, s[40:41]
                                        ; implicit-def: $vgpr1
.LBB6_8097:                             ;   in Loop: Header=BB6_5679 Depth=3
	s_andn2_saveexec_b64 s[40:41], s[38:39]
; %bb.8098:                             ;   in Loop: Header=BB6_5679 Depth=3
	v_or_b32_sdwa v50, v1, s83 dst_sel:DWORD dst_unused:UNUSED_PAD src0_sel:BYTE_3 src1_sel:DWORD
; %bb.8099:                             ;   in Loop: Header=BB6_5679 Depth=3
	s_or_b64 exec, exec, s[40:41]
	v_cmp_lt_u64_e64 s[40:41], s[62:63], v[12:13]
	v_lshrrev_b32_e32 v2, 24, v13
	v_lshrrev_b32_e32 v0, 24, v9
	s_and_b64 vcc, exec, s[28:29]
	s_mov_b64 s[38:39], -1
                                        ; implicit-def: $vgpr1
	s_cbranch_vccnz .LBB6_8113
; %bb.8100:                             ;   in Loop: Header=BB6_5679 Depth=3
	v_mov_b32_e32 v3, 0
	v_mov_b32_e32 v1, 0
	s_and_saveexec_b64 s[38:39], s[40:41]
	s_cbranch_execz .LBB6_8106
; %bb.8101:                             ;   in Loop: Header=BB6_5679 Depth=3
	v_cmp_ne_u32_e32 vcc, s82, v2
	v_bfrev_b32_e32 v1, 1
	s_and_saveexec_b64 s[48:49], vcc
	s_cbranch_execz .LBB6_8105
; %bb.8102:                             ;   in Loop: Header=BB6_5679 Depth=3
	v_bfe_u32 v6, v13, 24, 7
	v_cmp_ne_u32_e32 vcc, s83, v6
	v_mov_b32_e32 v1, 0x7f800001
	s_and_saveexec_b64 s[50:51], vcc
	s_cbranch_execz .LBB6_8104
; %bb.8103:                             ;   in Loop: Header=BB6_5679 Depth=3
	v_and_b32_e32 v1, 7, v2
	v_lshrrev_b32_e32 v12, 3, v6
	v_cmp_gt_u32_e32 vcc, 8, v6
	v_ffbh_u32_e32 v6, v1
	v_min_u32_e32 v31, 32, v6
	v_subrev_u32_e32 v6, 28, v31
	v_lshlrev_b64 v[6:7], v6, v[2:3]
	v_sub_u32_e32 v7, 29, v31
	v_and_b32_e32 v6, 7, v6
	v_cndmask_b32_e32 v7, v12, v7, vcc
	v_cndmask_b32_e32 v1, v1, v6, vcc
	v_lshlrev_b32_e32 v6, 24, v2
	v_bfrev_b32_e32 v12, 60
	v_lshlrev_b32_e32 v1, 20, v1
	v_and_b32_e32 v6, 0x80000000, v6
	v_lshl_add_u32 v7, v7, 23, v12
	v_or3_b32 v1, v6, v7, v1
.LBB6_8104:                             ;   in Loop: Header=BB6_5679 Depth=3
	s_or_b64 exec, exec, s[50:51]
.LBB6_8105:                             ;   in Loop: Header=BB6_5679 Depth=3
	s_or_b64 exec, exec, s[48:49]
.LBB6_8106:                             ;   in Loop: Header=BB6_5679 Depth=3
	s_or_b64 exec, exec, s[38:39]
	v_cmp_lt_u64_e32 vcc, s[62:63], v[8:9]
	s_and_saveexec_b64 s[38:39], vcc
	s_cbranch_execz .LBB6_8112
; %bb.8107:                             ;   in Loop: Header=BB6_5679 Depth=3
	v_cmp_ne_u32_e32 vcc, s82, v0
	v_bfrev_b32_e32 v3, 1
	s_and_saveexec_b64 s[48:49], vcc
	s_cbranch_execz .LBB6_8111
; %bb.8108:                             ;   in Loop: Header=BB6_5679 Depth=3
	v_bfe_u32 v6, v9, 24, 7
	v_cmp_ne_u32_e32 vcc, s83, v6
	v_mov_b32_e32 v3, 0x7f800001
	s_and_saveexec_b64 s[50:51], vcc
	s_cbranch_execz .LBB6_8110
; %bb.8109:                             ;   in Loop: Header=BB6_5679 Depth=3
	v_and_b32_e32 v3, 7, v0
	v_lshrrev_b32_e32 v12, 3, v6
	v_cmp_gt_u32_e32 vcc, 8, v6
	v_ffbh_u32_e32 v6, v3
	v_min_u32_e32 v31, 32, v6
	v_subrev_u32_e32 v6, 28, v31
	v_lshlrev_b64 v[6:7], v6, v[0:1]
	v_sub_u32_e32 v7, 29, v31
	v_and_b32_e32 v6, 7, v6
	v_cndmask_b32_e32 v7, v12, v7, vcc
	v_cndmask_b32_e32 v3, v3, v6, vcc
	v_lshlrev_b32_e32 v6, 24, v0
	v_bfrev_b32_e32 v12, 60
	v_lshlrev_b32_e32 v3, 20, v3
	v_and_b32_e32 v6, 0x80000000, v6
	v_lshl_add_u32 v7, v7, 23, v12
	v_or3_b32 v3, v6, v7, v3
.LBB6_8110:                             ;   in Loop: Header=BB6_5679 Depth=3
	s_or_b64 exec, exec, s[50:51]
.LBB6_8111:                             ;   in Loop: Header=BB6_5679 Depth=3
	s_or_b64 exec, exec, s[48:49]
.LBB6_8112:                             ;   in Loop: Header=BB6_5679 Depth=3
	s_or_b64 exec, exec, s[38:39]
	v_max_f32_e32 v3, v3, v3
	v_max_f32_e32 v1, v1, v1
	;; [unrolled: 1-line block ×3, first 2 shown]
	s_mov_b64 s[38:39], 0
.LBB6_8113:                             ;   in Loop: Header=BB6_5679 Depth=3
	s_and_b64 vcc, exec, s[38:39]
	s_cbranch_vccz .LBB6_8127
; %bb.8114:                             ;   in Loop: Header=BB6_5679 Depth=3
	v_mov_b32_e32 v3, 0
	v_mov_b32_e32 v1, 0
	s_and_saveexec_b64 s[38:39], s[40:41]
	s_cbranch_execz .LBB6_8120
; %bb.8115:                             ;   in Loop: Header=BB6_5679 Depth=3
	v_cmp_ne_u32_e32 vcc, s82, v2
	v_bfrev_b32_e32 v1, 1
	s_and_saveexec_b64 s[40:41], vcc
	s_cbranch_execz .LBB6_8119
; %bb.8116:                             ;   in Loop: Header=BB6_5679 Depth=3
	v_bfe_u32 v6, v13, 24, 7
	v_cmp_ne_u32_e32 vcc, s83, v6
	v_mov_b32_e32 v1, 0x7f800001
	s_and_saveexec_b64 s[48:49], vcc
	s_cbranch_execz .LBB6_8118
; %bb.8117:                             ;   in Loop: Header=BB6_5679 Depth=3
	v_and_b32_e32 v1, 7, v2
	v_lshrrev_b32_e32 v12, 3, v6
	v_cmp_gt_u32_e32 vcc, 8, v6
	v_ffbh_u32_e32 v6, v1
	v_min_u32_e32 v13, 32, v6
	v_subrev_u32_e32 v6, 28, v13
	v_lshlrev_b64 v[6:7], v6, v[2:3]
	v_sub_u32_e32 v7, 29, v13
	v_and_b32_e32 v6, 7, v6
	v_cndmask_b32_e32 v7, v12, v7, vcc
	v_cndmask_b32_e32 v1, v1, v6, vcc
	v_lshlrev_b32_e32 v2, 24, v2
	v_bfrev_b32_e32 v6, 60
	v_lshlrev_b32_e32 v1, 20, v1
	v_and_b32_e32 v2, 0x80000000, v2
	v_lshl_add_u32 v6, v7, 23, v6
	v_or3_b32 v1, v2, v6, v1
.LBB6_8118:                             ;   in Loop: Header=BB6_5679 Depth=3
	s_or_b64 exec, exec, s[48:49]
.LBB6_8119:                             ;   in Loop: Header=BB6_5679 Depth=3
	s_or_b64 exec, exec, s[40:41]
.LBB6_8120:                             ;   in Loop: Header=BB6_5679 Depth=3
	s_or_b64 exec, exec, s[38:39]
	v_cmp_lt_u64_e32 vcc, s[62:63], v[8:9]
	s_and_saveexec_b64 s[40:41], vcc
	s_cbranch_execz .LBB6_8126
; %bb.8121:                             ;   in Loop: Header=BB6_5679 Depth=3
	v_cmp_ne_u32_e32 vcc, s82, v0
	v_bfrev_b32_e32 v3, 1
	s_and_saveexec_b64 s[38:39], vcc
	s_cbranch_execz .LBB6_8125
; %bb.8122:                             ;   in Loop: Header=BB6_5679 Depth=3
	v_bfe_u32 v2, v9, 24, 7
	v_cmp_ne_u32_e32 vcc, s83, v2
	v_mov_b32_e32 v3, 0x7f800001
	s_and_saveexec_b64 s[48:49], vcc
	s_cbranch_execz .LBB6_8124
; %bb.8123:                             ;   in Loop: Header=BB6_5679 Depth=3
	v_and_b32_e32 v6, 7, v0
	v_lshrrev_b32_e32 v7, 3, v2
	v_cmp_gt_u32_e32 vcc, 8, v2
	v_ffbh_u32_e32 v2, v6
	v_min_u32_e32 v8, 32, v2
	v_subrev_u32_e32 v2, 28, v8
	v_lshlrev_b64 v[2:3], v2, v[0:1]
	v_sub_u32_e32 v3, 29, v8
	v_and_b32_e32 v2, 7, v2
	v_cndmask_b32_e32 v3, v7, v3, vcc
	v_cndmask_b32_e32 v2, v6, v2, vcc
	v_lshlrev_b32_e32 v0, 24, v0
	v_bfrev_b32_e32 v6, 60
	v_lshlrev_b32_e32 v2, 20, v2
	v_and_b32_e32 v0, 0x80000000, v0
	v_lshl_add_u32 v3, v3, 23, v6
	v_or3_b32 v3, v0, v3, v2
.LBB6_8124:                             ;   in Loop: Header=BB6_5679 Depth=3
	s_or_b64 exec, exec, s[48:49]
.LBB6_8125:                             ;   in Loop: Header=BB6_5679 Depth=3
	s_or_b64 exec, exec, s[38:39]
.LBB6_8126:                             ;   in Loop: Header=BB6_5679 Depth=3
	s_or_b64 exec, exec, s[40:41]
	v_max_f32_e32 v0, v3, v3
	v_max_f32_e32 v1, v1, v1
	v_min_f32_e32 v1, v1, v0
.LBB6_8127:                             ;   in Loop: Header=BB6_5679 Depth=3
	v_and_b32_e32 v52, 0x7f800000, v1
	v_cmp_ne_u64_e32 vcc, s[76:77], v[52:53]
                                        ; implicit-def: $vgpr9
	s_and_saveexec_b64 s[40:41], vcc
	s_xor_b64 s[38:39], exec, s[40:41]
	s_cbranch_execz .LBB6_8141
; %bb.8128:                             ;   in Loop: Header=BB6_5679 Depth=3
	v_and_b32_e32 v52, 0x7fffffff, v1
	v_cmp_gt_u64_e32 vcc, s[78:79], v[52:53]
	v_and_b32_sdwa v3, v1, s82 dst_sel:DWORD dst_unused:UNUSED_PAD src0_sel:BYTE_3 src1_sel:DWORD
                                        ; implicit-def: $vgpr9
	s_and_saveexec_b64 s[40:41], vcc
	s_xor_b64 s[48:49], exec, s[40:41]
	s_cbranch_execz .LBB6_8138
; %bb.8129:                             ;   in Loop: Header=BB6_5679 Depth=3
	v_mov_b32_e32 v9, 0
	v_cmp_ne_u32_e32 vcc, 0, v1
	s_and_saveexec_b64 s[50:51], vcc
	s_cbranch_execz .LBB6_8137
; %bb.8130:                             ;   in Loop: Header=BB6_5679 Depth=3
	v_bfe_u32 v6, v1, 23, 8
	v_and_b32_e32 v0, 0x7fffff, v1
	v_cmp_gt_u32_e64 s[40:41], s85, v6
	v_sub_u32_e32 v1, 0x79, v6
	v_cmp_eq_u32_e32 vcc, 0, v6
	v_cndmask_b32_e64 v1, 0, v1, s[40:41]
	v_mov_b32_e32 v7, 0x78
	v_or_b32_e32 v2, 0x800000, v0
	v_cndmask_b32_e32 v7, v1, v7, vcc
	v_cndmask_b32_e32 v52, v2, v0, vcc
	v_add_u32_e32 v0, 20, v7
	v_lshlrev_b64 v[0:1], v0, -1
	v_add_u32_e32 v2, 19, v7
	v_lshlrev_b64 v[8:9], v2, 1
	v_bfi_b32 v1, v1, 0, 0
	v_bfi_b32 v0, v0, 0, v52
	v_cmp_eq_u64_e64 s[40:41], v[0:1], v[8:9]
	v_lshrrev_b64 v[0:1], v7, v[52:53]
	v_mov_b32_e32 v2, v1
	v_mov_b32_e32 v1, v0
	s_and_saveexec_b64 s[52:53], s[40:41]
; %bb.8131:                             ;   in Loop: Header=BB6_5679 Depth=3
	v_bfe_u32 v1, v0, 20, 1
	v_add_co_u32_e64 v1, s[40:41], v0, v1
	v_add_co_u32_e64 v1, s[40:41], -1, v1
; %bb.8132:                             ;   in Loop: Header=BB6_5679 Depth=3
	s_or_b64 exec, exec, s[52:53]
	v_add_u32_e32 v2, 0xffffff81, v6
	v_mov_b32_e32 v6, 0xffffff82
	v_cndmask_b32_e32 v2, v2, v6, vcc
	v_lshrrev_b32_e32 v6, 23, v0
	v_add3_u32 v7, v7, v2, v6
	v_add_u32_e32 v6, 6, v7
	v_and_b32_e32 v1, 0xfffff, v1
	v_add_u32_e32 v52, v1, v0
	v_cmp_ne_u32_e32 vcc, 0, v6
                                        ; implicit-def: $vgpr0_vgpr1
                                        ; implicit-def: $vgpr2
	s_and_saveexec_b64 s[40:41], vcc
	s_xor_b64 s[40:41], exec, s[40:41]
; %bb.8133:                             ;   in Loop: Header=BB6_5679 Depth=3
	v_cmp_lt_u64_e32 vcc, s[88:89], v[52:53]
	v_add_u32_e32 v0, 7, v7
	v_cndmask_b32_e32 v2, v6, v0, vcc
	v_cndmask_b32_e64 v0, 0, 1, vcc
	v_lshrrev_b64 v[0:1], v0, v[52:53]
; %bb.8134:                             ;   in Loop: Header=BB6_5679 Depth=3
	s_andn2_saveexec_b64 s[40:41], s[40:41]
; %bb.8135:                             ;   in Loop: Header=BB6_5679 Depth=3
	v_mov_b32_e32 v0, v52
	v_mov_b32_e32 v1, v53
	v_bfe_u32 v2, v52, 23, 1
; %bb.8136:                             ;   in Loop: Header=BB6_5679 Depth=3
	s_or_b64 exec, exec, s[40:41]
	v_lshrrev_b64 v[0:1], 20, v[0:1]
	v_cmp_gt_i32_e32 vcc, 16, v2
	v_cndmask_b32_e32 v1, 0, v1, vcc
	v_cndmask_b32_e32 v0, 7, v0, vcc
	v_cmp_eq_u64_e64 s[40:41], 0, v[0:1]
	v_min_i32_e32 v1, 15, v2
	v_lshlrev_b32_e32 v1, 3, v1
	v_cmp_eq_u32_e32 vcc, 0, v2
	v_and_b32_e32 v1, 0xf8, v1
	v_and_or_b32 v0, v0, 7, v1
	s_and_b64 s[40:41], vcc, s[40:41]
	v_cndmask_b32_e64 v0, v0, 0, s[40:41]
	v_or_b32_e32 v9, v0, v3
.LBB6_8137:                             ;   in Loop: Header=BB6_5679 Depth=3
	s_or_b64 exec, exec, s[50:51]
                                        ; implicit-def: $vgpr3
.LBB6_8138:                             ;   in Loop: Header=BB6_5679 Depth=3
	s_andn2_saveexec_b64 s[40:41], s[48:49]
; %bb.8139:                             ;   in Loop: Header=BB6_5679 Depth=3
	v_or_b32_e32 v9, 0x7e, v3
; %bb.8140:                             ;   in Loop: Header=BB6_5679 Depth=3
	s_or_b64 exec, exec, s[40:41]
                                        ; implicit-def: $vgpr1
.LBB6_8141:                             ;   in Loop: Header=BB6_5679 Depth=3
	s_andn2_saveexec_b64 s[40:41], s[38:39]
; %bb.8142:                             ;   in Loop: Header=BB6_5679 Depth=3
	v_or_b32_sdwa v9, v1, s83 dst_sel:DWORD dst_unused:UNUSED_PAD src0_sel:BYTE_3 src1_sel:DWORD
; %bb.8143:                             ;   in Loop: Header=BB6_5679 Depth=3
	s_or_b64 exec, exec, s[40:41]
	v_cmp_ne_u16_sdwa s[40:41], v14, v53 src0_sel:BYTE_0 src1_sel:DWORD
	s_and_b64 vcc, exec, s[28:29]
	s_mov_b64 s[38:39], -1
                                        ; implicit-def: $vgpr0
	s_cbranch_vccnz .LBB6_8157
; %bb.8144:                             ;   in Loop: Header=BB6_5679 Depth=3
	v_mov_b32_e32 v1, 0
	v_mov_b32_e32 v0, 0
	s_and_saveexec_b64 s[38:39], s[40:41]
	s_cbranch_execz .LBB6_8150
; %bb.8145:                             ;   in Loop: Header=BB6_5679 Depth=3
	v_cmp_ne_u16_sdwa vcc, v14, s82 src0_sel:BYTE_0 src1_sel:DWORD
	v_bfrev_b32_e32 v0, 1
	s_and_saveexec_b64 s[48:49], vcc
	s_cbranch_execz .LBB6_8149
; %bb.8146:                             ;   in Loop: Header=BB6_5679 Depth=3
	v_and_b32_e32 v2, 0x7f, v14
	v_cmp_ne_u32_e32 vcc, s83, v2
	v_mov_b32_e32 v0, 0x7f800001
	s_and_saveexec_b64 s[50:51], vcc
	s_cbranch_execz .LBB6_8148
; %bb.8147:                             ;   in Loop: Header=BB6_5679 Depth=3
	v_and_b32_e32 v0, 7, v14
	v_ffbh_u32_e32 v0, v0
	v_min_u32_e32 v0, 32, v0
	v_lshrrev_b32_e32 v3, 3, v2
	v_cmp_gt_u32_e32 vcc, 8, v2
	v_subrev_u32_e32 v2, 28, v0
	v_sub_u32_e32 v0, 29, v0
	v_cndmask_b32_e32 v2, 0, v2, vcc
	v_cndmask_b32_e32 v0, v3, v0, vcc
	v_lshlrev_b64 v[2:3], v2, v[14:15]
	v_lshlrev_b32_e32 v3, 24, v14
	v_lshlrev_b32_e32 v2, 20, v2
	v_bfrev_b32_e32 v6, 60
	v_and_b32_e32 v2, 0x700000, v2
	v_and_b32_e32 v3, 0x80000000, v3
	v_lshl_add_u32 v0, v0, 23, v6
	v_or3_b32 v0, v3, v0, v2
.LBB6_8148:                             ;   in Loop: Header=BB6_5679 Depth=3
	s_or_b64 exec, exec, s[50:51]
.LBB6_8149:                             ;   in Loop: Header=BB6_5679 Depth=3
	s_or_b64 exec, exec, s[48:49]
.LBB6_8150:                             ;   in Loop: Header=BB6_5679 Depth=3
	s_or_b64 exec, exec, s[38:39]
	v_cmp_ne_u16_sdwa vcc, v10, v53 src0_sel:BYTE_0 src1_sel:DWORD
	s_and_saveexec_b64 s[38:39], vcc
	s_cbranch_execz .LBB6_8156
; %bb.8151:                             ;   in Loop: Header=BB6_5679 Depth=3
	v_cmp_ne_u16_sdwa vcc, v10, s82 src0_sel:BYTE_0 src1_sel:DWORD
	v_bfrev_b32_e32 v1, 1
	s_and_saveexec_b64 s[48:49], vcc
	s_cbranch_execz .LBB6_8155
; %bb.8152:                             ;   in Loop: Header=BB6_5679 Depth=3
	v_and_b32_e32 v2, 0x7f, v10
	v_cmp_ne_u32_e32 vcc, s83, v2
	v_mov_b32_e32 v1, 0x7f800001
	s_and_saveexec_b64 s[50:51], vcc
	s_cbranch_execz .LBB6_8154
; %bb.8153:                             ;   in Loop: Header=BB6_5679 Depth=3
	v_and_b32_e32 v1, 7, v10
	v_ffbh_u32_e32 v1, v1
	v_min_u32_e32 v1, 32, v1
	v_lshrrev_b32_e32 v3, 3, v2
	v_cmp_gt_u32_e32 vcc, 8, v2
	v_subrev_u32_e32 v2, 28, v1
	v_sub_u32_e32 v1, 29, v1
	v_cndmask_b32_e32 v3, v3, v1, vcc
	v_cndmask_b32_e32 v1, 0, v2, vcc
	v_lshlrev_b64 v[1:2], v1, v[10:11]
	v_lshlrev_b32_e32 v2, 24, v10
	v_lshlrev_b32_e32 v1, 20, v1
	v_bfrev_b32_e32 v6, 60
	v_and_b32_e32 v1, 0x700000, v1
	v_and_b32_e32 v2, 0x80000000, v2
	v_lshl_add_u32 v3, v3, 23, v6
	v_or3_b32 v1, v2, v3, v1
.LBB6_8154:                             ;   in Loop: Header=BB6_5679 Depth=3
	s_or_b64 exec, exec, s[50:51]
.LBB6_8155:                             ;   in Loop: Header=BB6_5679 Depth=3
	s_or_b64 exec, exec, s[48:49]
.LBB6_8156:                             ;   in Loop: Header=BB6_5679 Depth=3
	s_or_b64 exec, exec, s[38:39]
	v_max_f32_e32 v1, v1, v1
	v_max_f32_e32 v0, v0, v0
	;; [unrolled: 1-line block ×3, first 2 shown]
	s_mov_b64 s[38:39], 0
.LBB6_8157:                             ;   in Loop: Header=BB6_5679 Depth=3
	s_and_b64 vcc, exec, s[38:39]
	s_cbranch_vccz .LBB6_8171
; %bb.8158:                             ;   in Loop: Header=BB6_5679 Depth=3
	v_mov_b32_e32 v1, 0
	v_mov_b32_e32 v0, 0
	s_and_saveexec_b64 s[38:39], s[40:41]
	s_cbranch_execz .LBB6_8164
; %bb.8159:                             ;   in Loop: Header=BB6_5679 Depth=3
	v_cmp_ne_u16_sdwa vcc, v14, s82 src0_sel:BYTE_0 src1_sel:DWORD
	v_bfrev_b32_e32 v0, 1
	s_and_saveexec_b64 s[40:41], vcc
	s_cbranch_execz .LBB6_8163
; %bb.8160:                             ;   in Loop: Header=BB6_5679 Depth=3
	v_and_b32_e32 v2, 0x7f, v14
	v_cmp_ne_u32_e32 vcc, s83, v2
	v_mov_b32_e32 v0, 0x7f800001
	s_and_saveexec_b64 s[48:49], vcc
	s_cbranch_execz .LBB6_8162
; %bb.8161:                             ;   in Loop: Header=BB6_5679 Depth=3
	v_and_b32_e32 v0, 7, v14
	v_ffbh_u32_e32 v0, v0
	v_min_u32_e32 v0, 32, v0
	v_lshrrev_b32_e32 v3, 3, v2
	v_cmp_gt_u32_e32 vcc, 8, v2
	v_subrev_u32_e32 v2, 28, v0
	v_sub_u32_e32 v0, 29, v0
	v_cndmask_b32_e32 v2, 0, v2, vcc
	v_cndmask_b32_e32 v0, v3, v0, vcc
	v_lshlrev_b64 v[2:3], v2, v[14:15]
	v_lshlrev_b32_e32 v3, 24, v14
	v_lshlrev_b32_e32 v2, 20, v2
	v_bfrev_b32_e32 v6, 60
	v_and_b32_e32 v2, 0x700000, v2
	v_and_b32_e32 v3, 0x80000000, v3
	v_lshl_add_u32 v0, v0, 23, v6
	v_or3_b32 v0, v3, v0, v2
.LBB6_8162:                             ;   in Loop: Header=BB6_5679 Depth=3
	s_or_b64 exec, exec, s[48:49]
.LBB6_8163:                             ;   in Loop: Header=BB6_5679 Depth=3
	s_or_b64 exec, exec, s[40:41]
.LBB6_8164:                             ;   in Loop: Header=BB6_5679 Depth=3
	s_or_b64 exec, exec, s[38:39]
	v_cmp_ne_u16_sdwa vcc, v10, v53 src0_sel:BYTE_0 src1_sel:DWORD
	s_and_saveexec_b64 s[40:41], vcc
	s_cbranch_execz .LBB6_8170
; %bb.8165:                             ;   in Loop: Header=BB6_5679 Depth=3
	v_cmp_ne_u16_sdwa vcc, v10, s82 src0_sel:BYTE_0 src1_sel:DWORD
	v_bfrev_b32_e32 v1, 1
	s_and_saveexec_b64 s[38:39], vcc
	s_cbranch_execz .LBB6_8169
; %bb.8166:                             ;   in Loop: Header=BB6_5679 Depth=3
	v_and_b32_e32 v2, 0x7f, v10
	v_cmp_ne_u32_e32 vcc, s83, v2
	v_mov_b32_e32 v1, 0x7f800001
	s_and_saveexec_b64 s[48:49], vcc
	s_cbranch_execz .LBB6_8168
; %bb.8167:                             ;   in Loop: Header=BB6_5679 Depth=3
	v_and_b32_e32 v1, 7, v10
	v_ffbh_u32_e32 v1, v1
	v_min_u32_e32 v1, 32, v1
	v_lshrrev_b32_e32 v3, 3, v2
	v_cmp_gt_u32_e32 vcc, 8, v2
	v_subrev_u32_e32 v2, 28, v1
	v_sub_u32_e32 v1, 29, v1
	v_cndmask_b32_e32 v3, v3, v1, vcc
	v_cndmask_b32_e32 v1, 0, v2, vcc
	v_lshlrev_b64 v[1:2], v1, v[10:11]
	v_lshlrev_b32_e32 v2, 24, v10
	v_lshlrev_b32_e32 v1, 20, v1
	v_bfrev_b32_e32 v6, 60
	v_and_b32_e32 v1, 0x700000, v1
	v_and_b32_e32 v2, 0x80000000, v2
	v_lshl_add_u32 v3, v3, 23, v6
	v_or3_b32 v1, v2, v3, v1
.LBB6_8168:                             ;   in Loop: Header=BB6_5679 Depth=3
	s_or_b64 exec, exec, s[48:49]
.LBB6_8169:                             ;   in Loop: Header=BB6_5679 Depth=3
	s_or_b64 exec, exec, s[38:39]
.LBB6_8170:                             ;   in Loop: Header=BB6_5679 Depth=3
	s_or_b64 exec, exec, s[40:41]
	v_max_f32_e32 v1, v1, v1
	v_max_f32_e32 v0, v0, v0
	v_min_f32_e32 v0, v0, v1
.LBB6_8171:                             ;   in Loop: Header=BB6_5679 Depth=3
	v_and_b32_e32 v52, 0x7f800000, v0
	v_cmp_ne_u64_e32 vcc, s[76:77], v[52:53]
                                        ; implicit-def: $vgpr12
	s_and_saveexec_b64 s[40:41], vcc
	s_xor_b64 s[38:39], exec, s[40:41]
	s_cbranch_execz .LBB6_8185
; %bb.8172:                             ;   in Loop: Header=BB6_5679 Depth=3
	v_and_b32_e32 v52, 0x7fffffff, v0
	v_cmp_gt_u64_e32 vcc, s[78:79], v[52:53]
	v_and_b32_sdwa v3, v0, s82 dst_sel:DWORD dst_unused:UNUSED_PAD src0_sel:BYTE_3 src1_sel:DWORD
                                        ; implicit-def: $vgpr12
	s_and_saveexec_b64 s[40:41], vcc
	s_xor_b64 s[48:49], exec, s[40:41]
	s_cbranch_execz .LBB6_8182
; %bb.8173:                             ;   in Loop: Header=BB6_5679 Depth=3
	v_mov_b32_e32 v12, 0
	v_cmp_ne_u32_e32 vcc, 0, v0
	s_and_saveexec_b64 s[50:51], vcc
	s_cbranch_execz .LBB6_8181
; %bb.8174:                             ;   in Loop: Header=BB6_5679 Depth=3
	v_bfe_u32 v6, v0, 23, 8
	v_and_b32_e32 v1, 0x7fffff, v0
	v_cmp_gt_u32_e64 s[40:41], s85, v6
	v_sub_u32_e32 v0, 0x79, v6
	v_cmp_eq_u32_e32 vcc, 0, v6
	v_cndmask_b32_e64 v0, 0, v0, s[40:41]
	v_mov_b32_e32 v7, 0x78
	v_cndmask_b32_e32 v7, v0, v7, vcc
	v_or_b32_e32 v2, 0x800000, v1
	v_add_u32_e32 v0, 20, v7
	v_cndmask_b32_e32 v52, v2, v1, vcc
	v_lshlrev_b64 v[0:1], v0, -1
	v_add_u32_e32 v2, 19, v7
	v_lshlrev_b64 v[12:13], v2, 1
	v_bfi_b32 v1, v1, 0, 0
	v_bfi_b32 v0, v0, 0, v52
	v_cmp_eq_u64_e64 s[40:41], v[0:1], v[12:13]
	v_lshrrev_b64 v[0:1], v7, v[52:53]
	v_mov_b32_e32 v2, v1
	v_mov_b32_e32 v1, v0
	s_and_saveexec_b64 s[52:53], s[40:41]
; %bb.8175:                             ;   in Loop: Header=BB6_5679 Depth=3
	v_bfe_u32 v1, v0, 20, 1
	v_add_co_u32_e64 v1, s[40:41], v0, v1
	v_add_co_u32_e64 v1, s[40:41], -1, v1
; %bb.8176:                             ;   in Loop: Header=BB6_5679 Depth=3
	s_or_b64 exec, exec, s[52:53]
	v_add_u32_e32 v2, 0xffffff81, v6
	v_mov_b32_e32 v6, 0xffffff82
	v_cndmask_b32_e32 v2, v2, v6, vcc
	v_lshrrev_b32_e32 v6, 23, v0
	v_add3_u32 v7, v7, v2, v6
	v_add_u32_e32 v6, 6, v7
	v_and_b32_e32 v1, 0xfffff, v1
	v_add_u32_e32 v52, v1, v0
	v_cmp_ne_u32_e32 vcc, 0, v6
                                        ; implicit-def: $vgpr0_vgpr1
                                        ; implicit-def: $vgpr2
	s_and_saveexec_b64 s[40:41], vcc
	s_xor_b64 s[40:41], exec, s[40:41]
; %bb.8177:                             ;   in Loop: Header=BB6_5679 Depth=3
	v_cmp_lt_u64_e32 vcc, s[88:89], v[52:53]
	v_add_u32_e32 v0, 7, v7
	v_cndmask_b32_e32 v2, v6, v0, vcc
	v_cndmask_b32_e64 v0, 0, 1, vcc
	v_lshrrev_b64 v[0:1], v0, v[52:53]
; %bb.8178:                             ;   in Loop: Header=BB6_5679 Depth=3
	s_andn2_saveexec_b64 s[40:41], s[40:41]
; %bb.8179:                             ;   in Loop: Header=BB6_5679 Depth=3
	v_mov_b32_e32 v0, v52
	v_mov_b32_e32 v1, v53
	v_bfe_u32 v2, v52, 23, 1
; %bb.8180:                             ;   in Loop: Header=BB6_5679 Depth=3
	s_or_b64 exec, exec, s[40:41]
	v_lshrrev_b64 v[0:1], 20, v[0:1]
	v_cmp_gt_i32_e32 vcc, 16, v2
	v_cndmask_b32_e32 v1, 0, v1, vcc
	v_cndmask_b32_e32 v0, 7, v0, vcc
	v_cmp_eq_u64_e64 s[40:41], 0, v[0:1]
	v_min_i32_e32 v1, 15, v2
	v_lshlrev_b32_e32 v1, 3, v1
	v_cmp_eq_u32_e32 vcc, 0, v2
	v_and_b32_e32 v1, 0xf8, v1
	v_and_or_b32 v0, v0, 7, v1
	s_and_b64 s[40:41], vcc, s[40:41]
	v_cndmask_b32_e64 v0, v0, 0, s[40:41]
	v_or_b32_e32 v12, v0, v3
.LBB6_8181:                             ;   in Loop: Header=BB6_5679 Depth=3
	s_or_b64 exec, exec, s[50:51]
                                        ; implicit-def: $vgpr3
.LBB6_8182:                             ;   in Loop: Header=BB6_5679 Depth=3
	s_andn2_saveexec_b64 s[40:41], s[48:49]
; %bb.8183:                             ;   in Loop: Header=BB6_5679 Depth=3
	v_or_b32_e32 v12, 0x7e, v3
; %bb.8184:                             ;   in Loop: Header=BB6_5679 Depth=3
	s_or_b64 exec, exec, s[40:41]
                                        ; implicit-def: $vgpr0
.LBB6_8185:                             ;   in Loop: Header=BB6_5679 Depth=3
	s_andn2_saveexec_b64 s[40:41], s[38:39]
; %bb.8186:                             ;   in Loop: Header=BB6_5679 Depth=3
	v_or_b32_sdwa v12, v0, s83 dst_sel:DWORD dst_unused:UNUSED_PAD src0_sel:BYTE_3 src1_sel:DWORD
; %bb.8187:                             ;   in Loop: Header=BB6_5679 Depth=3
	s_or_b64 exec, exec, s[40:41]
	v_lshrrev_b16_e32 v2, 8, v14
	v_lshrrev_b16_e32 v0, 8, v10
	v_cmp_ne_u16_e64 s[40:41], 0, v2
	s_and_b64 vcc, exec, s[28:29]
	s_mov_b64 s[38:39], -1
                                        ; implicit-def: $vgpr1
	s_cbranch_vccnz .LBB6_8201
; %bb.8188:                             ;   in Loop: Header=BB6_5679 Depth=3
	v_mov_b32_e32 v3, 0
	v_mov_b32_e32 v1, 0
	s_and_saveexec_b64 s[38:39], s[40:41]
	s_cbranch_execz .LBB6_8194
; %bb.8189:                             ;   in Loop: Header=BB6_5679 Depth=3
	v_cmp_ne_u16_e32 vcc, s82, v2
	v_bfrev_b32_e32 v1, 1
	s_and_saveexec_b64 s[48:49], vcc
	s_cbranch_execz .LBB6_8193
; %bb.8190:                             ;   in Loop: Header=BB6_5679 Depth=3
	v_and_b32_e32 v6, 0x7f, v2
	v_cmp_ne_u32_e32 vcc, s83, v6
	v_mov_b32_e32 v1, 0x7f800001
	s_and_saveexec_b64 s[50:51], vcc
	s_cbranch_execz .LBB6_8192
; %bb.8191:                             ;   in Loop: Header=BB6_5679 Depth=3
	v_and_b32_e32 v1, 7, v2
	v_lshrrev_b32_e32 v8, 3, v6
	v_cmp_gt_u32_e32 vcc, 8, v6
	v_ffbh_u32_e32 v6, v1
	v_min_u32_e32 v13, 32, v6
	v_subrev_u32_e32 v6, 28, v13
	v_lshlrev_b64 v[6:7], v6, v[2:3]
	v_sub_u32_e32 v7, 29, v13
	v_and_b32_e32 v6, 7, v6
	v_cndmask_b32_e32 v7, v8, v7, vcc
	v_cndmask_b32_e32 v1, v1, v6, vcc
	v_lshlrev_b32_e32 v6, 16, v14
	v_bfrev_b32_e32 v8, 60
	v_lshlrev_b32_e32 v1, 20, v1
	v_and_b32_e32 v6, 0x80000000, v6
	v_lshl_add_u32 v7, v7, 23, v8
	v_or3_b32 v1, v6, v7, v1
.LBB6_8192:                             ;   in Loop: Header=BB6_5679 Depth=3
	s_or_b64 exec, exec, s[50:51]
.LBB6_8193:                             ;   in Loop: Header=BB6_5679 Depth=3
	s_or_b64 exec, exec, s[48:49]
.LBB6_8194:                             ;   in Loop: Header=BB6_5679 Depth=3
	s_or_b64 exec, exec, s[38:39]
	v_cmp_ne_u16_e32 vcc, 0, v0
	s_and_saveexec_b64 s[38:39], vcc
	s_cbranch_execz .LBB6_8200
; %bb.8195:                             ;   in Loop: Header=BB6_5679 Depth=3
	v_cmp_ne_u16_e32 vcc, s82, v0
	v_bfrev_b32_e32 v3, 1
	s_and_saveexec_b64 s[48:49], vcc
	s_cbranch_execz .LBB6_8199
; %bb.8196:                             ;   in Loop: Header=BB6_5679 Depth=3
	v_and_b32_e32 v6, 0x7f, v0
	v_cmp_ne_u32_e32 vcc, s83, v6
	v_mov_b32_e32 v3, 0x7f800001
	s_and_saveexec_b64 s[50:51], vcc
	s_cbranch_execz .LBB6_8198
; %bb.8197:                             ;   in Loop: Header=BB6_5679 Depth=3
	v_and_b32_e32 v3, 7, v0
	v_lshrrev_b32_e32 v8, 3, v6
	v_cmp_gt_u32_e32 vcc, 8, v6
	v_ffbh_u32_e32 v6, v3
	v_min_u32_e32 v13, 32, v6
	v_subrev_u32_e32 v6, 28, v13
	v_lshlrev_b64 v[6:7], v6, v[0:1]
	v_sub_u32_e32 v7, 29, v13
	v_and_b32_e32 v6, 7, v6
	v_cndmask_b32_e32 v7, v8, v7, vcc
	v_cndmask_b32_e32 v3, v3, v6, vcc
	v_lshlrev_b32_e32 v6, 16, v10
	v_bfrev_b32_e32 v8, 60
	v_lshlrev_b32_e32 v3, 20, v3
	v_and_b32_e32 v6, 0x80000000, v6
	v_lshl_add_u32 v7, v7, 23, v8
	v_or3_b32 v3, v6, v7, v3
.LBB6_8198:                             ;   in Loop: Header=BB6_5679 Depth=3
	s_or_b64 exec, exec, s[50:51]
.LBB6_8199:                             ;   in Loop: Header=BB6_5679 Depth=3
	s_or_b64 exec, exec, s[48:49]
.LBB6_8200:                             ;   in Loop: Header=BB6_5679 Depth=3
	s_or_b64 exec, exec, s[38:39]
	v_max_f32_e32 v3, v3, v3
	v_max_f32_e32 v1, v1, v1
	;; [unrolled: 1-line block ×3, first 2 shown]
	s_mov_b64 s[38:39], 0
.LBB6_8201:                             ;   in Loop: Header=BB6_5679 Depth=3
	s_and_b64 vcc, exec, s[38:39]
	s_cbranch_vccz .LBB6_8215
; %bb.8202:                             ;   in Loop: Header=BB6_5679 Depth=3
	v_mov_b32_e32 v3, 0
	v_mov_b32_e32 v1, 0
	s_and_saveexec_b64 s[38:39], s[40:41]
	s_cbranch_execz .LBB6_8208
; %bb.8203:                             ;   in Loop: Header=BB6_5679 Depth=3
	v_cmp_ne_u16_e32 vcc, s82, v2
	v_bfrev_b32_e32 v1, 1
	s_and_saveexec_b64 s[40:41], vcc
	s_cbranch_execz .LBB6_8207
; %bb.8204:                             ;   in Loop: Header=BB6_5679 Depth=3
	v_and_b32_e32 v6, 0x7f, v2
	v_cmp_ne_u32_e32 vcc, s83, v6
	v_mov_b32_e32 v1, 0x7f800001
	s_and_saveexec_b64 s[48:49], vcc
	s_cbranch_execz .LBB6_8206
; %bb.8205:                             ;   in Loop: Header=BB6_5679 Depth=3
	v_and_b32_e32 v7, 7, v2
	v_ffbh_u32_e32 v1, v7
	v_lshrrev_b32_e32 v8, 3, v6
	v_cmp_gt_u32_e32 vcc, 8, v6
	v_min_u32_e32 v6, 32, v1
	v_subrev_u32_e32 v1, 28, v6
	v_lshlrev_b64 v[1:2], v1, v[2:3]
	v_sub_u32_e32 v2, 29, v6
	v_and_b32_e32 v1, 7, v1
	v_cndmask_b32_e32 v2, v8, v2, vcc
	v_cndmask_b32_e32 v1, v7, v1, vcc
	v_lshlrev_b32_e32 v6, 16, v14
	v_bfrev_b32_e32 v7, 60
	v_lshlrev_b32_e32 v1, 20, v1
	v_and_b32_e32 v6, 0x80000000, v6
	v_lshl_add_u32 v2, v2, 23, v7
	v_or3_b32 v1, v6, v2, v1
.LBB6_8206:                             ;   in Loop: Header=BB6_5679 Depth=3
	s_or_b64 exec, exec, s[48:49]
.LBB6_8207:                             ;   in Loop: Header=BB6_5679 Depth=3
	s_or_b64 exec, exec, s[40:41]
.LBB6_8208:                             ;   in Loop: Header=BB6_5679 Depth=3
	s_or_b64 exec, exec, s[38:39]
	v_cmp_ne_u16_e32 vcc, 0, v0
	s_and_saveexec_b64 s[40:41], vcc
	s_cbranch_execz .LBB6_8214
; %bb.8209:                             ;   in Loop: Header=BB6_5679 Depth=3
	v_cmp_ne_u16_e32 vcc, s82, v0
	v_bfrev_b32_e32 v3, 1
	s_and_saveexec_b64 s[38:39], vcc
	s_cbranch_execz .LBB6_8213
; %bb.8210:                             ;   in Loop: Header=BB6_5679 Depth=3
	v_and_b32_e32 v2, 0x7f, v0
	v_cmp_ne_u32_e32 vcc, s83, v2
	v_mov_b32_e32 v3, 0x7f800001
	s_and_saveexec_b64 s[48:49], vcc
	s_cbranch_execz .LBB6_8212
; %bb.8211:                             ;   in Loop: Header=BB6_5679 Depth=3
	v_and_b32_e32 v6, 7, v0
	v_lshrrev_b32_e32 v7, 3, v2
	v_cmp_gt_u32_e32 vcc, 8, v2
	v_ffbh_u32_e32 v2, v6
	v_min_u32_e32 v8, 32, v2
	v_subrev_u32_e32 v2, 28, v8
	v_lshlrev_b64 v[2:3], v2, v[0:1]
	v_sub_u32_e32 v0, 29, v8
	v_and_b32_e32 v2, 7, v2
	v_cndmask_b32_e32 v0, v7, v0, vcc
	v_cndmask_b32_e32 v2, v6, v2, vcc
	v_lshlrev_b32_e32 v3, 16, v10
	v_bfrev_b32_e32 v6, 60
	v_lshlrev_b32_e32 v2, 20, v2
	v_and_b32_e32 v3, 0x80000000, v3
	v_lshl_add_u32 v0, v0, 23, v6
	v_or3_b32 v3, v3, v0, v2
.LBB6_8212:                             ;   in Loop: Header=BB6_5679 Depth=3
	s_or_b64 exec, exec, s[48:49]
.LBB6_8213:                             ;   in Loop: Header=BB6_5679 Depth=3
	s_or_b64 exec, exec, s[38:39]
.LBB6_8214:                             ;   in Loop: Header=BB6_5679 Depth=3
	s_or_b64 exec, exec, s[40:41]
	v_max_f32_e32 v0, v3, v3
	v_max_f32_e32 v1, v1, v1
	v_min_f32_e32 v1, v1, v0
.LBB6_8215:                             ;   in Loop: Header=BB6_5679 Depth=3
	v_and_b32_e32 v52, 0x7f800000, v1
	v_cmp_ne_u64_e32 vcc, s[76:77], v[52:53]
                                        ; implicit-def: $vgpr13
	s_and_saveexec_b64 s[40:41], vcc
	s_xor_b64 s[38:39], exec, s[40:41]
	s_cbranch_execz .LBB6_8229
; %bb.8216:                             ;   in Loop: Header=BB6_5679 Depth=3
	v_and_b32_e32 v52, 0x7fffffff, v1
	v_cmp_gt_u64_e32 vcc, s[78:79], v[52:53]
	v_and_b32_sdwa v3, v1, s82 dst_sel:DWORD dst_unused:UNUSED_PAD src0_sel:BYTE_3 src1_sel:DWORD
                                        ; implicit-def: $vgpr13
	s_and_saveexec_b64 s[40:41], vcc
	s_xor_b64 s[48:49], exec, s[40:41]
	s_cbranch_execz .LBB6_8226
; %bb.8217:                             ;   in Loop: Header=BB6_5679 Depth=3
	v_mov_b32_e32 v13, 0
	v_cmp_ne_u32_e32 vcc, 0, v1
	s_and_saveexec_b64 s[50:51], vcc
	s_cbranch_execz .LBB6_8225
; %bb.8218:                             ;   in Loop: Header=BB6_5679 Depth=3
	v_bfe_u32 v6, v1, 23, 8
	v_and_b32_e32 v0, 0x7fffff, v1
	v_cmp_gt_u32_e64 s[40:41], s85, v6
	v_sub_u32_e32 v1, 0x79, v6
	v_cmp_eq_u32_e32 vcc, 0, v6
	v_cndmask_b32_e64 v1, 0, v1, s[40:41]
	v_mov_b32_e32 v7, 0x78
	v_or_b32_e32 v2, 0x800000, v0
	v_cndmask_b32_e32 v7, v1, v7, vcc
	v_cndmask_b32_e32 v52, v2, v0, vcc
	v_add_u32_e32 v0, 20, v7
	v_lshlrev_b64 v[0:1], v0, -1
	v_add_u32_e32 v2, 19, v7
	v_mov_b32_e32 v8, v47
	v_lshlrev_b64 v[46:47], v2, 1
	v_bfi_b32 v1, v1, 0, 0
	v_bfi_b32 v0, v0, 0, v52
	v_cmp_eq_u64_e64 s[40:41], v[0:1], v[46:47]
	v_lshrrev_b64 v[0:1], v7, v[52:53]
	v_mov_b32_e32 v2, v1
	v_mov_b32_e32 v1, v0
	s_and_saveexec_b64 s[52:53], s[40:41]
; %bb.8219:                             ;   in Loop: Header=BB6_5679 Depth=3
	v_bfe_u32 v1, v0, 20, 1
	v_add_co_u32_e64 v1, s[40:41], v0, v1
	v_add_co_u32_e64 v1, s[40:41], -1, v1
; %bb.8220:                             ;   in Loop: Header=BB6_5679 Depth=3
	s_or_b64 exec, exec, s[52:53]
	v_add_u32_e32 v2, 0xffffff81, v6
	v_mov_b32_e32 v6, 0xffffff82
	v_cndmask_b32_e32 v2, v2, v6, vcc
	v_lshrrev_b32_e32 v6, 23, v0
	v_add3_u32 v7, v7, v2, v6
	v_add_u32_e32 v6, 6, v7
	v_and_b32_e32 v1, 0xfffff, v1
	v_add_u32_e32 v52, v1, v0
	v_cmp_ne_u32_e32 vcc, 0, v6
                                        ; implicit-def: $vgpr0_vgpr1
                                        ; implicit-def: $vgpr2
	s_and_saveexec_b64 s[40:41], vcc
	s_xor_b64 s[40:41], exec, s[40:41]
; %bb.8221:                             ;   in Loop: Header=BB6_5679 Depth=3
	v_cmp_lt_u64_e32 vcc, s[88:89], v[52:53]
	v_add_u32_e32 v0, 7, v7
	v_cndmask_b32_e32 v2, v6, v0, vcc
	v_cndmask_b32_e64 v0, 0, 1, vcc
	v_lshrrev_b64 v[0:1], v0, v[52:53]
; %bb.8222:                             ;   in Loop: Header=BB6_5679 Depth=3
	s_or_saveexec_b64 s[40:41], s[40:41]
	v_mov_b32_e32 v47, v8
	s_xor_b64 exec, exec, s[40:41]
; %bb.8223:                             ;   in Loop: Header=BB6_5679 Depth=3
	v_mov_b32_e32 v0, v52
	v_mov_b32_e32 v1, v53
	v_bfe_u32 v2, v52, 23, 1
; %bb.8224:                             ;   in Loop: Header=BB6_5679 Depth=3
	s_or_b64 exec, exec, s[40:41]
	v_lshrrev_b64 v[0:1], 20, v[0:1]
	v_cmp_gt_i32_e32 vcc, 16, v2
	v_cndmask_b32_e32 v1, 0, v1, vcc
	v_cndmask_b32_e32 v0, 7, v0, vcc
	v_cmp_eq_u64_e64 s[40:41], 0, v[0:1]
	v_min_i32_e32 v1, 15, v2
	v_lshlrev_b32_e32 v1, 3, v1
	v_cmp_eq_u32_e32 vcc, 0, v2
	v_and_b32_e32 v1, 0xf8, v1
	v_and_or_b32 v0, v0, 7, v1
	s_and_b64 s[40:41], vcc, s[40:41]
	v_cndmask_b32_e64 v0, v0, 0, s[40:41]
	v_or_b32_e32 v13, v0, v3
.LBB6_8225:                             ;   in Loop: Header=BB6_5679 Depth=3
	s_or_b64 exec, exec, s[50:51]
                                        ; implicit-def: $vgpr3
.LBB6_8226:                             ;   in Loop: Header=BB6_5679 Depth=3
	s_andn2_saveexec_b64 s[40:41], s[48:49]
; %bb.8227:                             ;   in Loop: Header=BB6_5679 Depth=3
	v_or_b32_e32 v13, 0x7e, v3
; %bb.8228:                             ;   in Loop: Header=BB6_5679 Depth=3
	s_or_b64 exec, exec, s[40:41]
                                        ; implicit-def: $vgpr1
.LBB6_8229:                             ;   in Loop: Header=BB6_5679 Depth=3
	s_andn2_saveexec_b64 s[40:41], s[38:39]
; %bb.8230:                             ;   in Loop: Header=BB6_5679 Depth=3
	v_or_b32_sdwa v13, v1, s83 dst_sel:DWORD dst_unused:UNUSED_PAD src0_sel:BYTE_3 src1_sel:DWORD
; %bb.8231:                             ;   in Loop: Header=BB6_5679 Depth=3
	s_or_b64 exec, exec, s[40:41]
	v_lshrrev_b32_e32 v2, 16, v14
	v_lshrrev_b32_e32 v0, 16, v10
	v_cmp_ne_u16_sdwa s[40:41], v2, v53 src0_sel:BYTE_0 src1_sel:DWORD
	s_and_b64 vcc, exec, s[28:29]
	s_mov_b64 s[38:39], -1
                                        ; implicit-def: $vgpr1
	s_cbranch_vccnz .LBB6_8245
; %bb.8232:                             ;   in Loop: Header=BB6_5679 Depth=3
	v_mov_b32_e32 v3, 0
	v_mov_b32_e32 v1, 0
	s_and_saveexec_b64 s[38:39], s[40:41]
	s_cbranch_execz .LBB6_8238
; %bb.8233:                             ;   in Loop: Header=BB6_5679 Depth=3
	v_cmp_ne_u16_sdwa vcc, v2, s82 src0_sel:BYTE_0 src1_sel:DWORD
	v_bfrev_b32_e32 v1, 1
	s_and_saveexec_b64 s[48:49], vcc
	s_cbranch_execz .LBB6_8237
; %bb.8234:                             ;   in Loop: Header=BB6_5679 Depth=3
	v_bfe_u32 v6, v14, 16, 7
	v_cmp_ne_u32_e32 vcc, s83, v6
	v_mov_b32_e32 v1, 0x7f800001
	s_and_saveexec_b64 s[50:51], vcc
	s_cbranch_execz .LBB6_8236
; %bb.8235:                             ;   in Loop: Header=BB6_5679 Depth=3
	v_and_b32_e32 v1, 7, v2
	v_lshrrev_b32_e32 v8, 3, v6
	v_cmp_gt_u32_e32 vcc, 8, v6
	v_ffbh_u32_e32 v6, v1
	v_min_u32_e32 v31, 32, v6
	v_subrev_u32_e32 v6, 28, v31
	v_lshlrev_b64 v[6:7], v6, v[2:3]
	v_sub_u32_e32 v7, 29, v31
	v_and_b32_e32 v6, 7, v6
	v_cndmask_b32_e32 v7, v8, v7, vcc
	v_cndmask_b32_e32 v1, v1, v6, vcc
	v_lshlrev_b32_e32 v6, 24, v2
	v_bfrev_b32_e32 v8, 60
	v_lshlrev_b32_e32 v1, 20, v1
	v_and_b32_e32 v6, 0x80000000, v6
	v_lshl_add_u32 v7, v7, 23, v8
	v_or3_b32 v1, v6, v7, v1
.LBB6_8236:                             ;   in Loop: Header=BB6_5679 Depth=3
	s_or_b64 exec, exec, s[50:51]
.LBB6_8237:                             ;   in Loop: Header=BB6_5679 Depth=3
	s_or_b64 exec, exec, s[48:49]
.LBB6_8238:                             ;   in Loop: Header=BB6_5679 Depth=3
	s_or_b64 exec, exec, s[38:39]
	v_cmp_ne_u16_sdwa vcc, v0, v53 src0_sel:BYTE_0 src1_sel:DWORD
	s_and_saveexec_b64 s[38:39], vcc
	s_cbranch_execz .LBB6_8244
; %bb.8239:                             ;   in Loop: Header=BB6_5679 Depth=3
	v_cmp_ne_u16_sdwa vcc, v0, s82 src0_sel:BYTE_0 src1_sel:DWORD
	v_bfrev_b32_e32 v3, 1
	s_and_saveexec_b64 s[48:49], vcc
	s_cbranch_execz .LBB6_8243
; %bb.8240:                             ;   in Loop: Header=BB6_5679 Depth=3
	v_bfe_u32 v6, v10, 16, 7
	v_cmp_ne_u32_e32 vcc, s83, v6
	v_mov_b32_e32 v3, 0x7f800001
	s_and_saveexec_b64 s[50:51], vcc
	s_cbranch_execz .LBB6_8242
; %bb.8241:                             ;   in Loop: Header=BB6_5679 Depth=3
	v_and_b32_e32 v3, 7, v0
	v_lshrrev_b32_e32 v8, 3, v6
	v_cmp_gt_u32_e32 vcc, 8, v6
	v_ffbh_u32_e32 v6, v3
	v_min_u32_e32 v31, 32, v6
	v_subrev_u32_e32 v6, 28, v31
	v_lshlrev_b64 v[6:7], v6, v[0:1]
	v_sub_u32_e32 v7, 29, v31
	v_and_b32_e32 v6, 7, v6
	v_cndmask_b32_e32 v7, v8, v7, vcc
	v_cndmask_b32_e32 v3, v3, v6, vcc
	v_lshlrev_b32_e32 v6, 24, v0
	v_bfrev_b32_e32 v8, 60
	v_lshlrev_b32_e32 v3, 20, v3
	v_and_b32_e32 v6, 0x80000000, v6
	v_lshl_add_u32 v7, v7, 23, v8
	v_or3_b32 v3, v6, v7, v3
.LBB6_8242:                             ;   in Loop: Header=BB6_5679 Depth=3
	s_or_b64 exec, exec, s[50:51]
.LBB6_8243:                             ;   in Loop: Header=BB6_5679 Depth=3
	s_or_b64 exec, exec, s[48:49]
.LBB6_8244:                             ;   in Loop: Header=BB6_5679 Depth=3
	s_or_b64 exec, exec, s[38:39]
	v_max_f32_e32 v3, v3, v3
	v_max_f32_e32 v1, v1, v1
	;; [unrolled: 1-line block ×3, first 2 shown]
	s_mov_b64 s[38:39], 0
.LBB6_8245:                             ;   in Loop: Header=BB6_5679 Depth=3
	s_and_b64 vcc, exec, s[38:39]
	s_cbranch_vccz .LBB6_8259
; %bb.8246:                             ;   in Loop: Header=BB6_5679 Depth=3
	v_mov_b32_e32 v3, 0
	v_mov_b32_e32 v1, 0
	s_and_saveexec_b64 s[38:39], s[40:41]
	s_cbranch_execz .LBB6_8252
; %bb.8247:                             ;   in Loop: Header=BB6_5679 Depth=3
	v_cmp_ne_u16_sdwa vcc, v2, s82 src0_sel:BYTE_0 src1_sel:DWORD
	v_bfrev_b32_e32 v1, 1
	s_and_saveexec_b64 s[40:41], vcc
	s_cbranch_execz .LBB6_8251
; %bb.8248:                             ;   in Loop: Header=BB6_5679 Depth=3
	v_bfe_u32 v6, v14, 16, 7
	v_cmp_ne_u32_e32 vcc, s83, v6
	v_mov_b32_e32 v1, 0x7f800001
	s_and_saveexec_b64 s[48:49], vcc
	s_cbranch_execz .LBB6_8250
; %bb.8249:                             ;   in Loop: Header=BB6_5679 Depth=3
	v_and_b32_e32 v1, 7, v2
	v_lshrrev_b32_e32 v8, 3, v6
	v_cmp_gt_u32_e32 vcc, 8, v6
	v_ffbh_u32_e32 v6, v1
	v_min_u32_e32 v31, 32, v6
	v_subrev_u32_e32 v6, 28, v31
	v_lshlrev_b64 v[6:7], v6, v[2:3]
	v_sub_u32_e32 v7, 29, v31
	v_and_b32_e32 v6, 7, v6
	v_cndmask_b32_e32 v7, v8, v7, vcc
	v_cndmask_b32_e32 v1, v1, v6, vcc
	v_lshlrev_b32_e32 v2, 24, v2
	v_bfrev_b32_e32 v6, 60
	v_lshlrev_b32_e32 v1, 20, v1
	v_and_b32_e32 v2, 0x80000000, v2
	v_lshl_add_u32 v6, v7, 23, v6
	v_or3_b32 v1, v2, v6, v1
.LBB6_8250:                             ;   in Loop: Header=BB6_5679 Depth=3
	s_or_b64 exec, exec, s[48:49]
.LBB6_8251:                             ;   in Loop: Header=BB6_5679 Depth=3
	s_or_b64 exec, exec, s[40:41]
.LBB6_8252:                             ;   in Loop: Header=BB6_5679 Depth=3
	s_or_b64 exec, exec, s[38:39]
	v_cmp_ne_u16_sdwa vcc, v0, v53 src0_sel:BYTE_0 src1_sel:DWORD
	s_and_saveexec_b64 s[40:41], vcc
	s_cbranch_execz .LBB6_8258
; %bb.8253:                             ;   in Loop: Header=BB6_5679 Depth=3
	v_cmp_ne_u16_sdwa vcc, v0, s82 src0_sel:BYTE_0 src1_sel:DWORD
	v_bfrev_b32_e32 v3, 1
	s_and_saveexec_b64 s[38:39], vcc
	s_cbranch_execz .LBB6_8257
; %bb.8254:                             ;   in Loop: Header=BB6_5679 Depth=3
	v_bfe_u32 v2, v10, 16, 7
	v_cmp_ne_u32_e32 vcc, s83, v2
	v_mov_b32_e32 v3, 0x7f800001
	s_and_saveexec_b64 s[48:49], vcc
	s_cbranch_execz .LBB6_8256
; %bb.8255:                             ;   in Loop: Header=BB6_5679 Depth=3
	v_and_b32_e32 v6, 7, v0
	v_lshrrev_b32_e32 v7, 3, v2
	v_cmp_gt_u32_e32 vcc, 8, v2
	v_ffbh_u32_e32 v2, v6
	v_min_u32_e32 v8, 32, v2
	v_subrev_u32_e32 v2, 28, v8
	v_lshlrev_b64 v[2:3], v2, v[0:1]
	v_sub_u32_e32 v3, 29, v8
	v_and_b32_e32 v2, 7, v2
	v_cndmask_b32_e32 v3, v7, v3, vcc
	v_cndmask_b32_e32 v2, v6, v2, vcc
	v_lshlrev_b32_e32 v0, 24, v0
	v_bfrev_b32_e32 v6, 60
	v_lshlrev_b32_e32 v2, 20, v2
	v_and_b32_e32 v0, 0x80000000, v0
	v_lshl_add_u32 v3, v3, 23, v6
	v_or3_b32 v3, v0, v3, v2
.LBB6_8256:                             ;   in Loop: Header=BB6_5679 Depth=3
	s_or_b64 exec, exec, s[48:49]
.LBB6_8257:                             ;   in Loop: Header=BB6_5679 Depth=3
	s_or_b64 exec, exec, s[38:39]
.LBB6_8258:                             ;   in Loop: Header=BB6_5679 Depth=3
	s_or_b64 exec, exec, s[40:41]
	v_max_f32_e32 v0, v3, v3
	v_max_f32_e32 v1, v1, v1
	v_min_f32_e32 v1, v1, v0
.LBB6_8259:                             ;   in Loop: Header=BB6_5679 Depth=3
	v_and_b32_e32 v52, 0x7f800000, v1
	v_cmp_ne_u64_e32 vcc, s[76:77], v[52:53]
                                        ; implicit-def: $vgpr51
	s_and_saveexec_b64 s[40:41], vcc
	s_xor_b64 s[38:39], exec, s[40:41]
	s_cbranch_execz .LBB6_8273
; %bb.8260:                             ;   in Loop: Header=BB6_5679 Depth=3
	v_and_b32_e32 v52, 0x7fffffff, v1
	v_cmp_gt_u64_e32 vcc, s[78:79], v[52:53]
	v_and_b32_sdwa v3, v1, s82 dst_sel:DWORD dst_unused:UNUSED_PAD src0_sel:BYTE_3 src1_sel:DWORD
                                        ; implicit-def: $vgpr51
	s_and_saveexec_b64 s[40:41], vcc
	s_xor_b64 s[48:49], exec, s[40:41]
	s_cbranch_execz .LBB6_8270
; %bb.8261:                             ;   in Loop: Header=BB6_5679 Depth=3
	v_mov_b32_e32 v51, 0
	v_cmp_ne_u32_e32 vcc, 0, v1
	s_and_saveexec_b64 s[50:51], vcc
	s_cbranch_execz .LBB6_8269
; %bb.8262:                             ;   in Loop: Header=BB6_5679 Depth=3
	v_bfe_u32 v6, v1, 23, 8
	v_and_b32_e32 v0, 0x7fffff, v1
	v_cmp_gt_u32_e64 s[40:41], s85, v6
	v_sub_u32_e32 v1, 0x79, v6
	v_cmp_eq_u32_e32 vcc, 0, v6
	v_cndmask_b32_e64 v1, 0, v1, s[40:41]
	v_mov_b32_e32 v7, 0x78
	v_or_b32_e32 v2, 0x800000, v0
	v_cndmask_b32_e32 v7, v1, v7, vcc
	v_cndmask_b32_e32 v52, v2, v0, vcc
	v_add_u32_e32 v0, 20, v7
	v_lshlrev_b64 v[0:1], v0, -1
	v_add_u32_e32 v2, 19, v7
	v_mov_b32_e32 v8, v47
	v_lshlrev_b64 v[46:47], v2, 1
	v_bfi_b32 v1, v1, 0, 0
	v_bfi_b32 v0, v0, 0, v52
	v_cmp_eq_u64_e64 s[40:41], v[0:1], v[46:47]
	v_lshrrev_b64 v[0:1], v7, v[52:53]
	v_mov_b32_e32 v2, v1
	v_mov_b32_e32 v1, v0
	s_and_saveexec_b64 s[52:53], s[40:41]
; %bb.8263:                             ;   in Loop: Header=BB6_5679 Depth=3
	v_bfe_u32 v1, v0, 20, 1
	v_add_co_u32_e64 v1, s[40:41], v0, v1
	v_add_co_u32_e64 v1, s[40:41], -1, v1
; %bb.8264:                             ;   in Loop: Header=BB6_5679 Depth=3
	s_or_b64 exec, exec, s[52:53]
	v_add_u32_e32 v2, 0xffffff81, v6
	v_mov_b32_e32 v6, 0xffffff82
	v_cndmask_b32_e32 v2, v2, v6, vcc
	v_lshrrev_b32_e32 v6, 23, v0
	v_add3_u32 v7, v7, v2, v6
	v_add_u32_e32 v6, 6, v7
	v_and_b32_e32 v1, 0xfffff, v1
	v_add_u32_e32 v52, v1, v0
	v_cmp_ne_u32_e32 vcc, 0, v6
                                        ; implicit-def: $vgpr0_vgpr1
                                        ; implicit-def: $vgpr2
	s_and_saveexec_b64 s[40:41], vcc
	s_xor_b64 s[40:41], exec, s[40:41]
; %bb.8265:                             ;   in Loop: Header=BB6_5679 Depth=3
	v_cmp_lt_u64_e32 vcc, s[88:89], v[52:53]
	v_add_u32_e32 v0, 7, v7
	v_cndmask_b32_e32 v2, v6, v0, vcc
	v_cndmask_b32_e64 v0, 0, 1, vcc
	v_lshrrev_b64 v[0:1], v0, v[52:53]
; %bb.8266:                             ;   in Loop: Header=BB6_5679 Depth=3
	s_or_saveexec_b64 s[40:41], s[40:41]
	v_mov_b32_e32 v47, v8
	s_xor_b64 exec, exec, s[40:41]
; %bb.8267:                             ;   in Loop: Header=BB6_5679 Depth=3
	v_mov_b32_e32 v0, v52
	v_mov_b32_e32 v1, v53
	v_bfe_u32 v2, v52, 23, 1
; %bb.8268:                             ;   in Loop: Header=BB6_5679 Depth=3
	s_or_b64 exec, exec, s[40:41]
	v_lshrrev_b64 v[0:1], 20, v[0:1]
	v_cmp_gt_i32_e32 vcc, 16, v2
	v_cndmask_b32_e32 v1, 0, v1, vcc
	v_cndmask_b32_e32 v0, 7, v0, vcc
	v_cmp_eq_u64_e64 s[40:41], 0, v[0:1]
	v_min_i32_e32 v1, 15, v2
	v_lshlrev_b32_e32 v1, 3, v1
	v_cmp_eq_u32_e32 vcc, 0, v2
	v_and_b32_e32 v1, 0xf8, v1
	v_and_or_b32 v0, v0, 7, v1
	s_and_b64 s[40:41], vcc, s[40:41]
	v_cndmask_b32_e64 v0, v0, 0, s[40:41]
	v_or_b32_e32 v51, v0, v3
.LBB6_8269:                             ;   in Loop: Header=BB6_5679 Depth=3
	s_or_b64 exec, exec, s[50:51]
                                        ; implicit-def: $vgpr3
.LBB6_8270:                             ;   in Loop: Header=BB6_5679 Depth=3
	s_andn2_saveexec_b64 s[40:41], s[48:49]
; %bb.8271:                             ;   in Loop: Header=BB6_5679 Depth=3
	v_or_b32_e32 v51, 0x7e, v3
; %bb.8272:                             ;   in Loop: Header=BB6_5679 Depth=3
	s_or_b64 exec, exec, s[40:41]
                                        ; implicit-def: $vgpr1
.LBB6_8273:                             ;   in Loop: Header=BB6_5679 Depth=3
	s_andn2_saveexec_b64 s[40:41], s[38:39]
; %bb.8274:                             ;   in Loop: Header=BB6_5679 Depth=3
	v_or_b32_sdwa v51, v1, s83 dst_sel:DWORD dst_unused:UNUSED_PAD src0_sel:BYTE_3 src1_sel:DWORD
; %bb.8275:                             ;   in Loop: Header=BB6_5679 Depth=3
	s_or_b64 exec, exec, s[40:41]
	v_lshrrev_b32_e32 v2, 24, v14
	v_lshrrev_b32_e32 v0, 24, v10
	v_cmp_lt_u32_e64 s[40:41], s63, v14
	s_and_b64 vcc, exec, s[28:29]
	s_mov_b64 s[38:39], -1
                                        ; implicit-def: $vgpr1
	s_cbranch_vccnz .LBB6_8289
; %bb.8276:                             ;   in Loop: Header=BB6_5679 Depth=3
	v_mov_b32_e32 v3, 0
	v_mov_b32_e32 v1, 0
	s_and_saveexec_b64 s[38:39], s[40:41]
	s_cbranch_execz .LBB6_8282
; %bb.8277:                             ;   in Loop: Header=BB6_5679 Depth=3
	v_cmp_ne_u32_e32 vcc, s82, v2
	v_bfrev_b32_e32 v1, 1
	s_and_saveexec_b64 s[48:49], vcc
	s_cbranch_execz .LBB6_8281
; %bb.8278:                             ;   in Loop: Header=BB6_5679 Depth=3
	v_bfe_u32 v6, v14, 24, 7
	v_cmp_ne_u32_e32 vcc, s83, v6
	v_mov_b32_e32 v1, 0x7f800001
	s_and_saveexec_b64 s[50:51], vcc
	s_cbranch_execz .LBB6_8280
; %bb.8279:                             ;   in Loop: Header=BB6_5679 Depth=3
	v_and_b32_e32 v1, 7, v2
	v_lshrrev_b32_e32 v8, 3, v6
	v_cmp_gt_u32_e32 vcc, 8, v6
	v_ffbh_u32_e32 v6, v1
	v_min_u32_e32 v31, 32, v6
	v_subrev_u32_e32 v6, 28, v31
	v_lshlrev_b64 v[6:7], v6, v[2:3]
	v_sub_u32_e32 v7, 29, v31
	v_and_b32_e32 v6, 7, v6
	v_cndmask_b32_e32 v7, v8, v7, vcc
	v_cndmask_b32_e32 v1, v1, v6, vcc
	v_lshlrev_b32_e32 v6, 24, v2
	v_bfrev_b32_e32 v8, 60
	v_lshlrev_b32_e32 v1, 20, v1
	v_and_b32_e32 v6, 0x80000000, v6
	v_lshl_add_u32 v7, v7, 23, v8
	v_or3_b32 v1, v6, v7, v1
.LBB6_8280:                             ;   in Loop: Header=BB6_5679 Depth=3
	s_or_b64 exec, exec, s[50:51]
.LBB6_8281:                             ;   in Loop: Header=BB6_5679 Depth=3
	s_or_b64 exec, exec, s[48:49]
.LBB6_8282:                             ;   in Loop: Header=BB6_5679 Depth=3
	s_or_b64 exec, exec, s[38:39]
	v_cmp_lt_u32_e32 vcc, s63, v10
	s_and_saveexec_b64 s[38:39], vcc
	s_cbranch_execz .LBB6_8288
; %bb.8283:                             ;   in Loop: Header=BB6_5679 Depth=3
	v_cmp_ne_u32_e32 vcc, s82, v0
	v_bfrev_b32_e32 v3, 1
	s_and_saveexec_b64 s[48:49], vcc
	s_cbranch_execz .LBB6_8287
; %bb.8284:                             ;   in Loop: Header=BB6_5679 Depth=3
	v_bfe_u32 v6, v10, 24, 7
	v_cmp_ne_u32_e32 vcc, s83, v6
	v_mov_b32_e32 v3, 0x7f800001
	s_and_saveexec_b64 s[50:51], vcc
	s_cbranch_execz .LBB6_8286
; %bb.8285:                             ;   in Loop: Header=BB6_5679 Depth=3
	v_and_b32_e32 v3, 7, v0
	v_lshrrev_b32_e32 v8, 3, v6
	v_cmp_gt_u32_e32 vcc, 8, v6
	v_ffbh_u32_e32 v6, v3
	v_min_u32_e32 v31, 32, v6
	v_subrev_u32_e32 v6, 28, v31
	v_lshlrev_b64 v[6:7], v6, v[0:1]
	v_sub_u32_e32 v7, 29, v31
	v_and_b32_e32 v6, 7, v6
	v_cndmask_b32_e32 v7, v8, v7, vcc
	v_cndmask_b32_e32 v3, v3, v6, vcc
	v_lshlrev_b32_e32 v6, 24, v0
	v_bfrev_b32_e32 v8, 60
	v_lshlrev_b32_e32 v3, 20, v3
	v_and_b32_e32 v6, 0x80000000, v6
	v_lshl_add_u32 v7, v7, 23, v8
	v_or3_b32 v3, v6, v7, v3
.LBB6_8286:                             ;   in Loop: Header=BB6_5679 Depth=3
	s_or_b64 exec, exec, s[50:51]
.LBB6_8287:                             ;   in Loop: Header=BB6_5679 Depth=3
	s_or_b64 exec, exec, s[48:49]
.LBB6_8288:                             ;   in Loop: Header=BB6_5679 Depth=3
	s_or_b64 exec, exec, s[38:39]
	v_max_f32_e32 v3, v3, v3
	v_max_f32_e32 v1, v1, v1
	;; [unrolled: 1-line block ×3, first 2 shown]
	s_mov_b64 s[38:39], 0
.LBB6_8289:                             ;   in Loop: Header=BB6_5679 Depth=3
	s_and_b64 vcc, exec, s[38:39]
	s_cbranch_vccz .LBB6_8303
; %bb.8290:                             ;   in Loop: Header=BB6_5679 Depth=3
	v_mov_b32_e32 v3, 0
	v_mov_b32_e32 v1, 0
	s_and_saveexec_b64 s[38:39], s[40:41]
	s_cbranch_execz .LBB6_8296
; %bb.8291:                             ;   in Loop: Header=BB6_5679 Depth=3
	v_cmp_ne_u32_e32 vcc, s82, v2
	v_bfrev_b32_e32 v1, 1
	s_and_saveexec_b64 s[40:41], vcc
	s_cbranch_execz .LBB6_8295
; %bb.8292:                             ;   in Loop: Header=BB6_5679 Depth=3
	v_bfe_u32 v6, v14, 24, 7
	v_cmp_ne_u32_e32 vcc, s83, v6
	v_mov_b32_e32 v1, 0x7f800001
	s_and_saveexec_b64 s[48:49], vcc
	s_cbranch_execz .LBB6_8294
; %bb.8293:                             ;   in Loop: Header=BB6_5679 Depth=3
	v_and_b32_e32 v1, 7, v2
	v_lshrrev_b32_e32 v8, 3, v6
	v_cmp_gt_u32_e32 vcc, 8, v6
	v_ffbh_u32_e32 v6, v1
	v_min_u32_e32 v31, 32, v6
	v_subrev_u32_e32 v6, 28, v31
	v_lshlrev_b64 v[6:7], v6, v[2:3]
	v_sub_u32_e32 v7, 29, v31
	v_and_b32_e32 v6, 7, v6
	v_cndmask_b32_e32 v7, v8, v7, vcc
	v_cndmask_b32_e32 v1, v1, v6, vcc
	v_lshlrev_b32_e32 v2, 24, v2
	v_bfrev_b32_e32 v6, 60
	v_lshlrev_b32_e32 v1, 20, v1
	v_and_b32_e32 v2, 0x80000000, v2
	v_lshl_add_u32 v6, v7, 23, v6
	v_or3_b32 v1, v2, v6, v1
.LBB6_8294:                             ;   in Loop: Header=BB6_5679 Depth=3
	s_or_b64 exec, exec, s[48:49]
.LBB6_8295:                             ;   in Loop: Header=BB6_5679 Depth=3
	s_or_b64 exec, exec, s[40:41]
.LBB6_8296:                             ;   in Loop: Header=BB6_5679 Depth=3
	s_or_b64 exec, exec, s[38:39]
	v_cmp_lt_u32_e32 vcc, s63, v10
	s_and_saveexec_b64 s[40:41], vcc
	s_cbranch_execz .LBB6_8302
; %bb.8297:                             ;   in Loop: Header=BB6_5679 Depth=3
	v_cmp_ne_u32_e32 vcc, s82, v0
	v_bfrev_b32_e32 v3, 1
	s_and_saveexec_b64 s[38:39], vcc
	s_cbranch_execz .LBB6_8301
; %bb.8298:                             ;   in Loop: Header=BB6_5679 Depth=3
	v_bfe_u32 v2, v10, 24, 7
	v_cmp_ne_u32_e32 vcc, s83, v2
	v_mov_b32_e32 v3, 0x7f800001
	s_and_saveexec_b64 s[48:49], vcc
	s_cbranch_execz .LBB6_8300
; %bb.8299:                             ;   in Loop: Header=BB6_5679 Depth=3
	v_and_b32_e32 v6, 7, v0
	v_lshrrev_b32_e32 v7, 3, v2
	v_cmp_gt_u32_e32 vcc, 8, v2
	v_ffbh_u32_e32 v2, v6
	v_min_u32_e32 v8, 32, v2
	v_subrev_u32_e32 v2, 28, v8
	v_lshlrev_b64 v[2:3], v2, v[0:1]
	v_sub_u32_e32 v3, 29, v8
	v_and_b32_e32 v2, 7, v2
	v_cndmask_b32_e32 v3, v7, v3, vcc
	v_cndmask_b32_e32 v2, v6, v2, vcc
	v_lshlrev_b32_e32 v0, 24, v0
	v_bfrev_b32_e32 v6, 60
	v_lshlrev_b32_e32 v2, 20, v2
	v_and_b32_e32 v0, 0x80000000, v0
	v_lshl_add_u32 v3, v3, 23, v6
	v_or3_b32 v3, v0, v3, v2
.LBB6_8300:                             ;   in Loop: Header=BB6_5679 Depth=3
	s_or_b64 exec, exec, s[48:49]
.LBB6_8301:                             ;   in Loop: Header=BB6_5679 Depth=3
	s_or_b64 exec, exec, s[38:39]
.LBB6_8302:                             ;   in Loop: Header=BB6_5679 Depth=3
	s_or_b64 exec, exec, s[40:41]
	v_max_f32_e32 v0, v3, v3
	v_max_f32_e32 v1, v1, v1
	v_min_f32_e32 v1, v1, v0
.LBB6_8303:                             ;   in Loop: Header=BB6_5679 Depth=3
	v_and_b32_e32 v52, 0x7f800000, v1
	v_cmp_ne_u64_e32 vcc, s[76:77], v[52:53]
	v_mov_b32_e32 v43, v55
                                        ; implicit-def: $vgpr55
	s_and_saveexec_b64 s[40:41], vcc
	s_xor_b64 s[38:39], exec, s[40:41]
	s_cbranch_execz .LBB6_8317
; %bb.8304:                             ;   in Loop: Header=BB6_5679 Depth=3
	v_and_b32_e32 v52, 0x7fffffff, v1
	v_cmp_gt_u64_e32 vcc, s[78:79], v[52:53]
	v_and_b32_sdwa v3, v1, s82 dst_sel:DWORD dst_unused:UNUSED_PAD src0_sel:BYTE_3 src1_sel:DWORD
                                        ; implicit-def: $vgpr55
	s_and_saveexec_b64 s[40:41], vcc
	s_xor_b64 s[48:49], exec, s[40:41]
	s_cbranch_execz .LBB6_8314
; %bb.8305:                             ;   in Loop: Header=BB6_5679 Depth=3
	v_mov_b32_e32 v55, 0
	v_cmp_ne_u32_e32 vcc, 0, v1
	s_and_saveexec_b64 s[50:51], vcc
	s_cbranch_execz .LBB6_8313
; %bb.8306:                             ;   in Loop: Header=BB6_5679 Depth=3
	v_bfe_u32 v6, v1, 23, 8
	v_and_b32_e32 v0, 0x7fffff, v1
	v_cmp_gt_u32_e64 s[40:41], s85, v6
	v_sub_u32_e32 v1, 0x79, v6
	v_cmp_eq_u32_e32 vcc, 0, v6
	v_cndmask_b32_e64 v1, 0, v1, s[40:41]
	v_mov_b32_e32 v7, 0x78
	v_or_b32_e32 v2, 0x800000, v0
	v_cndmask_b32_e32 v7, v1, v7, vcc
	v_cndmask_b32_e32 v52, v2, v0, vcc
	v_add_u32_e32 v0, 20, v7
	v_lshlrev_b64 v[0:1], v0, -1
	v_add_u32_e32 v2, 19, v7
	v_mov_b32_e32 v8, v47
	v_lshlrev_b64 v[46:47], v2, 1
	v_bfi_b32 v1, v1, 0, 0
	v_bfi_b32 v0, v0, 0, v52
	v_cmp_eq_u64_e64 s[40:41], v[0:1], v[46:47]
	v_lshrrev_b64 v[0:1], v7, v[52:53]
	v_mov_b32_e32 v2, v1
	v_mov_b32_e32 v1, v0
	s_and_saveexec_b64 s[52:53], s[40:41]
; %bb.8307:                             ;   in Loop: Header=BB6_5679 Depth=3
	v_bfe_u32 v1, v0, 20, 1
	v_add_co_u32_e64 v1, s[40:41], v0, v1
	v_add_co_u32_e64 v1, s[40:41], -1, v1
; %bb.8308:                             ;   in Loop: Header=BB6_5679 Depth=3
	s_or_b64 exec, exec, s[52:53]
	v_add_u32_e32 v2, 0xffffff81, v6
	v_mov_b32_e32 v6, 0xffffff82
	v_cndmask_b32_e32 v2, v2, v6, vcc
	v_lshrrev_b32_e32 v6, 23, v0
	v_add3_u32 v7, v7, v2, v6
	v_add_u32_e32 v6, 6, v7
	v_and_b32_e32 v1, 0xfffff, v1
	v_add_u32_e32 v52, v1, v0
	v_cmp_ne_u32_e32 vcc, 0, v6
                                        ; implicit-def: $vgpr0_vgpr1
                                        ; implicit-def: $vgpr2
	s_and_saveexec_b64 s[40:41], vcc
	s_xor_b64 s[40:41], exec, s[40:41]
; %bb.8309:                             ;   in Loop: Header=BB6_5679 Depth=3
	v_cmp_lt_u64_e32 vcc, s[88:89], v[52:53]
	v_add_u32_e32 v0, 7, v7
	v_cndmask_b32_e32 v2, v6, v0, vcc
	v_cndmask_b32_e64 v0, 0, 1, vcc
	v_lshrrev_b64 v[0:1], v0, v[52:53]
; %bb.8310:                             ;   in Loop: Header=BB6_5679 Depth=3
	s_or_saveexec_b64 s[40:41], s[40:41]
	v_mov_b32_e32 v47, v8
	s_xor_b64 exec, exec, s[40:41]
; %bb.8311:                             ;   in Loop: Header=BB6_5679 Depth=3
	v_mov_b32_e32 v0, v52
	v_mov_b32_e32 v1, v53
	v_bfe_u32 v2, v52, 23, 1
; %bb.8312:                             ;   in Loop: Header=BB6_5679 Depth=3
	s_or_b64 exec, exec, s[40:41]
	v_lshrrev_b64 v[0:1], 20, v[0:1]
	v_cmp_gt_i32_e32 vcc, 16, v2
	v_cndmask_b32_e32 v1, 0, v1, vcc
	v_cndmask_b32_e32 v0, 7, v0, vcc
	v_cmp_eq_u64_e64 s[40:41], 0, v[0:1]
	v_min_i32_e32 v1, 15, v2
	v_lshlrev_b32_e32 v1, 3, v1
	v_cmp_eq_u32_e32 vcc, 0, v2
	v_and_b32_e32 v1, 0xf8, v1
	v_and_or_b32 v0, v0, 7, v1
	s_and_b64 s[40:41], vcc, s[40:41]
	v_cndmask_b32_e64 v0, v0, 0, s[40:41]
	v_or_b32_e32 v55, v0, v3
.LBB6_8313:                             ;   in Loop: Header=BB6_5679 Depth=3
	s_or_b64 exec, exec, s[50:51]
                                        ; implicit-def: $vgpr3
.LBB6_8314:                             ;   in Loop: Header=BB6_5679 Depth=3
	s_andn2_saveexec_b64 s[40:41], s[48:49]
; %bb.8315:                             ;   in Loop: Header=BB6_5679 Depth=3
	v_or_b32_e32 v55, 0x7e, v3
; %bb.8316:                             ;   in Loop: Header=BB6_5679 Depth=3
	s_or_b64 exec, exec, s[40:41]
                                        ; implicit-def: $vgpr1
.LBB6_8317:                             ;   in Loop: Header=BB6_5679 Depth=3
	s_andn2_saveexec_b64 s[40:41], s[38:39]
; %bb.8318:                             ;   in Loop: Header=BB6_5679 Depth=3
	v_or_b32_sdwa v55, v1, s83 dst_sel:DWORD dst_unused:UNUSED_PAD src0_sel:BYTE_3 src1_sel:DWORD
; %bb.8319:                             ;   in Loop: Header=BB6_5679 Depth=3
	s_or_b64 exec, exec, s[40:41]
	v_mov_b32_e32 v52, v15
	v_mov_b32_e32 v2, v11
	;; [unrolled: 1-line block ×3, first 2 shown]
	v_cmp_ne_u16_sdwa s[40:41], v15, v53 src0_sel:BYTE_0 src1_sel:DWORD
	s_and_b64 vcc, exec, s[28:29]
	s_mov_b64 s[38:39], -1
                                        ; implicit-def: $vgpr0
	s_cbranch_vccnz .LBB6_8333
; %bb.8320:                             ;   in Loop: Header=BB6_5679 Depth=3
	v_mov_b32_e32 v1, 0
	v_mov_b32_e32 v0, 0
	s_and_saveexec_b64 s[38:39], s[40:41]
	s_cbranch_execz .LBB6_8326
; %bb.8321:                             ;   in Loop: Header=BB6_5679 Depth=3
	v_cmp_ne_u16_sdwa vcc, v15, s82 src0_sel:BYTE_0 src1_sel:DWORD
	v_bfrev_b32_e32 v0, 1
	s_and_saveexec_b64 s[48:49], vcc
	s_cbranch_execz .LBB6_8325
; %bb.8322:                             ;   in Loop: Header=BB6_5679 Depth=3
	v_and_b32_e32 v6, 0x7f, v15
	v_cmp_ne_u32_e32 vcc, s83, v6
	v_mov_b32_e32 v0, 0x7f800001
	s_and_saveexec_b64 s[50:51], vcc
	s_cbranch_execz .LBB6_8324
; %bb.8323:                             ;   in Loop: Header=BB6_5679 Depth=3
	v_and_b32_e32 v0, 7, v15
	v_ffbh_u32_e32 v0, v0
	v_min_u32_e32 v0, 32, v0
	v_lshrrev_b32_e32 v7, 3, v6
	v_cmp_gt_u32_e32 vcc, 8, v6
	v_subrev_u32_e32 v6, 28, v0
	v_sub_u32_e32 v0, 29, v0
	v_cndmask_b32_e32 v6, 0, v6, vcc
	v_cndmask_b32_e32 v0, v7, v0, vcc
	v_lshlrev_b64 v[6:7], v6, v[52:53]
	v_lshlrev_b32_e32 v7, 24, v52
	v_lshlrev_b32_e32 v6, 20, v6
	v_bfrev_b32_e32 v8, 60
	v_and_b32_e32 v6, 0x700000, v6
	v_and_b32_e32 v7, 0x80000000, v7
	v_lshl_add_u32 v0, v0, 23, v8
	v_or3_b32 v0, v7, v0, v6
.LBB6_8324:                             ;   in Loop: Header=BB6_5679 Depth=3
	s_or_b64 exec, exec, s[50:51]
.LBB6_8325:                             ;   in Loop: Header=BB6_5679 Depth=3
	s_or_b64 exec, exec, s[48:49]
.LBB6_8326:                             ;   in Loop: Header=BB6_5679 Depth=3
	s_or_b64 exec, exec, s[38:39]
	v_cmp_ne_u16_sdwa vcc, v11, v53 src0_sel:BYTE_0 src1_sel:DWORD
	s_and_saveexec_b64 s[38:39], vcc
	s_cbranch_execz .LBB6_8332
; %bb.8327:                             ;   in Loop: Header=BB6_5679 Depth=3
	v_cmp_ne_u16_sdwa vcc, v11, s82 src0_sel:BYTE_0 src1_sel:DWORD
	v_bfrev_b32_e32 v1, 1
	s_and_saveexec_b64 s[48:49], vcc
	s_cbranch_execz .LBB6_8331
; %bb.8328:                             ;   in Loop: Header=BB6_5679 Depth=3
	v_and_b32_e32 v6, 0x7f, v11
	v_cmp_ne_u32_e32 vcc, s83, v6
	v_mov_b32_e32 v1, 0x7f800001
	s_and_saveexec_b64 s[50:51], vcc
	s_cbranch_execz .LBB6_8330
; %bb.8329:                             ;   in Loop: Header=BB6_5679 Depth=3
	v_and_b32_e32 v1, 7, v11
	v_ffbh_u32_e32 v1, v1
	v_min_u32_e32 v1, 32, v1
	v_lshrrev_b32_e32 v7, 3, v6
	v_cmp_gt_u32_e32 vcc, 8, v6
	v_subrev_u32_e32 v6, 28, v1
	v_sub_u32_e32 v1, 29, v1
	v_cndmask_b32_e32 v6, 0, v6, vcc
	v_cndmask_b32_e32 v1, v7, v1, vcc
	v_lshlrev_b64 v[6:7], v6, v[2:3]
	v_lshlrev_b32_e32 v7, 24, v2
	v_lshlrev_b32_e32 v6, 20, v6
	v_bfrev_b32_e32 v8, 60
	v_and_b32_e32 v6, 0x700000, v6
	v_and_b32_e32 v7, 0x80000000, v7
	v_lshl_add_u32 v1, v1, 23, v8
	v_or3_b32 v1, v7, v1, v6
.LBB6_8330:                             ;   in Loop: Header=BB6_5679 Depth=3
	s_or_b64 exec, exec, s[50:51]
.LBB6_8331:                             ;   in Loop: Header=BB6_5679 Depth=3
	s_or_b64 exec, exec, s[48:49]
.LBB6_8332:                             ;   in Loop: Header=BB6_5679 Depth=3
	s_or_b64 exec, exec, s[38:39]
	v_max_f32_e32 v1, v1, v1
	v_max_f32_e32 v0, v0, v0
	;; [unrolled: 1-line block ×3, first 2 shown]
	s_mov_b64 s[38:39], 0
.LBB6_8333:                             ;   in Loop: Header=BB6_5679 Depth=3
	s_and_b64 vcc, exec, s[38:39]
	s_cbranch_vccz .LBB6_8347
; %bb.8334:                             ;   in Loop: Header=BB6_5679 Depth=3
	v_mov_b32_e32 v1, 0
	v_mov_b32_e32 v0, 0
	s_and_saveexec_b64 s[38:39], s[40:41]
	s_cbranch_execz .LBB6_8340
; %bb.8335:                             ;   in Loop: Header=BB6_5679 Depth=3
	v_cmp_ne_u16_sdwa vcc, v15, s82 src0_sel:BYTE_0 src1_sel:DWORD
	v_bfrev_b32_e32 v0, 1
	s_and_saveexec_b64 s[40:41], vcc
	s_cbranch_execz .LBB6_8339
; %bb.8336:                             ;   in Loop: Header=BB6_5679 Depth=3
	v_and_b32_e32 v6, 0x7f, v15
	v_cmp_ne_u32_e32 vcc, s83, v6
	v_mov_b32_e32 v0, 0x7f800001
	s_and_saveexec_b64 s[48:49], vcc
	s_cbranch_execz .LBB6_8338
; %bb.8337:                             ;   in Loop: Header=BB6_5679 Depth=3
	v_and_b32_e32 v0, 7, v15
	v_ffbh_u32_e32 v0, v0
	v_min_u32_e32 v0, 32, v0
	v_lshrrev_b32_e32 v7, 3, v6
	v_cmp_gt_u32_e32 vcc, 8, v6
	v_subrev_u32_e32 v6, 28, v0
	v_sub_u32_e32 v0, 29, v0
	v_cndmask_b32_e32 v6, 0, v6, vcc
	v_cndmask_b32_e32 v0, v7, v0, vcc
	v_lshlrev_b64 v[6:7], v6, v[52:53]
	v_lshlrev_b32_e32 v7, 24, v52
	v_lshlrev_b32_e32 v6, 20, v6
	v_bfrev_b32_e32 v8, 60
	v_and_b32_e32 v6, 0x700000, v6
	v_and_b32_e32 v7, 0x80000000, v7
	v_lshl_add_u32 v0, v0, 23, v8
	v_or3_b32 v0, v7, v0, v6
.LBB6_8338:                             ;   in Loop: Header=BB6_5679 Depth=3
	s_or_b64 exec, exec, s[48:49]
.LBB6_8339:                             ;   in Loop: Header=BB6_5679 Depth=3
	s_or_b64 exec, exec, s[40:41]
.LBB6_8340:                             ;   in Loop: Header=BB6_5679 Depth=3
	s_or_b64 exec, exec, s[38:39]
	v_cmp_ne_u16_sdwa vcc, v11, v53 src0_sel:BYTE_0 src1_sel:DWORD
	s_and_saveexec_b64 s[40:41], vcc
	s_cbranch_execz .LBB6_8346
; %bb.8341:                             ;   in Loop: Header=BB6_5679 Depth=3
	v_cmp_ne_u16_sdwa vcc, v11, s82 src0_sel:BYTE_0 src1_sel:DWORD
	v_bfrev_b32_e32 v1, 1
	s_and_saveexec_b64 s[38:39], vcc
	s_cbranch_execz .LBB6_8345
; %bb.8342:                             ;   in Loop: Header=BB6_5679 Depth=3
	v_and_b32_e32 v6, 0x7f, v11
	v_cmp_ne_u32_e32 vcc, s83, v6
	v_mov_b32_e32 v1, 0x7f800001
	s_and_saveexec_b64 s[48:49], vcc
	s_cbranch_execz .LBB6_8344
; %bb.8343:                             ;   in Loop: Header=BB6_5679 Depth=3
	v_and_b32_e32 v1, 7, v11
	v_ffbh_u32_e32 v1, v1
	v_min_u32_e32 v1, 32, v1
	v_lshrrev_b32_e32 v7, 3, v6
	v_cmp_gt_u32_e32 vcc, 8, v6
	v_subrev_u32_e32 v6, 28, v1
	v_sub_u32_e32 v1, 29, v1
	v_cndmask_b32_e32 v6, 0, v6, vcc
	v_cndmask_b32_e32 v1, v7, v1, vcc
	v_lshlrev_b64 v[6:7], v6, v[2:3]
	v_bfrev_b32_e32 v7, 60
	v_lshlrev_b32_e32 v3, 20, v6
	v_lshlrev_b32_e32 v6, 24, v2
	v_and_b32_e32 v3, 0x700000, v3
	v_and_b32_e32 v6, 0x80000000, v6
	v_lshl_add_u32 v1, v1, 23, v7
	v_or3_b32 v1, v6, v1, v3
.LBB6_8344:                             ;   in Loop: Header=BB6_5679 Depth=3
	s_or_b64 exec, exec, s[48:49]
.LBB6_8345:                             ;   in Loop: Header=BB6_5679 Depth=3
	s_or_b64 exec, exec, s[38:39]
.LBB6_8346:                             ;   in Loop: Header=BB6_5679 Depth=3
	s_or_b64 exec, exec, s[40:41]
	v_max_f32_e32 v1, v1, v1
	v_max_f32_e32 v0, v0, v0
	v_min_f32_e32 v0, v0, v1
.LBB6_8347:                             ;   in Loop: Header=BB6_5679 Depth=3
	v_and_b32_e32 v6, 0x7f800000, v0
	v_mov_b32_e32 v7, v53
	v_cmp_ne_u64_e32 vcc, s[76:77], v[6:7]
                                        ; implicit-def: $vgpr6
	s_and_saveexec_b64 s[40:41], vcc
	s_xor_b64 s[38:39], exec, s[40:41]
	s_cbranch_execz .LBB6_8361
; %bb.8348:                             ;   in Loop: Header=BB6_5679 Depth=3
	v_and_b32_e32 v6, 0x7fffffff, v0
	v_mov_b32_e32 v7, v53
	v_cmp_gt_u64_e32 vcc, s[78:79], v[6:7]
	v_and_b32_sdwa v3, v0, s82 dst_sel:DWORD dst_unused:UNUSED_PAD src0_sel:BYTE_3 src1_sel:DWORD
                                        ; implicit-def: $vgpr6
	s_and_saveexec_b64 s[40:41], vcc
	s_xor_b64 s[48:49], exec, s[40:41]
	s_cbranch_execz .LBB6_8358
; %bb.8349:                             ;   in Loop: Header=BB6_5679 Depth=3
	v_mov_b32_e32 v6, 0
	v_cmp_ne_u32_e32 vcc, 0, v0
	s_and_saveexec_b64 s[50:51], vcc
	s_cbranch_execz .LBB6_8357
; %bb.8350:                             ;   in Loop: Header=BB6_5679 Depth=3
	v_bfe_u32 v8, v0, 23, 8
	v_and_b32_e32 v1, 0x7fffff, v0
	v_cmp_gt_u32_e64 s[40:41], s85, v8
	v_sub_u32_e32 v0, 0x79, v8
	v_cmp_eq_u32_e32 vcc, 0, v8
	v_cndmask_b32_e64 v0, 0, v0, s[40:41]
	v_mov_b32_e32 v7, 0x78
	v_or_b32_e32 v6, 0x800000, v1
	v_cndmask_b32_e32 v46, v0, v7, vcc
	v_cndmask_b32_e32 v0, v6, v1, vcc
	v_add_u32_e32 v6, 20, v46
	v_lshlrev_b64 v[6:7], v6, -1
	v_mov_b32_e32 v1, v53
	v_add_u32_e32 v31, 19, v46
	v_bfi_b32 v6, v6, 0, v0
	v_lshlrev_b64 v[31:32], v31, 1
	v_lshrrev_b64 v[0:1], v46, v[0:1]
	v_bfi_b32 v7, v7, 0, 0
	v_cmp_eq_u64_e64 s[40:41], v[6:7], v[31:32]
	v_mov_b32_e32 v7, v1
	v_mov_b32_e32 v6, v0
	s_and_saveexec_b64 s[52:53], s[40:41]
; %bb.8351:                             ;   in Loop: Header=BB6_5679 Depth=3
	v_bfe_u32 v1, v0, 20, 1
	v_add_co_u32_e64 v1, s[40:41], v0, v1
	v_add_co_u32_e64 v6, s[40:41], -1, v1
; %bb.8352:                             ;   in Loop: Header=BB6_5679 Depth=3
	s_or_b64 exec, exec, s[52:53]
	v_add_u32_e32 v1, 0xffffff81, v8
	v_mov_b32_e32 v7, 0xffffff82
	v_cndmask_b32_e32 v1, v1, v7, vcc
	v_lshrrev_b32_e32 v7, 23, v0
	v_add3_u32 v8, v46, v1, v7
	v_add_u32_e32 v7, 6, v8
	v_and_b32_e32 v1, 0xfffff, v6
	v_add_u32_e32 v0, v1, v0
	v_mov_b32_e32 v1, v53
	v_cmp_ne_u32_e32 vcc, 0, v7
                                        ; implicit-def: $vgpr6
	s_and_saveexec_b64 s[40:41], vcc
	s_xor_b64 s[40:41], exec, s[40:41]
; %bb.8353:                             ;   in Loop: Header=BB6_5679 Depth=3
	v_cmp_lt_u64_e32 vcc, s[88:89], v[0:1]
	v_add_u32_e32 v6, 7, v8
	v_cndmask_b32_e32 v6, v7, v6, vcc
	v_cndmask_b32_e64 v7, 0, 1, vcc
	v_lshrrev_b64 v[0:1], v7, v[0:1]
; %bb.8354:                             ;   in Loop: Header=BB6_5679 Depth=3
	s_andn2_saveexec_b64 s[40:41], s[40:41]
; %bb.8355:                             ;   in Loop: Header=BB6_5679 Depth=3
	v_bfe_u32 v6, v0, 23, 1
; %bb.8356:                             ;   in Loop: Header=BB6_5679 Depth=3
	s_or_b64 exec, exec, s[40:41]
	v_lshrrev_b64 v[0:1], 20, v[0:1]
	v_cmp_gt_i32_e32 vcc, 16, v6
	v_cndmask_b32_e32 v1, 0, v1, vcc
	v_cndmask_b32_e32 v0, 7, v0, vcc
	v_cmp_eq_u64_e64 s[40:41], 0, v[0:1]
	v_min_i32_e32 v1, 15, v6
	v_lshlrev_b32_e32 v1, 3, v1
	v_cmp_eq_u32_e32 vcc, 0, v6
	v_and_b32_e32 v1, 0xf8, v1
	v_and_or_b32 v0, v0, 7, v1
	s_and_b64 s[40:41], vcc, s[40:41]
	v_cndmask_b32_e64 v0, v0, 0, s[40:41]
	v_or_b32_e32 v6, v0, v3
.LBB6_8357:                             ;   in Loop: Header=BB6_5679 Depth=3
	s_or_b64 exec, exec, s[50:51]
                                        ; implicit-def: $vgpr3
.LBB6_8358:                             ;   in Loop: Header=BB6_5679 Depth=3
	s_andn2_saveexec_b64 s[40:41], s[48:49]
; %bb.8359:                             ;   in Loop: Header=BB6_5679 Depth=3
	v_or_b32_e32 v6, 0x7e, v3
; %bb.8360:                             ;   in Loop: Header=BB6_5679 Depth=3
	s_or_b64 exec, exec, s[40:41]
                                        ; implicit-def: $vgpr0
.LBB6_8361:                             ;   in Loop: Header=BB6_5679 Depth=3
	s_andn2_saveexec_b64 s[40:41], s[38:39]
; %bb.8362:                             ;   in Loop: Header=BB6_5679 Depth=3
	v_or_b32_sdwa v6, v0, s83 dst_sel:DWORD dst_unused:UNUSED_PAD src0_sel:BYTE_3 src1_sel:DWORD
; %bb.8363:                             ;   in Loop: Header=BB6_5679 Depth=3
	s_or_b64 exec, exec, s[40:41]
	v_lshrrev_b16_e32 v8, 8, v52
	v_lshrrev_b16_e32 v3, 8, v2
	v_cmp_ne_u16_e64 s[40:41], 0, v8
	s_and_b64 vcc, exec, s[28:29]
	s_mov_b64 s[38:39], -1
                                        ; implicit-def: $vgpr0
	s_cbranch_vccnz .LBB6_8377
; %bb.8364:                             ;   in Loop: Header=BB6_5679 Depth=3
	v_mov_b32_e32 v1, 0
	v_mov_b32_e32 v0, 0
	s_and_saveexec_b64 s[38:39], s[40:41]
	s_cbranch_execz .LBB6_8370
; %bb.8365:                             ;   in Loop: Header=BB6_5679 Depth=3
	v_cmp_ne_u16_e32 vcc, s82, v8
	v_bfrev_b32_e32 v0, 1
	s_and_saveexec_b64 s[48:49], vcc
	s_cbranch_execz .LBB6_8369
; %bb.8366:                             ;   in Loop: Header=BB6_5679 Depth=3
	v_and_b32_e32 v7, 0x7f, v8
	v_cmp_ne_u32_e32 vcc, s83, v7
	v_mov_b32_e32 v0, 0x7f800001
	s_and_saveexec_b64 s[50:51], vcc
	s_cbranch_execz .LBB6_8368
; %bb.8367:                             ;   in Loop: Header=BB6_5679 Depth=3
	v_and_b32_e32 v0, 7, v8
	v_lshrrev_b32_e32 v46, 3, v7
	v_cmp_gt_u32_e32 vcc, 8, v7
	v_ffbh_u32_e32 v7, v0
	v_min_u32_e32 v7, 32, v7
	v_subrev_u32_e32 v31, 28, v7
	v_lshlrev_b64 v[31:32], v31, v[8:9]
	v_sub_u32_e32 v7, 29, v7
	v_and_b32_e32 v31, 7, v31
	v_cndmask_b32_e32 v7, v46, v7, vcc
	v_cndmask_b32_e32 v0, v0, v31, vcc
	v_lshlrev_b32_e32 v31, 16, v52
	v_bfrev_b32_e32 v32, 60
	v_lshlrev_b32_e32 v0, 20, v0
	v_and_b32_e32 v31, 0x80000000, v31
	v_lshl_add_u32 v7, v7, 23, v32
	v_or3_b32 v0, v31, v7, v0
.LBB6_8368:                             ;   in Loop: Header=BB6_5679 Depth=3
	s_or_b64 exec, exec, s[50:51]
.LBB6_8369:                             ;   in Loop: Header=BB6_5679 Depth=3
	s_or_b64 exec, exec, s[48:49]
.LBB6_8370:                             ;   in Loop: Header=BB6_5679 Depth=3
	s_or_b64 exec, exec, s[38:39]
	v_cmp_ne_u16_e32 vcc, 0, v3
	s_and_saveexec_b64 s[38:39], vcc
	s_cbranch_execz .LBB6_8376
; %bb.8371:                             ;   in Loop: Header=BB6_5679 Depth=3
	v_cmp_ne_u16_e32 vcc, s82, v3
	v_bfrev_b32_e32 v1, 1
	s_and_saveexec_b64 s[48:49], vcc
	s_cbranch_execz .LBB6_8375
; %bb.8372:                             ;   in Loop: Header=BB6_5679 Depth=3
	v_and_b32_e32 v7, 0x7f, v3
	v_cmp_ne_u32_e32 vcc, s83, v7
	v_mov_b32_e32 v1, 0x7f800001
	s_and_saveexec_b64 s[50:51], vcc
	s_cbranch_execz .LBB6_8374
; %bb.8373:                             ;   in Loop: Header=BB6_5679 Depth=3
	v_and_b32_e32 v1, 7, v3
	v_lshrrev_b32_e32 v46, 3, v7
	v_cmp_gt_u32_e32 vcc, 8, v7
	v_ffbh_u32_e32 v7, v1
	v_min_u32_e32 v7, 32, v7
	v_subrev_u32_e32 v31, 28, v7
	v_lshlrev_b64 v[31:32], v31, v[3:4]
	v_sub_u32_e32 v7, 29, v7
	v_and_b32_e32 v31, 7, v31
	v_cndmask_b32_e32 v7, v46, v7, vcc
	v_cndmask_b32_e32 v1, v1, v31, vcc
	v_lshlrev_b32_e32 v31, 16, v2
	v_bfrev_b32_e32 v32, 60
	v_lshlrev_b32_e32 v1, 20, v1
	v_and_b32_e32 v31, 0x80000000, v31
	v_lshl_add_u32 v7, v7, 23, v32
	v_or3_b32 v1, v31, v7, v1
.LBB6_8374:                             ;   in Loop: Header=BB6_5679 Depth=3
	s_or_b64 exec, exec, s[50:51]
.LBB6_8375:                             ;   in Loop: Header=BB6_5679 Depth=3
	s_or_b64 exec, exec, s[48:49]
.LBB6_8376:                             ;   in Loop: Header=BB6_5679 Depth=3
	s_or_b64 exec, exec, s[38:39]
	v_max_f32_e32 v1, v1, v1
	v_max_f32_e32 v0, v0, v0
	;; [unrolled: 1-line block ×3, first 2 shown]
	s_mov_b64 s[38:39], 0
.LBB6_8377:                             ;   in Loop: Header=BB6_5679 Depth=3
	s_and_b64 vcc, exec, s[38:39]
	s_cbranch_vccz .LBB6_8391
; %bb.8378:                             ;   in Loop: Header=BB6_5679 Depth=3
	v_mov_b32_e32 v1, 0
	v_mov_b32_e32 v0, 0
	s_and_saveexec_b64 s[38:39], s[40:41]
	s_cbranch_execz .LBB6_8384
; %bb.8379:                             ;   in Loop: Header=BB6_5679 Depth=3
	v_cmp_ne_u16_e32 vcc, s82, v8
	v_bfrev_b32_e32 v0, 1
	s_and_saveexec_b64 s[40:41], vcc
	s_cbranch_execz .LBB6_8383
; %bb.8380:                             ;   in Loop: Header=BB6_5679 Depth=3
	v_and_b32_e32 v7, 0x7f, v8
	v_cmp_ne_u32_e32 vcc, s83, v7
	v_mov_b32_e32 v0, 0x7f800001
	s_and_saveexec_b64 s[48:49], vcc
	s_cbranch_execz .LBB6_8382
; %bb.8381:                             ;   in Loop: Header=BB6_5679 Depth=3
	v_and_b32_e32 v0, 7, v8
	v_lshrrev_b32_e32 v31, 3, v7
	v_cmp_gt_u32_e32 vcc, 8, v7
	v_ffbh_u32_e32 v7, v0
	v_min_u32_e32 v32, 32, v7
	v_subrev_u32_e32 v7, 28, v32
	v_lshlrev_b64 v[7:8], v7, v[8:9]
	v_sub_u32_e32 v8, 29, v32
	v_and_b32_e32 v7, 7, v7
	v_cndmask_b32_e32 v8, v31, v8, vcc
	v_cndmask_b32_e32 v0, v0, v7, vcc
	v_lshlrev_b32_e32 v7, 16, v52
	v_bfrev_b32_e32 v31, 60
	v_lshlrev_b32_e32 v0, 20, v0
	v_and_b32_e32 v7, 0x80000000, v7
	v_lshl_add_u32 v8, v8, 23, v31
	v_or3_b32 v0, v7, v8, v0
.LBB6_8382:                             ;   in Loop: Header=BB6_5679 Depth=3
	s_or_b64 exec, exec, s[48:49]
.LBB6_8383:                             ;   in Loop: Header=BB6_5679 Depth=3
	s_or_b64 exec, exec, s[40:41]
.LBB6_8384:                             ;   in Loop: Header=BB6_5679 Depth=3
	s_or_b64 exec, exec, s[38:39]
	v_cmp_ne_u16_e32 vcc, 0, v3
	s_and_saveexec_b64 s[40:41], vcc
	s_cbranch_execz .LBB6_8390
; %bb.8385:                             ;   in Loop: Header=BB6_5679 Depth=3
	v_cmp_ne_u16_e32 vcc, s82, v3
	v_bfrev_b32_e32 v1, 1
	s_and_saveexec_b64 s[38:39], vcc
	s_cbranch_execz .LBB6_8389
; %bb.8386:                             ;   in Loop: Header=BB6_5679 Depth=3
	v_and_b32_e32 v7, 0x7f, v3
	v_cmp_ne_u32_e32 vcc, s83, v7
	v_mov_b32_e32 v1, 0x7f800001
	s_and_saveexec_b64 s[48:49], vcc
	s_cbranch_execz .LBB6_8388
; %bb.8387:                             ;   in Loop: Header=BB6_5679 Depth=3
	v_and_b32_e32 v1, 7, v3
	v_lshrrev_b32_e32 v31, 3, v7
	v_cmp_gt_u32_e32 vcc, 8, v7
	v_ffbh_u32_e32 v7, v1
	v_min_u32_e32 v32, 32, v7
	v_subrev_u32_e32 v7, 28, v32
	v_lshlrev_b64 v[7:8], v7, v[3:4]
	v_sub_u32_e32 v3, 29, v32
	v_and_b32_e32 v7, 7, v7
	v_cndmask_b32_e32 v3, v31, v3, vcc
	v_cndmask_b32_e32 v1, v1, v7, vcc
	v_lshlrev_b32_e32 v2, 16, v2
	v_bfrev_b32_e32 v7, 60
	v_lshlrev_b32_e32 v1, 20, v1
	v_and_b32_e32 v2, 0x80000000, v2
	v_lshl_add_u32 v3, v3, 23, v7
	v_or3_b32 v1, v2, v3, v1
.LBB6_8388:                             ;   in Loop: Header=BB6_5679 Depth=3
	s_or_b64 exec, exec, s[48:49]
.LBB6_8389:                             ;   in Loop: Header=BB6_5679 Depth=3
	s_or_b64 exec, exec, s[38:39]
.LBB6_8390:                             ;   in Loop: Header=BB6_5679 Depth=3
	s_or_b64 exec, exec, s[40:41]
	v_max_f32_e32 v1, v1, v1
	v_max_f32_e32 v0, v0, v0
	v_min_f32_e32 v0, v0, v1
.LBB6_8391:                             ;   in Loop: Header=BB6_5679 Depth=3
	v_and_b32_e32 v52, 0x7f800000, v0
	v_cmp_ne_u64_e32 vcc, s[76:77], v[52:53]
                                        ; implicit-def: $vgpr3
	s_and_saveexec_b64 s[40:41], vcc
	s_xor_b64 s[38:39], exec, s[40:41]
	s_cbranch_execz .LBB6_8405
; %bb.8392:                             ;   in Loop: Header=BB6_5679 Depth=3
	v_and_b32_e32 v52, 0x7fffffff, v0
	v_cmp_gt_u64_e32 vcc, s[78:79], v[52:53]
	v_and_b32_sdwa v7, v0, s82 dst_sel:DWORD dst_unused:UNUSED_PAD src0_sel:BYTE_3 src1_sel:DWORD
                                        ; implicit-def: $vgpr3
	s_and_saveexec_b64 s[40:41], vcc
	s_xor_b64 s[48:49], exec, s[40:41]
	s_cbranch_execz .LBB6_8402
; %bb.8393:                             ;   in Loop: Header=BB6_5679 Depth=3
	v_mov_b32_e32 v3, 0
	v_cmp_ne_u32_e32 vcc, 0, v0
	s_and_saveexec_b64 s[50:51], vcc
	s_cbranch_execz .LBB6_8401
; %bb.8394:                             ;   in Loop: Header=BB6_5679 Depth=3
	v_bfe_u32 v3, v0, 23, 8
	v_and_b32_e32 v1, 0x7fffff, v0
	v_cmp_gt_u32_e64 s[40:41], s85, v3
	v_sub_u32_e32 v0, 0x79, v3
	v_cmp_eq_u32_e32 vcc, 0, v3
	v_cndmask_b32_e64 v0, 0, v0, s[40:41]
	v_mov_b32_e32 v8, 0x78
	v_cndmask_b32_e32 v8, v0, v8, vcc
	v_or_b32_e32 v2, 0x800000, v1
	v_add_u32_e32 v0, 20, v8
	v_cndmask_b32_e32 v52, v2, v1, vcc
	v_lshlrev_b64 v[0:1], v0, -1
	v_add_u32_e32 v2, 19, v8
	v_lshlrev_b64 v[31:32], v2, 1
	v_bfi_b32 v1, v1, 0, 0
	v_bfi_b32 v0, v0, 0, v52
	v_cmp_eq_u64_e64 s[40:41], v[0:1], v[31:32]
	v_lshrrev_b64 v[0:1], v8, v[52:53]
	v_mov_b32_e32 v2, v1
	v_mov_b32_e32 v1, v0
	s_and_saveexec_b64 s[52:53], s[40:41]
; %bb.8395:                             ;   in Loop: Header=BB6_5679 Depth=3
	v_bfe_u32 v1, v0, 20, 1
	v_add_co_u32_e64 v1, s[40:41], v0, v1
	v_add_co_u32_e64 v1, s[40:41], -1, v1
; %bb.8396:                             ;   in Loop: Header=BB6_5679 Depth=3
	s_or_b64 exec, exec, s[52:53]
	v_add_u32_e32 v2, 0xffffff81, v3
	v_mov_b32_e32 v3, 0xffffff82
	v_cndmask_b32_e32 v2, v2, v3, vcc
	v_lshrrev_b32_e32 v3, 23, v0
	v_add3_u32 v8, v8, v2, v3
	v_add_u32_e32 v3, 6, v8
	v_and_b32_e32 v1, 0xfffff, v1
	v_add_u32_e32 v52, v1, v0
	v_cmp_ne_u32_e32 vcc, 0, v3
                                        ; implicit-def: $vgpr0_vgpr1
                                        ; implicit-def: $vgpr2
	s_and_saveexec_b64 s[40:41], vcc
	s_xor_b64 s[40:41], exec, s[40:41]
; %bb.8397:                             ;   in Loop: Header=BB6_5679 Depth=3
	v_cmp_lt_u64_e32 vcc, s[88:89], v[52:53]
	v_add_u32_e32 v0, 7, v8
	v_cndmask_b32_e32 v2, v3, v0, vcc
	v_cndmask_b32_e64 v0, 0, 1, vcc
	v_lshrrev_b64 v[0:1], v0, v[52:53]
; %bb.8398:                             ;   in Loop: Header=BB6_5679 Depth=3
	s_andn2_saveexec_b64 s[40:41], s[40:41]
; %bb.8399:                             ;   in Loop: Header=BB6_5679 Depth=3
	v_mov_b32_e32 v0, v52
	v_mov_b32_e32 v1, v53
	v_bfe_u32 v2, v52, 23, 1
; %bb.8400:                             ;   in Loop: Header=BB6_5679 Depth=3
	s_or_b64 exec, exec, s[40:41]
	v_lshrrev_b64 v[0:1], 20, v[0:1]
	v_cmp_gt_i32_e32 vcc, 16, v2
	v_cndmask_b32_e32 v1, 0, v1, vcc
	v_cndmask_b32_e32 v0, 7, v0, vcc
	v_cmp_eq_u64_e64 s[40:41], 0, v[0:1]
	v_min_i32_e32 v1, 15, v2
	v_lshlrev_b32_e32 v1, 3, v1
	v_cmp_eq_u32_e32 vcc, 0, v2
	v_and_b32_e32 v1, 0xf8, v1
	v_and_or_b32 v0, v0, 7, v1
	s_and_b64 s[40:41], vcc, s[40:41]
	v_cndmask_b32_e64 v0, v0, 0, s[40:41]
	v_or_b32_e32 v3, v0, v7
.LBB6_8401:                             ;   in Loop: Header=BB6_5679 Depth=3
	s_or_b64 exec, exec, s[50:51]
                                        ; implicit-def: $vgpr7
.LBB6_8402:                             ;   in Loop: Header=BB6_5679 Depth=3
	s_andn2_saveexec_b64 s[40:41], s[48:49]
; %bb.8403:                             ;   in Loop: Header=BB6_5679 Depth=3
	v_or_b32_e32 v3, 0x7e, v7
; %bb.8404:                             ;   in Loop: Header=BB6_5679 Depth=3
	s_or_b64 exec, exec, s[40:41]
                                        ; implicit-def: $vgpr0
.LBB6_8405:                             ;   in Loop: Header=BB6_5679 Depth=3
	s_andn2_saveexec_b64 s[40:41], s[38:39]
; %bb.8406:                             ;   in Loop: Header=BB6_5679 Depth=3
	v_or_b32_sdwa v3, v0, s83 dst_sel:DWORD dst_unused:UNUSED_PAD src0_sel:BYTE_3 src1_sel:DWORD
; %bb.8407:                             ;   in Loop: Header=BB6_5679 Depth=3
	s_or_b64 exec, exec, s[40:41]
	v_lshrrev_b32_e32 v2, 16, v15
	v_lshrrev_b32_e32 v0, 16, v11
	v_cmp_ne_u16_sdwa s[40:41], v2, v53 src0_sel:BYTE_0 src1_sel:DWORD
	s_and_b64 vcc, exec, s[28:29]
	s_mov_b64 s[38:39], -1
                                        ; implicit-def: $vgpr1
	s_cbranch_vccnz .LBB6_8421
; %bb.8408:                             ;   in Loop: Header=BB6_5679 Depth=3
	v_mov_b32_e32 v7, 0
	v_mov_b32_e32 v1, 0
	s_and_saveexec_b64 s[38:39], s[40:41]
	s_cbranch_execz .LBB6_8414
; %bb.8409:                             ;   in Loop: Header=BB6_5679 Depth=3
	v_cmp_ne_u16_sdwa vcc, v2, s82 src0_sel:BYTE_0 src1_sel:DWORD
	v_bfrev_b32_e32 v1, 1
	s_and_saveexec_b64 s[48:49], vcc
	s_cbranch_execz .LBB6_8413
; %bb.8410:                             ;   in Loop: Header=BB6_5679 Depth=3
	v_bfe_u32 v8, v15, 16, 7
	v_cmp_ne_u32_e32 vcc, s83, v8
	v_mov_b32_e32 v1, 0x7f800001
	s_and_saveexec_b64 s[50:51], vcc
	s_cbranch_execz .LBB6_8412
; %bb.8411:                             ;   in Loop: Header=BB6_5679 Depth=3
	v_and_b32_e32 v1, 7, v2
	v_lshrrev_b32_e32 v52, 3, v8
	v_cmp_gt_u32_e32 vcc, 8, v8
	v_ffbh_u32_e32 v8, v1
	v_min_u32_e32 v8, 32, v8
	v_subrev_u32_e32 v31, 28, v8
	v_lshlrev_b64 v[31:32], v31, v[2:3]
	v_sub_u32_e32 v8, 29, v8
	v_and_b32_e32 v31, 7, v31
	v_cndmask_b32_e32 v8, v52, v8, vcc
	v_cndmask_b32_e32 v1, v1, v31, vcc
	v_lshlrev_b32_e32 v31, 24, v2
	v_bfrev_b32_e32 v32, 60
	v_lshlrev_b32_e32 v1, 20, v1
	v_and_b32_e32 v31, 0x80000000, v31
	v_lshl_add_u32 v8, v8, 23, v32
	v_or3_b32 v1, v31, v8, v1
.LBB6_8412:                             ;   in Loop: Header=BB6_5679 Depth=3
	s_or_b64 exec, exec, s[50:51]
.LBB6_8413:                             ;   in Loop: Header=BB6_5679 Depth=3
	s_or_b64 exec, exec, s[48:49]
.LBB6_8414:                             ;   in Loop: Header=BB6_5679 Depth=3
	s_or_b64 exec, exec, s[38:39]
	v_cmp_ne_u16_sdwa vcc, v0, v53 src0_sel:BYTE_0 src1_sel:DWORD
	s_and_saveexec_b64 s[38:39], vcc
	s_cbranch_execz .LBB6_8420
; %bb.8415:                             ;   in Loop: Header=BB6_5679 Depth=3
	v_cmp_ne_u16_sdwa vcc, v0, s82 src0_sel:BYTE_0 src1_sel:DWORD
	v_bfrev_b32_e32 v7, 1
	s_and_saveexec_b64 s[48:49], vcc
	s_cbranch_execz .LBB6_8419
; %bb.8416:                             ;   in Loop: Header=BB6_5679 Depth=3
	v_bfe_u32 v8, v11, 16, 7
	v_cmp_ne_u32_e32 vcc, s83, v8
	v_mov_b32_e32 v7, 0x7f800001
	s_and_saveexec_b64 s[50:51], vcc
	s_cbranch_execz .LBB6_8418
; %bb.8417:                             ;   in Loop: Header=BB6_5679 Depth=3
	v_and_b32_e32 v31, 7, v0
	v_ffbh_u32_e32 v7, v31
	v_min_u32_e32 v52, 32, v7
	v_subrev_u32_e32 v7, 28, v52
	v_lshrrev_b32_e32 v32, 3, v8
	v_cmp_gt_u32_e32 vcc, 8, v8
	v_lshlrev_b64 v[7:8], v7, v[0:1]
	v_sub_u32_e32 v8, 29, v52
	v_and_b32_e32 v7, 7, v7
	v_cndmask_b32_e32 v8, v32, v8, vcc
	v_cndmask_b32_e32 v7, v31, v7, vcc
	v_lshlrev_b32_e32 v31, 24, v0
	v_bfrev_b32_e32 v32, 60
	v_lshlrev_b32_e32 v7, 20, v7
	v_and_b32_e32 v31, 0x80000000, v31
	v_lshl_add_u32 v8, v8, 23, v32
	v_or3_b32 v7, v31, v8, v7
.LBB6_8418:                             ;   in Loop: Header=BB6_5679 Depth=3
	s_or_b64 exec, exec, s[50:51]
.LBB6_8419:                             ;   in Loop: Header=BB6_5679 Depth=3
	s_or_b64 exec, exec, s[48:49]
.LBB6_8420:                             ;   in Loop: Header=BB6_5679 Depth=3
	s_or_b64 exec, exec, s[38:39]
	v_max_f32_e32 v7, v7, v7
	v_max_f32_e32 v1, v1, v1
	;; [unrolled: 1-line block ×3, first 2 shown]
	s_mov_b64 s[38:39], 0
.LBB6_8421:                             ;   in Loop: Header=BB6_5679 Depth=3
	s_and_b64 vcc, exec, s[38:39]
	s_cbranch_vccz .LBB6_8435
; %bb.8422:                             ;   in Loop: Header=BB6_5679 Depth=3
	v_mov_b32_e32 v7, 0
	v_mov_b32_e32 v1, 0
	s_and_saveexec_b64 s[38:39], s[40:41]
	s_cbranch_execz .LBB6_8428
; %bb.8423:                             ;   in Loop: Header=BB6_5679 Depth=3
	v_cmp_ne_u16_sdwa vcc, v2, s82 src0_sel:BYTE_0 src1_sel:DWORD
	v_bfrev_b32_e32 v1, 1
	s_and_saveexec_b64 s[40:41], vcc
	s_cbranch_execz .LBB6_8427
; %bb.8424:                             ;   in Loop: Header=BB6_5679 Depth=3
	v_bfe_u32 v8, v15, 16, 7
	v_cmp_ne_u32_e32 vcc, s83, v8
	v_mov_b32_e32 v1, 0x7f800001
	s_and_saveexec_b64 s[48:49], vcc
	s_cbranch_execz .LBB6_8426
; %bb.8425:                             ;   in Loop: Header=BB6_5679 Depth=3
	v_and_b32_e32 v1, 7, v2
	v_lshrrev_b32_e32 v52, 3, v8
	v_cmp_gt_u32_e32 vcc, 8, v8
	v_ffbh_u32_e32 v8, v1
	v_min_u32_e32 v8, 32, v8
	v_subrev_u32_e32 v31, 28, v8
	v_lshlrev_b64 v[31:32], v31, v[2:3]
	v_sub_u32_e32 v8, 29, v8
	v_and_b32_e32 v31, 7, v31
	v_cndmask_b32_e32 v8, v52, v8, vcc
	v_cndmask_b32_e32 v1, v1, v31, vcc
	v_lshlrev_b32_e32 v2, 24, v2
	v_bfrev_b32_e32 v31, 60
	v_lshlrev_b32_e32 v1, 20, v1
	v_and_b32_e32 v2, 0x80000000, v2
	v_lshl_add_u32 v8, v8, 23, v31
	v_or3_b32 v1, v2, v8, v1
.LBB6_8426:                             ;   in Loop: Header=BB6_5679 Depth=3
	s_or_b64 exec, exec, s[48:49]
.LBB6_8427:                             ;   in Loop: Header=BB6_5679 Depth=3
	s_or_b64 exec, exec, s[40:41]
.LBB6_8428:                             ;   in Loop: Header=BB6_5679 Depth=3
	s_or_b64 exec, exec, s[38:39]
	v_cmp_ne_u16_sdwa vcc, v0, v53 src0_sel:BYTE_0 src1_sel:DWORD
	s_and_saveexec_b64 s[40:41], vcc
	s_cbranch_execz .LBB6_8434
; %bb.8429:                             ;   in Loop: Header=BB6_5679 Depth=3
	v_cmp_ne_u16_sdwa vcc, v0, s82 src0_sel:BYTE_0 src1_sel:DWORD
	v_bfrev_b32_e32 v7, 1
	s_and_saveexec_b64 s[38:39], vcc
	s_cbranch_execz .LBB6_8433
; %bb.8430:                             ;   in Loop: Header=BB6_5679 Depth=3
	v_bfe_u32 v2, v11, 16, 7
	v_cmp_ne_u32_e32 vcc, s83, v2
	v_mov_b32_e32 v7, 0x7f800001
	s_and_saveexec_b64 s[48:49], vcc
	s_cbranch_execz .LBB6_8432
; %bb.8431:                             ;   in Loop: Header=BB6_5679 Depth=3
	v_and_b32_e32 v31, 7, v0
	v_lshrrev_b32_e32 v32, 3, v2
	v_cmp_gt_u32_e32 vcc, 8, v2
	v_ffbh_u32_e32 v2, v31
	v_min_u32_e32 v2, 32, v2
	v_subrev_u32_e32 v7, 28, v2
	v_lshlrev_b64 v[7:8], v7, v[0:1]
	v_sub_u32_e32 v2, 29, v2
	v_and_b32_e32 v7, 7, v7
	v_cndmask_b32_e32 v2, v32, v2, vcc
	v_cndmask_b32_e32 v7, v31, v7, vcc
	v_lshlrev_b32_e32 v0, 24, v0
	v_bfrev_b32_e32 v8, 60
	v_lshlrev_b32_e32 v7, 20, v7
	v_and_b32_e32 v0, 0x80000000, v0
	v_lshl_add_u32 v2, v2, 23, v8
	v_or3_b32 v7, v0, v2, v7
.LBB6_8432:                             ;   in Loop: Header=BB6_5679 Depth=3
	s_or_b64 exec, exec, s[48:49]
.LBB6_8433:                             ;   in Loop: Header=BB6_5679 Depth=3
	s_or_b64 exec, exec, s[38:39]
.LBB6_8434:                             ;   in Loop: Header=BB6_5679 Depth=3
	s_or_b64 exec, exec, s[40:41]
	v_max_f32_e32 v0, v7, v7
	v_max_f32_e32 v1, v1, v1
	v_min_f32_e32 v1, v1, v0
.LBB6_8435:                             ;   in Loop: Header=BB6_5679 Depth=3
	v_and_b32_e32 v52, 0x7f800000, v1
	v_cmp_ne_u64_e32 vcc, s[76:77], v[52:53]
                                        ; implicit-def: $vgpr7
	s_and_saveexec_b64 s[40:41], vcc
	s_xor_b64 s[38:39], exec, s[40:41]
	s_cbranch_execz .LBB6_8449
; %bb.8436:                             ;   in Loop: Header=BB6_5679 Depth=3
	v_and_b32_e32 v52, 0x7fffffff, v1
	v_cmp_gt_u64_e32 vcc, s[78:79], v[52:53]
	v_and_b32_sdwa v8, v1, s82 dst_sel:DWORD dst_unused:UNUSED_PAD src0_sel:BYTE_3 src1_sel:DWORD
                                        ; implicit-def: $vgpr7
	s_and_saveexec_b64 s[40:41], vcc
	s_xor_b64 s[48:49], exec, s[40:41]
	s_cbranch_execz .LBB6_8446
; %bb.8437:                             ;   in Loop: Header=BB6_5679 Depth=3
	v_mov_b32_e32 v7, 0
	v_cmp_ne_u32_e32 vcc, 0, v1
	s_and_saveexec_b64 s[50:51], vcc
	s_cbranch_execz .LBB6_8445
; %bb.8438:                             ;   in Loop: Header=BB6_5679 Depth=3
	v_bfe_u32 v7, v1, 23, 8
	v_and_b32_e32 v0, 0x7fffff, v1
	v_cmp_gt_u32_e64 s[40:41], s85, v7
	v_sub_u32_e32 v1, 0x79, v7
	v_cmp_eq_u32_e32 vcc, 0, v7
	v_cndmask_b32_e64 v1, 0, v1, s[40:41]
	v_mov_b32_e32 v31, 0x78
	v_or_b32_e32 v2, 0x800000, v0
	v_cndmask_b32_e32 v46, v1, v31, vcc
	v_cndmask_b32_e32 v52, v2, v0, vcc
	v_add_u32_e32 v0, 20, v46
	v_lshlrev_b64 v[0:1], v0, -1
	v_add_u32_e32 v2, 19, v46
	v_lshlrev_b64 v[31:32], v2, 1
	v_bfi_b32 v1, v1, 0, 0
	v_bfi_b32 v0, v0, 0, v52
	v_cmp_eq_u64_e64 s[40:41], v[0:1], v[31:32]
	v_lshrrev_b64 v[0:1], v46, v[52:53]
	v_mov_b32_e32 v2, v1
	v_mov_b32_e32 v1, v0
	s_and_saveexec_b64 s[52:53], s[40:41]
; %bb.8439:                             ;   in Loop: Header=BB6_5679 Depth=3
	v_bfe_u32 v1, v0, 20, 1
	v_add_co_u32_e64 v1, s[40:41], v0, v1
	v_add_co_u32_e64 v1, s[40:41], -1, v1
; %bb.8440:                             ;   in Loop: Header=BB6_5679 Depth=3
	s_or_b64 exec, exec, s[52:53]
	v_add_u32_e32 v2, 0xffffff81, v7
	v_mov_b32_e32 v7, 0xffffff82
	v_cndmask_b32_e32 v2, v2, v7, vcc
	v_lshrrev_b32_e32 v7, 23, v0
	v_add3_u32 v46, v46, v2, v7
	v_add_u32_e32 v7, 6, v46
	v_and_b32_e32 v1, 0xfffff, v1
	v_add_u32_e32 v52, v1, v0
	v_cmp_ne_u32_e32 vcc, 0, v7
                                        ; implicit-def: $vgpr0_vgpr1
                                        ; implicit-def: $vgpr2
	s_and_saveexec_b64 s[40:41], vcc
	s_xor_b64 s[40:41], exec, s[40:41]
; %bb.8441:                             ;   in Loop: Header=BB6_5679 Depth=3
	v_cmp_lt_u64_e32 vcc, s[88:89], v[52:53]
	v_add_u32_e32 v0, 7, v46
	v_cndmask_b32_e32 v2, v7, v0, vcc
	v_cndmask_b32_e64 v0, 0, 1, vcc
	v_lshrrev_b64 v[0:1], v0, v[52:53]
; %bb.8442:                             ;   in Loop: Header=BB6_5679 Depth=3
	s_andn2_saveexec_b64 s[40:41], s[40:41]
; %bb.8443:                             ;   in Loop: Header=BB6_5679 Depth=3
	v_mov_b32_e32 v0, v52
	v_mov_b32_e32 v1, v53
	v_bfe_u32 v2, v52, 23, 1
; %bb.8444:                             ;   in Loop: Header=BB6_5679 Depth=3
	s_or_b64 exec, exec, s[40:41]
	v_lshrrev_b64 v[0:1], 20, v[0:1]
	v_cmp_gt_i32_e32 vcc, 16, v2
	v_cndmask_b32_e32 v1, 0, v1, vcc
	v_cndmask_b32_e32 v0, 7, v0, vcc
	v_cmp_eq_u64_e64 s[40:41], 0, v[0:1]
	v_min_i32_e32 v1, 15, v2
	v_lshlrev_b32_e32 v1, 3, v1
	v_cmp_eq_u32_e32 vcc, 0, v2
	v_and_b32_e32 v1, 0xf8, v1
	v_and_or_b32 v0, v0, 7, v1
	s_and_b64 s[40:41], vcc, s[40:41]
	v_cndmask_b32_e64 v0, v0, 0, s[40:41]
	v_or_b32_e32 v7, v0, v8
.LBB6_8445:                             ;   in Loop: Header=BB6_5679 Depth=3
	s_or_b64 exec, exec, s[50:51]
                                        ; implicit-def: $vgpr8
.LBB6_8446:                             ;   in Loop: Header=BB6_5679 Depth=3
	s_andn2_saveexec_b64 s[40:41], s[48:49]
; %bb.8447:                             ;   in Loop: Header=BB6_5679 Depth=3
	v_or_b32_e32 v7, 0x7e, v8
; %bb.8448:                             ;   in Loop: Header=BB6_5679 Depth=3
	s_or_b64 exec, exec, s[40:41]
                                        ; implicit-def: $vgpr1
.LBB6_8449:                             ;   in Loop: Header=BB6_5679 Depth=3
	s_andn2_saveexec_b64 s[40:41], s[38:39]
; %bb.8450:                             ;   in Loop: Header=BB6_5679 Depth=3
	v_or_b32_sdwa v7, v1, s83 dst_sel:DWORD dst_unused:UNUSED_PAD src0_sel:BYTE_3 src1_sel:DWORD
; %bb.8451:                             ;   in Loop: Header=BB6_5679 Depth=3
	s_or_b64 exec, exec, s[40:41]
	v_cmp_lt_u64_e64 s[40:41], s[62:63], v[14:15]
	v_lshrrev_b32_e32 v2, 24, v15
	v_lshrrev_b32_e32 v0, 24, v11
	s_and_b64 vcc, exec, s[28:29]
	s_mov_b64 s[28:29], -1
                                        ; implicit-def: $vgpr1
	s_cbranch_vccnz .LBB6_8465
; %bb.8452:                             ;   in Loop: Header=BB6_5679 Depth=3
	v_mov_b32_e32 v8, 0
	v_mov_b32_e32 v1, 0
	s_and_saveexec_b64 s[28:29], s[40:41]
	s_cbranch_execz .LBB6_8458
; %bb.8453:                             ;   in Loop: Header=BB6_5679 Depth=3
	v_cmp_ne_u32_e32 vcc, s82, v2
	v_bfrev_b32_e32 v1, 1
	s_and_saveexec_b64 s[38:39], vcc
	s_cbranch_execz .LBB6_8457
; %bb.8454:                             ;   in Loop: Header=BB6_5679 Depth=3
	v_bfe_u32 v14, v15, 24, 7
	v_cmp_ne_u32_e32 vcc, s83, v14
	v_mov_b32_e32 v1, 0x7f800001
	s_and_saveexec_b64 s[48:49], vcc
	s_cbranch_execz .LBB6_8456
; %bb.8455:                             ;   in Loop: Header=BB6_5679 Depth=3
	v_and_b32_e32 v1, 7, v2
	v_lshrrev_b32_e32 v52, 3, v14
	v_cmp_gt_u32_e32 vcc, 8, v14
	v_ffbh_u32_e32 v14, v1
	v_min_u32_e32 v14, 32, v14
	v_subrev_u32_e32 v31, 28, v14
	v_lshlrev_b64 v[31:32], v31, v[2:3]
	v_sub_u32_e32 v14, 29, v14
	v_and_b32_e32 v31, 7, v31
	v_cndmask_b32_e32 v14, v52, v14, vcc
	v_cndmask_b32_e32 v1, v1, v31, vcc
	v_lshlrev_b32_e32 v31, 24, v2
	v_bfrev_b32_e32 v32, 60
	v_lshlrev_b32_e32 v1, 20, v1
	v_and_b32_e32 v31, 0x80000000, v31
	v_lshl_add_u32 v14, v14, 23, v32
	v_or3_b32 v1, v31, v14, v1
.LBB6_8456:                             ;   in Loop: Header=BB6_5679 Depth=3
	s_or_b64 exec, exec, s[48:49]
.LBB6_8457:                             ;   in Loop: Header=BB6_5679 Depth=3
	s_or_b64 exec, exec, s[38:39]
.LBB6_8458:                             ;   in Loop: Header=BB6_5679 Depth=3
	s_or_b64 exec, exec, s[28:29]
	v_cmp_lt_u64_e32 vcc, s[62:63], v[10:11]
	s_and_saveexec_b64 s[28:29], vcc
	s_cbranch_execz .LBB6_8464
; %bb.8459:                             ;   in Loop: Header=BB6_5679 Depth=3
	v_cmp_ne_u32_e32 vcc, s82, v0
	v_bfrev_b32_e32 v8, 1
	s_and_saveexec_b64 s[38:39], vcc
	s_cbranch_execz .LBB6_8463
; %bb.8460:                             ;   in Loop: Header=BB6_5679 Depth=3
	v_bfe_u32 v14, v11, 24, 7
	v_cmp_ne_u32_e32 vcc, s83, v14
	v_mov_b32_e32 v8, 0x7f800001
	s_and_saveexec_b64 s[48:49], vcc
	s_cbranch_execz .LBB6_8462
; %bb.8461:                             ;   in Loop: Header=BB6_5679 Depth=3
	v_and_b32_e32 v8, 7, v0
	v_lshrrev_b32_e32 v52, 3, v14
	v_cmp_gt_u32_e32 vcc, 8, v14
	v_ffbh_u32_e32 v14, v8
	v_min_u32_e32 v14, 32, v14
	v_subrev_u32_e32 v31, 28, v14
	v_lshlrev_b64 v[31:32], v31, v[0:1]
	v_sub_u32_e32 v14, 29, v14
	v_and_b32_e32 v31, 7, v31
	v_cndmask_b32_e32 v14, v52, v14, vcc
	v_cndmask_b32_e32 v8, v8, v31, vcc
	v_lshlrev_b32_e32 v31, 24, v0
	v_bfrev_b32_e32 v32, 60
	v_lshlrev_b32_e32 v8, 20, v8
	v_and_b32_e32 v31, 0x80000000, v31
	v_lshl_add_u32 v14, v14, 23, v32
	v_or3_b32 v8, v31, v14, v8
.LBB6_8462:                             ;   in Loop: Header=BB6_5679 Depth=3
	s_or_b64 exec, exec, s[48:49]
.LBB6_8463:                             ;   in Loop: Header=BB6_5679 Depth=3
	s_or_b64 exec, exec, s[38:39]
.LBB6_8464:                             ;   in Loop: Header=BB6_5679 Depth=3
	s_or_b64 exec, exec, s[28:29]
	v_max_f32_e32 v8, v8, v8
	v_max_f32_e32 v1, v1, v1
	v_max_f32_e32 v1, v1, v8
	s_mov_b64 s[28:29], 0
.LBB6_8465:                             ;   in Loop: Header=BB6_5679 Depth=3
	s_and_b64 vcc, exec, s[28:29]
	s_cbranch_vccz .LBB6_8479
; %bb.8466:                             ;   in Loop: Header=BB6_5679 Depth=3
	v_mov_b32_e32 v8, 0
	v_mov_b32_e32 v1, 0
	s_and_saveexec_b64 s[28:29], s[40:41]
	s_cbranch_execz .LBB6_8472
; %bb.8467:                             ;   in Loop: Header=BB6_5679 Depth=3
	v_cmp_ne_u32_e32 vcc, s82, v2
	v_bfrev_b32_e32 v1, 1
	s_and_saveexec_b64 s[40:41], vcc
	s_cbranch_execz .LBB6_8471
; %bb.8468:                             ;   in Loop: Header=BB6_5679 Depth=3
	v_bfe_u32 v14, v15, 24, 7
	v_cmp_ne_u32_e32 vcc, s83, v14
	v_mov_b32_e32 v1, 0x7f800001
	s_and_saveexec_b64 s[38:39], vcc
	s_cbranch_execz .LBB6_8470
; %bb.8469:                             ;   in Loop: Header=BB6_5679 Depth=3
	v_and_b32_e32 v1, 7, v2
	v_lshrrev_b32_e32 v31, 3, v14
	v_cmp_gt_u32_e32 vcc, 8, v14
	v_ffbh_u32_e32 v14, v1
	v_min_u32_e32 v32, 32, v14
	v_subrev_u32_e32 v14, 28, v32
	v_lshlrev_b64 v[14:15], v14, v[2:3]
	v_sub_u32_e32 v15, 29, v32
	v_and_b32_e32 v14, 7, v14
	v_cndmask_b32_e32 v15, v31, v15, vcc
	v_cndmask_b32_e32 v1, v1, v14, vcc
	v_lshlrev_b32_e32 v2, 24, v2
	v_bfrev_b32_e32 v14, 60
	v_lshlrev_b32_e32 v1, 20, v1
	v_and_b32_e32 v2, 0x80000000, v2
	v_lshl_add_u32 v14, v15, 23, v14
	v_or3_b32 v1, v2, v14, v1
.LBB6_8470:                             ;   in Loop: Header=BB6_5679 Depth=3
	s_or_b64 exec, exec, s[38:39]
.LBB6_8471:                             ;   in Loop: Header=BB6_5679 Depth=3
	s_or_b64 exec, exec, s[40:41]
.LBB6_8472:                             ;   in Loop: Header=BB6_5679 Depth=3
	s_or_b64 exec, exec, s[28:29]
	v_cmp_lt_u64_e32 vcc, s[62:63], v[10:11]
	s_and_saveexec_b64 s[28:29], vcc
	s_cbranch_execz .LBB6_8478
; %bb.8473:                             ;   in Loop: Header=BB6_5679 Depth=3
	v_cmp_ne_u32_e32 vcc, s82, v0
	v_bfrev_b32_e32 v8, 1
	s_and_saveexec_b64 s[40:41], vcc
	s_cbranch_execz .LBB6_8477
; %bb.8474:                             ;   in Loop: Header=BB6_5679 Depth=3
	v_bfe_u32 v2, v11, 24, 7
	v_cmp_ne_u32_e32 vcc, s83, v2
	v_mov_b32_e32 v8, 0x7f800001
	s_and_saveexec_b64 s[38:39], vcc
	s_cbranch_execz .LBB6_8476
; %bb.8475:                             ;   in Loop: Header=BB6_5679 Depth=3
	v_and_b32_e32 v8, 7, v0
	v_lshrrev_b32_e32 v14, 3, v2
	v_cmp_gt_u32_e32 vcc, 8, v2
	v_ffbh_u32_e32 v2, v8
	v_min_u32_e32 v2, 32, v2
	v_subrev_u32_e32 v10, 28, v2
	v_lshlrev_b64 v[10:11], v10, v[0:1]
	v_sub_u32_e32 v2, 29, v2
	v_and_b32_e32 v10, 7, v10
	v_cndmask_b32_e32 v2, v14, v2, vcc
	v_cndmask_b32_e32 v8, v8, v10, vcc
	v_lshlrev_b32_e32 v0, 24, v0
	v_bfrev_b32_e32 v10, 60
	v_lshlrev_b32_e32 v8, 20, v8
	v_and_b32_e32 v0, 0x80000000, v0
	v_lshl_add_u32 v2, v2, 23, v10
	v_or3_b32 v8, v0, v2, v8
.LBB6_8476:                             ;   in Loop: Header=BB6_5679 Depth=3
	s_or_b64 exec, exec, s[38:39]
.LBB6_8477:                             ;   in Loop: Header=BB6_5679 Depth=3
	s_or_b64 exec, exec, s[40:41]
.LBB6_8478:                             ;   in Loop: Header=BB6_5679 Depth=3
	s_or_b64 exec, exec, s[28:29]
	v_max_f32_e32 v0, v8, v8
	v_max_f32_e32 v1, v1, v1
	v_min_f32_e32 v1, v1, v0
.LBB6_8479:                             ;   in Loop: Header=BB6_5679 Depth=3
	v_and_b32_e32 v52, 0x7f800000, v1
	v_cmp_ne_u64_e32 vcc, s[76:77], v[52:53]
                                        ; implicit-def: $vgpr0
	s_and_saveexec_b64 s[28:29], vcc
	s_xor_b64 s[40:41], exec, s[28:29]
	s_cbranch_execz .LBB6_8493
; %bb.8480:                             ;   in Loop: Header=BB6_5679 Depth=3
	v_and_b32_e32 v52, 0x7fffffff, v1
	v_cmp_gt_u64_e32 vcc, s[78:79], v[52:53]
	v_and_b32_sdwa v8, v1, s82 dst_sel:DWORD dst_unused:UNUSED_PAD src0_sel:BYTE_3 src1_sel:DWORD
                                        ; implicit-def: $vgpr0
	s_and_saveexec_b64 s[28:29], vcc
	s_xor_b64 s[38:39], exec, s[28:29]
	s_cbranch_execz .LBB6_8490
; %bb.8481:                             ;   in Loop: Header=BB6_5679 Depth=3
	v_mov_b32_e32 v0, 0
	v_cmp_ne_u32_e32 vcc, 0, v1
	s_and_saveexec_b64 s[48:49], vcc
	s_cbranch_execz .LBB6_8489
; %bb.8482:                             ;   in Loop: Header=BB6_5679 Depth=3
	v_bfe_u32 v10, v1, 23, 8
	v_and_b32_e32 v0, 0x7fffff, v1
	v_cmp_gt_u32_e64 s[28:29], s85, v10
	v_sub_u32_e32 v1, 0x79, v10
	v_cmp_eq_u32_e32 vcc, 0, v10
	v_cndmask_b32_e64 v1, 0, v1, s[28:29]
	v_mov_b32_e32 v11, 0x78
	v_or_b32_e32 v2, 0x800000, v0
	v_cndmask_b32_e32 v11, v1, v11, vcc
	v_cndmask_b32_e32 v52, v2, v0, vcc
	v_add_u32_e32 v0, 20, v11
	v_lshlrev_b64 v[0:1], v0, -1
	v_add_u32_e32 v2, 19, v11
	v_lshlrev_b64 v[14:15], v2, 1
	v_bfi_b32 v1, v1, 0, 0
	v_bfi_b32 v0, v0, 0, v52
	v_cmp_eq_u64_e64 s[28:29], v[0:1], v[14:15]
	v_lshrrev_b64 v[0:1], v11, v[52:53]
	v_mov_b32_e32 v2, v1
	v_mov_b32_e32 v1, v0
	s_and_saveexec_b64 s[50:51], s[28:29]
; %bb.8483:                             ;   in Loop: Header=BB6_5679 Depth=3
	v_bfe_u32 v1, v0, 20, 1
	v_add_co_u32_e64 v1, s[28:29], v0, v1
	v_add_co_u32_e64 v1, s[28:29], -1, v1
; %bb.8484:                             ;   in Loop: Header=BB6_5679 Depth=3
	s_or_b64 exec, exec, s[50:51]
	v_add_u32_e32 v2, 0xffffff81, v10
	v_mov_b32_e32 v10, 0xffffff82
	v_cndmask_b32_e32 v2, v2, v10, vcc
	v_lshrrev_b32_e32 v10, 23, v0
	v_add3_u32 v11, v11, v2, v10
	v_add_u32_e32 v10, 6, v11
	v_and_b32_e32 v1, 0xfffff, v1
	v_add_u32_e32 v52, v1, v0
	v_cmp_ne_u32_e32 vcc, 0, v10
                                        ; implicit-def: $vgpr0_vgpr1
                                        ; implicit-def: $vgpr2
	s_and_saveexec_b64 s[28:29], vcc
	s_xor_b64 s[28:29], exec, s[28:29]
; %bb.8485:                             ;   in Loop: Header=BB6_5679 Depth=3
	v_cmp_lt_u64_e32 vcc, s[88:89], v[52:53]
	v_add_u32_e32 v0, 7, v11
	v_cndmask_b32_e32 v2, v10, v0, vcc
	v_cndmask_b32_e64 v0, 0, 1, vcc
	v_lshrrev_b64 v[0:1], v0, v[52:53]
; %bb.8486:                             ;   in Loop: Header=BB6_5679 Depth=3
	s_andn2_saveexec_b64 s[28:29], s[28:29]
; %bb.8487:                             ;   in Loop: Header=BB6_5679 Depth=3
	v_mov_b32_e32 v0, v52
	v_mov_b32_e32 v1, v53
	v_bfe_u32 v2, v52, 23, 1
; %bb.8488:                             ;   in Loop: Header=BB6_5679 Depth=3
	s_or_b64 exec, exec, s[28:29]
	v_lshrrev_b64 v[0:1], 20, v[0:1]
	v_cmp_gt_i32_e32 vcc, 16, v2
	v_cndmask_b32_e32 v1, 0, v1, vcc
	v_cndmask_b32_e32 v0, 7, v0, vcc
	v_cmp_eq_u64_e64 s[28:29], 0, v[0:1]
	v_min_i32_e32 v1, 15, v2
	v_lshlrev_b32_e32 v1, 3, v1
	v_cmp_eq_u32_e32 vcc, 0, v2
	v_and_b32_e32 v1, 0xf8, v1
	v_and_or_b32 v0, v0, 7, v1
	s_and_b64 s[28:29], vcc, s[28:29]
	v_cndmask_b32_e64 v0, v0, 0, s[28:29]
	v_or_b32_e32 v0, v0, v8
.LBB6_8489:                             ;   in Loop: Header=BB6_5679 Depth=3
	s_or_b64 exec, exec, s[48:49]
                                        ; implicit-def: $vgpr8
.LBB6_8490:                             ;   in Loop: Header=BB6_5679 Depth=3
	s_andn2_saveexec_b64 s[28:29], s[38:39]
; %bb.8491:                             ;   in Loop: Header=BB6_5679 Depth=3
	v_or_b32_e32 v0, 0x7e, v8
; %bb.8492:                             ;   in Loop: Header=BB6_5679 Depth=3
	s_or_b64 exec, exec, s[28:29]
                                        ; implicit-def: $vgpr1
.LBB6_8493:                             ;   in Loop: Header=BB6_5679 Depth=3
	s_or_saveexec_b64 s[28:29], s[40:41]
	buffer_load_dword v15, off, s[0:3], s33 offset:108 ; 4-byte Folded Reload
	buffer_load_dword v31, off, s[0:3], s33 offset:112 ; 4-byte Folded Reload
	;; [unrolled: 1-line block ×4, first 2 shown]
	s_xor_b64 exec, exec, s[28:29]
	s_cbranch_execz .LBB6_5678
; %bb.8494:                             ;   in Loop: Header=BB6_5679 Depth=3
	v_or_b32_sdwa v0, v1, s83 dst_sel:DWORD dst_unused:UNUSED_PAD src0_sel:BYTE_3 src1_sel:DWORD
	s_branch .LBB6_5678
.LBB6_8495:                             ;   in Loop: Header=BB6_5595 Depth=2
	s_or_b64 exec, exec, s[44:45]
	buffer_load_dword v5, off, s[0:3], s33 offset:340 ; 4-byte Folded Reload
	buffer_load_dword v6, off, s[0:3], s33 offset:344 ; 4-byte Folded Reload
	;; [unrolled: 1-line block ×5, first 2 shown]
.LBB6_8496:                             ;   in Loop: Header=BB6_5595 Depth=2
	s_or_b64 exec, exec, s[42:43]
	buffer_load_dword v0, off, s[0:3], s33 offset:320 ; 4-byte Folded Reload
	s_waitcnt vmcnt(1)
	v_lshlrev_b32_e32 v20, 12, v1
	s_mov_b64 s[28:29], 0
	v_mov_b32_e32 v7, 0
                                        ; implicit-def: $vgpr3
                                        ; implicit-def: $vgpr2
	s_waitcnt vmcnt(0)
	v_cmp_ne_u32_e32 vcc, v0, v20
	s_and_saveexec_b64 s[38:39], vcc
	s_cbranch_execz .LBB6_9208
; %bb.8497:                             ;   in Loop: Header=BB6_5595 Depth=2
	buffer_load_dword v0, off, s[0:3], s33 offset:320 ; 4-byte Folded Reload
	buffer_load_dword v2, off, s[0:3], s33 offset:328 ; 4-byte Folded Reload
	s_waitcnt vmcnt(1)
	v_sub_u32_e32 v1, v0, v20
	v_lshlrev_b32_e32 v0, 6, v28
	s_waitcnt vmcnt(0)
	v_sub_u32_e32 v0, v2, v0
	v_ashrrev_i32_e32 v2, 31, v0
	v_lshrrev_b32_e32 v2, 26, v2
	v_add_u32_e32 v2, v0, v2
	v_ashrrev_i32_e32 v3, 6, v2
	v_and_b32_e32 v2, 0xffffffc0, v2
	v_sub_u32_e32 v21, v0, v2
	v_ashrrev_i32_e32 v2, 31, v1
	v_lshrrev_b32_e32 v2, 22, v2
	v_add_u32_e32 v2, v1, v2
	v_and_b32_e32 v22, 0xfffffc00, v2
	v_lshlrev_b32_e32 v0, 4, v21
	v_sub_u32_e32 v23, v1, v22
	v_lshl_add_u32 v0, v3, 10, v0
	v_ashrrev_i32_e32 v4, 10, v2
	v_cmp_lt_i32_e64 s[28:29], 15, v23
	v_sub_u32_e32 v25, v1, v0
	v_addc_co_u32_e64 v1, vcc, 0, v4, s[28:29]
	v_sub_u32_e32 v24, v1, v3
	v_cmp_lt_i32_e32 vcc, 15, v25
	s_and_saveexec_b64 s[48:49], vcc
	s_cbranch_execz .LBB6_9207
; %bb.8498:                             ;   in Loop: Header=BB6_5595 Depth=2
	v_add_u32_e32 v2, v0, v20
	buffer_load_dword v0, off, s[0:3], s33 offset:332 ; 4-byte Folded Reload
	buffer_load_dword v1, off, s[0:3], s33 offset:336 ; 4-byte Folded Reload
	v_ashrrev_i32_e32 v3, 31, v2
	s_trap 2
	s_bitcmp1_b32 s8, 0
	s_mov_b64 s[50:51], 0
	s_cselect_b64 s[52:53], -1, 0
	s_waitcnt vmcnt(1)
	v_add_co_u32_e32 v26, vcc, v2, v0
	s_waitcnt vmcnt(0)
	v_addc_co_u32_e32 v27, vcc, v3, v1, vcc
	ds_read_b64 v[0:1], v0
	v_add_co_u32_e32 v28, vcc, v2, v60
	v_addc_co_u32_e32 v29, vcc, v3, v61, vcc
	v_add_co_u32_e32 v4, vcc, v2, v5
	v_addc_co_u32_e32 v5, vcc, v3, v6, vcc
	s_waitcnt lgkmcnt(0)
	v_add_co_u32_e32 v16, vcc, v0, v2
	v_addc_co_u32_e32 v17, vcc, v1, v3, vcc
.LBB6_8499:                             ;   Parent Loop BB6_47 Depth=1
                                        ;     Parent Loop BB6_5595 Depth=2
                                        ; =>    This Loop Header: Depth=3
                                        ;         Child Loop BB6_9156 Depth 4
	global_load_dwordx4 v[8:11], v[4:5], off glc slc
	global_load_dwordx4 v[12:15], v[16:17], off glc slc
	v_bfrev_b32_e32 v3, 60
	s_mov_b64 s[44:45], -1
	s_waitcnt vmcnt(1)
	v_cmp_ne_u16_sdwa s[42:43], v8, v53 src0_sel:BYTE_0 src1_sel:DWORD
	s_waitcnt vmcnt(0)
	v_and_b32_e32 v0, 7, v12
	v_ffbh_u32_e32 v0, v0
	v_and_b32_e32 v1, 0x7f, v12
	v_min_u32_e32 v0, 32, v0
	v_bfe_u32 v2, v12, 3, 4
	v_cmp_eq_u32_e64 s[40:41], s83, v1
	v_cmp_gt_u32_e32 vcc, 8, v1
	v_subrev_u32_e32 v1, 28, v0
	v_sub_u32_e32 v0, 29, v0
	v_cndmask_b32_e32 v2, v2, v0, vcc
	v_cndmask_b32_e32 v0, 0, v1, vcc
	v_lshlrev_b64 v[0:1], v0, v[12:13]
	v_lshlrev_b32_e32 v1, 24, v12
	v_lshlrev_b32_e32 v0, 20, v0
	v_and_b32_e32 v0, 0x700000, v0
	v_and_b32_e32 v1, 0x80000000, v1
	v_lshl_add_u32 v2, v2, 23, v3
	v_or3_b32 v0, v1, v2, v0
	s_and_b64 vcc, exec, s[52:53]
                                        ; implicit-def: $vgpr1
	s_cbranch_vccz .LBB6_8513
; %bb.8500:                             ;   in Loop: Header=BB6_8499 Depth=3
	v_mov_b32_e32 v1, 0
	s_and_saveexec_b64 s[44:45], s[42:43]
	s_cbranch_execz .LBB6_8506
; %bb.8501:                             ;   in Loop: Header=BB6_8499 Depth=3
	v_cmp_ne_u16_sdwa vcc, v8, s82 src0_sel:BYTE_0 src1_sel:DWORD
	v_bfrev_b32_e32 v1, 1
	s_and_saveexec_b64 s[46:47], vcc
	s_cbranch_execz .LBB6_8505
; %bb.8502:                             ;   in Loop: Header=BB6_8499 Depth=3
	v_and_b32_e32 v2, 0x7f, v8
	v_cmp_ne_u32_e32 vcc, s83, v2
	v_mov_b32_e32 v1, 0x7f800001
	s_and_saveexec_b64 s[54:55], vcc
	s_cbranch_execz .LBB6_8504
; %bb.8503:                             ;   in Loop: Header=BB6_8499 Depth=3
	v_and_b32_e32 v1, 7, v8
	v_ffbh_u32_e32 v1, v1
	v_min_u32_e32 v1, 32, v1
	v_lshrrev_b32_e32 v3, 3, v2
	v_cmp_gt_u32_e32 vcc, 8, v2
	v_subrev_u32_e32 v2, 28, v1
	v_sub_u32_e32 v1, 29, v1
	v_cndmask_b32_e32 v3, v3, v1, vcc
	v_cndmask_b32_e32 v1, 0, v2, vcc
	v_lshlrev_b64 v[1:2], v1, v[8:9]
	v_lshlrev_b32_e32 v2, 24, v8
	v_lshlrev_b32_e32 v1, 20, v1
	v_bfrev_b32_e32 v6, 60
	v_and_b32_e32 v1, 0x700000, v1
	v_and_b32_e32 v2, 0x80000000, v2
	v_lshl_add_u32 v3, v3, 23, v6
	v_or3_b32 v1, v2, v3, v1
.LBB6_8504:                             ;   in Loop: Header=BB6_8499 Depth=3
	s_or_b64 exec, exec, s[54:55]
.LBB6_8505:                             ;   in Loop: Header=BB6_8499 Depth=3
	s_or_b64 exec, exec, s[46:47]
.LBB6_8506:                             ;   in Loop: Header=BB6_8499 Depth=3
	s_or_b64 exec, exec, s[44:45]
	v_cmp_gt_i16_sdwa s[46:47], v12, s83 src0_sel:BYTE_0 src1_sel:DWORD
	s_mov_b64 s[44:45], 0
	s_and_saveexec_b64 vcc, s[46:47]
	s_xor_b64 s[46:47], exec, vcc
	s_cbranch_execz .LBB6_9158
; %bb.8507:                             ;   in Loop: Header=BB6_8499 Depth=3
	v_cmp_eq_u16_sdwa s[54:55], v12, s82 src0_sel:BYTE_0 src1_sel:DWORD
	s_mov_b64 s[44:45], -1
	s_and_saveexec_b64 vcc, s[54:55]
; %bb.8508:                             ;   in Loop: Header=BB6_8499 Depth=3
	s_xor_b64 s[44:45], exec, -1
; %bb.8509:                             ;   in Loop: Header=BB6_8499 Depth=3
	s_or_b64 exec, exec, vcc
	s_and_b64 s[44:45], s[44:45], exec
	s_or_saveexec_b64 s[46:47], s[46:47]
	v_bfrev_b32_e32 v2, 1
	s_xor_b64 exec, exec, s[46:47]
	s_cbranch_execnz .LBB6_9159
.LBB6_8510:                             ;   in Loop: Header=BB6_8499 Depth=3
	s_or_b64 exec, exec, s[46:47]
	s_and_saveexec_b64 s[46:47], s[44:45]
.LBB6_8511:                             ;   in Loop: Header=BB6_8499 Depth=3
	v_mov_b32_e32 v2, 0x7f800001
	v_cndmask_b32_e64 v2, v0, v2, s[40:41]
.LBB6_8512:                             ;   in Loop: Header=BB6_8499 Depth=3
	s_or_b64 exec, exec, s[46:47]
	v_max_f32_e32 v2, v2, v2
	v_max_f32_e32 v1, v1, v1
	;; [unrolled: 1-line block ×3, first 2 shown]
	s_mov_b64 s[44:45], 0
.LBB6_8513:                             ;   in Loop: Header=BB6_8499 Depth=3
	s_and_b64 vcc, exec, s[44:45]
	s_cbranch_vccz .LBB6_8527
; %bb.8514:                             ;   in Loop: Header=BB6_8499 Depth=3
	v_mov_b32_e32 v1, 0
	s_and_saveexec_b64 s[44:45], s[42:43]
	s_cbranch_execz .LBB6_8520
; %bb.8515:                             ;   in Loop: Header=BB6_8499 Depth=3
	v_cmp_ne_u16_sdwa s[46:47], v8, s82 src0_sel:BYTE_0 src1_sel:DWORD
	v_bfrev_b32_e32 v1, 1
	s_and_saveexec_b64 s[42:43], s[46:47]
	s_cbranch_execz .LBB6_8519
; %bb.8516:                             ;   in Loop: Header=BB6_8499 Depth=3
	v_and_b32_e32 v2, 0x7f, v8
	v_cmp_ne_u32_e32 vcc, s83, v2
	v_mov_b32_e32 v1, 0x7f800001
	s_and_saveexec_b64 s[46:47], vcc
	s_cbranch_execz .LBB6_8518
; %bb.8517:                             ;   in Loop: Header=BB6_8499 Depth=3
	v_and_b32_e32 v1, 7, v8
	v_ffbh_u32_e32 v1, v1
	v_min_u32_e32 v1, 32, v1
	v_lshrrev_b32_e32 v3, 3, v2
	v_cmp_gt_u32_e32 vcc, 8, v2
	v_subrev_u32_e32 v2, 28, v1
	v_sub_u32_e32 v1, 29, v1
	v_cndmask_b32_e32 v3, v3, v1, vcc
	v_cndmask_b32_e32 v1, 0, v2, vcc
	v_lshlrev_b64 v[1:2], v1, v[8:9]
	v_lshlrev_b32_e32 v2, 24, v8
	v_lshlrev_b32_e32 v1, 20, v1
	v_bfrev_b32_e32 v6, 60
	v_and_b32_e32 v1, 0x700000, v1
	v_and_b32_e32 v2, 0x80000000, v2
	v_lshl_add_u32 v3, v3, 23, v6
	v_or3_b32 v1, v2, v3, v1
.LBB6_8518:                             ;   in Loop: Header=BB6_8499 Depth=3
	s_or_b64 exec, exec, s[46:47]
.LBB6_8519:                             ;   in Loop: Header=BB6_8499 Depth=3
	s_or_b64 exec, exec, s[42:43]
.LBB6_8520:                             ;   in Loop: Header=BB6_8499 Depth=3
	s_or_b64 exec, exec, s[44:45]
	v_cmp_gt_i16_sdwa s[44:45], v12, s83 src0_sel:BYTE_0 src1_sel:DWORD
	s_mov_b64 s[42:43], 0
	s_and_saveexec_b64 s[46:47], s[44:45]
	s_xor_b64 s[44:45], exec, s[46:47]
	s_cbranch_execz .LBB6_9160
; %bb.8521:                             ;   in Loop: Header=BB6_8499 Depth=3
	v_cmp_eq_u16_sdwa vcc, v12, s82 src0_sel:BYTE_0 src1_sel:DWORD
	s_mov_b64 s[42:43], -1
	s_and_saveexec_b64 s[46:47], vcc
; %bb.8522:                             ;   in Loop: Header=BB6_8499 Depth=3
	s_xor_b64 s[42:43], exec, -1
; %bb.8523:                             ;   in Loop: Header=BB6_8499 Depth=3
	s_or_b64 exec, exec, s[46:47]
	s_and_b64 s[42:43], s[42:43], exec
	s_or_saveexec_b64 s[44:45], s[44:45]
	v_bfrev_b32_e32 v2, 1
	s_xor_b64 exec, exec, s[44:45]
	s_cbranch_execnz .LBB6_9161
.LBB6_8524:                             ;   in Loop: Header=BB6_8499 Depth=3
	s_or_b64 exec, exec, s[44:45]
	s_and_saveexec_b64 s[44:45], s[42:43]
.LBB6_8525:                             ;   in Loop: Header=BB6_8499 Depth=3
	v_mov_b32_e32 v2, 0x7f800001
	v_cndmask_b32_e64 v2, v0, v2, s[40:41]
.LBB6_8526:                             ;   in Loop: Header=BB6_8499 Depth=3
	s_or_b64 exec, exec, s[44:45]
	v_max_f32_e32 v0, v2, v2
	v_max_f32_e32 v1, v1, v1
	v_min_f32_e32 v1, v1, v0
.LBB6_8527:                             ;   in Loop: Header=BB6_8499 Depth=3
	v_and_b32_e32 v52, 0x7f800000, v1
	v_cmp_ne_u64_e32 vcc, s[76:77], v[52:53]
                                        ; implicit-def: $vgpr30
	s_and_saveexec_b64 s[40:41], vcc
	s_xor_b64 s[42:43], exec, s[40:41]
	s_cbranch_execz .LBB6_8541
; %bb.8528:                             ;   in Loop: Header=BB6_8499 Depth=3
	v_and_b32_e32 v52, 0x7fffffff, v1
	v_cmp_gt_u64_e32 vcc, s[78:79], v[52:53]
	v_and_b32_sdwa v3, v1, s82 dst_sel:DWORD dst_unused:UNUSED_PAD src0_sel:BYTE_3 src1_sel:DWORD
                                        ; implicit-def: $vgpr30
	s_and_saveexec_b64 s[40:41], vcc
	s_xor_b64 s[44:45], exec, s[40:41]
	s_cbranch_execz .LBB6_8538
; %bb.8529:                             ;   in Loop: Header=BB6_8499 Depth=3
	v_mov_b32_e32 v30, 0
	v_cmp_ne_u32_e32 vcc, 0, v1
	s_and_saveexec_b64 s[46:47], vcc
	s_cbranch_execz .LBB6_8537
; %bb.8530:                             ;   in Loop: Header=BB6_8499 Depth=3
	v_bfe_u32 v6, v1, 23, 8
	v_and_b32_e32 v0, 0x7fffff, v1
	v_cmp_gt_u32_e64 s[40:41], s85, v6
	v_sub_u32_e32 v1, 0x79, v6
	v_cmp_eq_u32_e32 vcc, 0, v6
	v_cndmask_b32_e64 v1, 0, v1, s[40:41]
	v_mov_b32_e32 v7, 0x78
	v_or_b32_e32 v2, 0x800000, v0
	v_cndmask_b32_e32 v7, v1, v7, vcc
	v_cndmask_b32_e32 v52, v2, v0, vcc
	v_add_u32_e32 v0, 20, v7
	v_lshlrev_b64 v[0:1], v0, -1
	v_add_u32_e32 v2, 19, v7
	v_lshlrev_b64 v[18:19], v2, 1
	v_bfi_b32 v1, v1, 0, 0
	v_bfi_b32 v0, v0, 0, v52
	v_cmp_eq_u64_e64 s[40:41], v[0:1], v[18:19]
	v_lshrrev_b64 v[0:1], v7, v[52:53]
	v_mov_b32_e32 v2, v1
	v_mov_b32_e32 v1, v0
	s_and_saveexec_b64 s[54:55], s[40:41]
; %bb.8531:                             ;   in Loop: Header=BB6_8499 Depth=3
	v_bfe_u32 v1, v0, 20, 1
	v_add_co_u32_e64 v1, s[40:41], v0, v1
	v_add_co_u32_e64 v1, s[40:41], -1, v1
; %bb.8532:                             ;   in Loop: Header=BB6_8499 Depth=3
	s_or_b64 exec, exec, s[54:55]
	v_add_u32_e32 v2, 0xffffff81, v6
	v_mov_b32_e32 v6, 0xffffff82
	v_cndmask_b32_e32 v2, v2, v6, vcc
	v_lshrrev_b32_e32 v6, 23, v0
	v_add3_u32 v7, v7, v2, v6
	v_add_u32_e32 v6, 6, v7
	v_and_b32_e32 v1, 0xfffff, v1
	v_add_u32_e32 v52, v1, v0
	v_cmp_ne_u32_e32 vcc, 0, v6
                                        ; implicit-def: $vgpr0_vgpr1
                                        ; implicit-def: $vgpr2
	s_and_saveexec_b64 s[40:41], vcc
	s_xor_b64 s[40:41], exec, s[40:41]
; %bb.8533:                             ;   in Loop: Header=BB6_8499 Depth=3
	v_cmp_lt_u64_e32 vcc, s[88:89], v[52:53]
	v_add_u32_e32 v0, 7, v7
	v_cndmask_b32_e32 v2, v6, v0, vcc
	v_cndmask_b32_e64 v0, 0, 1, vcc
	v_lshrrev_b64 v[0:1], v0, v[52:53]
; %bb.8534:                             ;   in Loop: Header=BB6_8499 Depth=3
	s_andn2_saveexec_b64 s[40:41], s[40:41]
; %bb.8535:                             ;   in Loop: Header=BB6_8499 Depth=3
	v_mov_b32_e32 v0, v52
	v_mov_b32_e32 v1, v53
	v_bfe_u32 v2, v52, 23, 1
; %bb.8536:                             ;   in Loop: Header=BB6_8499 Depth=3
	s_or_b64 exec, exec, s[40:41]
	v_lshrrev_b64 v[0:1], 20, v[0:1]
	v_cmp_gt_i32_e32 vcc, 16, v2
	v_cndmask_b32_e32 v1, 0, v1, vcc
	v_cndmask_b32_e32 v0, 7, v0, vcc
	v_cmp_eq_u64_e64 s[40:41], 0, v[0:1]
	v_min_i32_e32 v1, 15, v2
	v_lshlrev_b32_e32 v1, 3, v1
	v_cmp_eq_u32_e32 vcc, 0, v2
	v_and_b32_e32 v1, 0xf8, v1
	v_and_or_b32 v0, v0, 7, v1
	s_and_b64 s[40:41], vcc, s[40:41]
	v_cndmask_b32_e64 v0, v0, 0, s[40:41]
	v_or_b32_e32 v30, v0, v3
.LBB6_8537:                             ;   in Loop: Header=BB6_8499 Depth=3
	s_or_b64 exec, exec, s[46:47]
                                        ; implicit-def: $vgpr3
.LBB6_8538:                             ;   in Loop: Header=BB6_8499 Depth=3
	s_andn2_saveexec_b64 s[40:41], s[44:45]
; %bb.8539:                             ;   in Loop: Header=BB6_8499 Depth=3
	v_or_b32_e32 v30, 0x7e, v3
; %bb.8540:                             ;   in Loop: Header=BB6_8499 Depth=3
	s_or_b64 exec, exec, s[40:41]
                                        ; implicit-def: $vgpr1
.LBB6_8541:                             ;   in Loop: Header=BB6_8499 Depth=3
	s_andn2_saveexec_b64 s[40:41], s[42:43]
; %bb.8542:                             ;   in Loop: Header=BB6_8499 Depth=3
	v_or_b32_sdwa v30, v1, s83 dst_sel:DWORD dst_unused:UNUSED_PAD src0_sel:BYTE_3 src1_sel:DWORD
; %bb.8543:                             ;   in Loop: Header=BB6_8499 Depth=3
	s_or_b64 exec, exec, s[40:41]
	v_lshrrev_b16_e32 v52, 8, v12
	v_and_b32_e32 v2, 7, v52
	v_and_b32_e32 v0, 0x7f, v52
	v_cmp_eq_u32_e64 s[40:41], s83, v0
	v_cmp_gt_u32_e32 vcc, 8, v0
	v_ffbh_u32_e32 v0, v2
	v_min_u32_e32 v6, 32, v0
	v_subrev_u32_e32 v0, 28, v6
	v_lshlrev_b64 v[0:1], v0, v[52:53]
	v_bfe_u32 v3, v52, 3, 4
	v_sub_u32_e32 v1, 29, v6
	v_and_b32_e32 v0, 7, v0
	v_cndmask_b32_e32 v1, v3, v1, vcc
	v_cndmask_b32_e32 v0, v2, v0, vcc
	v_lshlrev_b32_e32 v2, 24, v52
	v_bfrev_b32_e32 v3, 60
	v_lshlrev_b32_e32 v0, 20, v0
	v_and_b32_e32 v2, 0x80000000, v2
	v_lshl_add_u32 v1, v1, 23, v3
	v_or3_b32 v0, v2, v1, v0
	v_lshrrev_b16_e32 v2, 8, v8
	v_cmp_ne_u16_e64 s[42:43], 0, v2
	s_mov_b64 s[44:45], -1
	s_and_b64 vcc, exec, s[52:53]
                                        ; implicit-def: $vgpr1
	s_cbranch_vccz .LBB6_8557
; %bb.8544:                             ;   in Loop: Header=BB6_8499 Depth=3
	v_mov_b32_e32 v1, 0
	s_and_saveexec_b64 s[44:45], s[42:43]
	s_cbranch_execz .LBB6_8550
; %bb.8545:                             ;   in Loop: Header=BB6_8499 Depth=3
	v_cmp_ne_u16_e32 vcc, s82, v2
	v_bfrev_b32_e32 v1, 1
	s_and_saveexec_b64 s[46:47], vcc
	s_cbranch_execz .LBB6_8549
; %bb.8546:                             ;   in Loop: Header=BB6_8499 Depth=3
	v_and_b32_e32 v3, 0x7f, v2
	v_cmp_ne_u32_e32 vcc, s83, v3
	v_mov_b32_e32 v1, 0x7f800001
	s_and_saveexec_b64 s[54:55], vcc
	s_cbranch_execz .LBB6_8548
; %bb.8547:                             ;   in Loop: Header=BB6_8499 Depth=3
	v_and_b32_e32 v1, 7, v2
	v_lshrrev_b32_e32 v18, 3, v3
	v_cmp_gt_u32_e32 vcc, 8, v3
	v_ffbh_u32_e32 v3, v1
	v_min_u32_e32 v3, 32, v3
	v_subrev_u32_e32 v6, 28, v3
	v_lshlrev_b64 v[6:7], v6, v[2:3]
	v_sub_u32_e32 v3, 29, v3
	v_and_b32_e32 v6, 7, v6
	v_cndmask_b32_e32 v3, v18, v3, vcc
	v_cndmask_b32_e32 v1, v1, v6, vcc
	v_lshlrev_b32_e32 v6, 16, v8
	v_bfrev_b32_e32 v7, 60
	v_lshlrev_b32_e32 v1, 20, v1
	v_and_b32_e32 v6, 0x80000000, v6
	v_lshl_add_u32 v3, v3, 23, v7
	v_or3_b32 v1, v6, v3, v1
.LBB6_8548:                             ;   in Loop: Header=BB6_8499 Depth=3
	s_or_b64 exec, exec, s[54:55]
.LBB6_8549:                             ;   in Loop: Header=BB6_8499 Depth=3
	s_or_b64 exec, exec, s[46:47]
.LBB6_8550:                             ;   in Loop: Header=BB6_8499 Depth=3
	s_or_b64 exec, exec, s[44:45]
	v_cmp_lt_i16_e32 vcc, s83, v52
	s_mov_b64 s[44:45], 0
	s_and_saveexec_b64 s[46:47], vcc
	s_xor_b64 s[46:47], exec, s[46:47]
	s_cbranch_execz .LBB6_9162
; %bb.8551:                             ;   in Loop: Header=BB6_8499 Depth=3
	v_cmp_eq_u16_e32 vcc, s82, v52
	s_mov_b64 s[44:45], -1
	s_and_saveexec_b64 s[54:55], vcc
; %bb.8552:                             ;   in Loop: Header=BB6_8499 Depth=3
	s_xor_b64 s[44:45], exec, -1
; %bb.8553:                             ;   in Loop: Header=BB6_8499 Depth=3
	s_or_b64 exec, exec, s[54:55]
	s_and_b64 s[44:45], s[44:45], exec
	s_or_saveexec_b64 s[46:47], s[46:47]
	v_bfrev_b32_e32 v3, 1
	s_xor_b64 exec, exec, s[46:47]
	s_cbranch_execnz .LBB6_9163
.LBB6_8554:                             ;   in Loop: Header=BB6_8499 Depth=3
	s_or_b64 exec, exec, s[46:47]
	s_and_saveexec_b64 s[46:47], s[44:45]
.LBB6_8555:                             ;   in Loop: Header=BB6_8499 Depth=3
	v_mov_b32_e32 v3, 0x7f800001
	v_cndmask_b32_e64 v3, v0, v3, s[40:41]
.LBB6_8556:                             ;   in Loop: Header=BB6_8499 Depth=3
	s_or_b64 exec, exec, s[46:47]
	v_max_f32_e32 v3, v3, v3
	v_max_f32_e32 v1, v1, v1
	;; [unrolled: 1-line block ×3, first 2 shown]
	s_mov_b64 s[44:45], 0
.LBB6_8557:                             ;   in Loop: Header=BB6_8499 Depth=3
	s_and_b64 vcc, exec, s[44:45]
	s_cbranch_vccz .LBB6_8571
; %bb.8558:                             ;   in Loop: Header=BB6_8499 Depth=3
	v_mov_b32_e32 v1, 0
	s_and_saveexec_b64 s[44:45], s[42:43]
	s_cbranch_execz .LBB6_8564
; %bb.8559:                             ;   in Loop: Header=BB6_8499 Depth=3
	v_cmp_ne_u16_e32 vcc, s82, v2
	v_bfrev_b32_e32 v1, 1
	s_and_saveexec_b64 s[42:43], vcc
	s_cbranch_execz .LBB6_8563
; %bb.8560:                             ;   in Loop: Header=BB6_8499 Depth=3
	v_and_b32_e32 v3, 0x7f, v2
	v_cmp_ne_u32_e32 vcc, s83, v3
	v_mov_b32_e32 v1, 0x7f800001
	s_and_saveexec_b64 s[46:47], vcc
	s_cbranch_execz .LBB6_8562
; %bb.8561:                             ;   in Loop: Header=BB6_8499 Depth=3
	v_and_b32_e32 v6, 7, v2
	v_ffbh_u32_e32 v1, v6
	v_lshrrev_b32_e32 v7, 3, v3
	v_cmp_gt_u32_e32 vcc, 8, v3
	v_min_u32_e32 v3, 32, v1
	v_subrev_u32_e32 v1, 28, v3
	v_lshlrev_b64 v[1:2], v1, v[2:3]
	v_sub_u32_e32 v2, 29, v3
	v_and_b32_e32 v1, 7, v1
	v_cndmask_b32_e32 v2, v7, v2, vcc
	v_cndmask_b32_e32 v1, v6, v1, vcc
	v_lshlrev_b32_e32 v3, 16, v8
	v_bfrev_b32_e32 v6, 60
	v_lshlrev_b32_e32 v1, 20, v1
	v_and_b32_e32 v3, 0x80000000, v3
	v_lshl_add_u32 v2, v2, 23, v6
	v_or3_b32 v1, v3, v2, v1
.LBB6_8562:                             ;   in Loop: Header=BB6_8499 Depth=3
	s_or_b64 exec, exec, s[46:47]
.LBB6_8563:                             ;   in Loop: Header=BB6_8499 Depth=3
	s_or_b64 exec, exec, s[42:43]
.LBB6_8564:                             ;   in Loop: Header=BB6_8499 Depth=3
	s_or_b64 exec, exec, s[44:45]
	v_cmp_lt_i16_e32 vcc, s83, v52
	s_mov_b64 s[42:43], 0
	s_and_saveexec_b64 s[44:45], vcc
	s_xor_b64 s[44:45], exec, s[44:45]
	s_cbranch_execz .LBB6_9164
; %bb.8565:                             ;   in Loop: Header=BB6_8499 Depth=3
	v_cmp_eq_u16_e32 vcc, s82, v52
	s_mov_b64 s[42:43], -1
	s_and_saveexec_b64 s[46:47], vcc
; %bb.8566:                             ;   in Loop: Header=BB6_8499 Depth=3
	s_xor_b64 s[42:43], exec, -1
; %bb.8567:                             ;   in Loop: Header=BB6_8499 Depth=3
	s_or_b64 exec, exec, s[46:47]
	s_and_b64 s[42:43], s[42:43], exec
	s_or_saveexec_b64 s[44:45], s[44:45]
	v_bfrev_b32_e32 v2, 1
	s_xor_b64 exec, exec, s[44:45]
	s_cbranch_execnz .LBB6_9165
.LBB6_8568:                             ;   in Loop: Header=BB6_8499 Depth=3
	s_or_b64 exec, exec, s[44:45]
	s_and_saveexec_b64 s[44:45], s[42:43]
.LBB6_8569:                             ;   in Loop: Header=BB6_8499 Depth=3
	v_mov_b32_e32 v2, 0x7f800001
	v_cndmask_b32_e64 v2, v0, v2, s[40:41]
.LBB6_8570:                             ;   in Loop: Header=BB6_8499 Depth=3
	s_or_b64 exec, exec, s[44:45]
	v_max_f32_e32 v0, v2, v2
	v_max_f32_e32 v1, v1, v1
	v_min_f32_e32 v1, v1, v0
.LBB6_8571:                             ;   in Loop: Header=BB6_8499 Depth=3
	v_and_b32_e32 v52, 0x7f800000, v1
	v_cmp_ne_u64_e32 vcc, s[76:77], v[52:53]
                                        ; implicit-def: $vgpr31
	s_and_saveexec_b64 s[40:41], vcc
	s_xor_b64 s[42:43], exec, s[40:41]
	s_cbranch_execz .LBB6_8585
; %bb.8572:                             ;   in Loop: Header=BB6_8499 Depth=3
	v_and_b32_e32 v52, 0x7fffffff, v1
	v_cmp_gt_u64_e32 vcc, s[78:79], v[52:53]
	v_and_b32_sdwa v3, v1, s82 dst_sel:DWORD dst_unused:UNUSED_PAD src0_sel:BYTE_3 src1_sel:DWORD
                                        ; implicit-def: $vgpr31
	s_and_saveexec_b64 s[40:41], vcc
	s_xor_b64 s[44:45], exec, s[40:41]
	s_cbranch_execz .LBB6_8582
; %bb.8573:                             ;   in Loop: Header=BB6_8499 Depth=3
	v_mov_b32_e32 v31, 0
	v_cmp_ne_u32_e32 vcc, 0, v1
	s_and_saveexec_b64 s[46:47], vcc
	s_cbranch_execz .LBB6_8581
; %bb.8574:                             ;   in Loop: Header=BB6_8499 Depth=3
	v_bfe_u32 v6, v1, 23, 8
	v_and_b32_e32 v0, 0x7fffff, v1
	v_cmp_gt_u32_e64 s[40:41], s85, v6
	v_sub_u32_e32 v1, 0x79, v6
	v_cmp_eq_u32_e32 vcc, 0, v6
	v_cndmask_b32_e64 v1, 0, v1, s[40:41]
	v_mov_b32_e32 v7, 0x78
	v_or_b32_e32 v2, 0x800000, v0
	v_cndmask_b32_e32 v7, v1, v7, vcc
	v_cndmask_b32_e32 v52, v2, v0, vcc
	v_add_u32_e32 v0, 20, v7
	v_lshlrev_b64 v[0:1], v0, -1
	v_add_u32_e32 v2, 19, v7
	v_lshlrev_b64 v[18:19], v2, 1
	v_bfi_b32 v1, v1, 0, 0
	v_bfi_b32 v0, v0, 0, v52
	v_cmp_eq_u64_e64 s[40:41], v[0:1], v[18:19]
	v_lshrrev_b64 v[0:1], v7, v[52:53]
	v_mov_b32_e32 v2, v1
	v_mov_b32_e32 v1, v0
	s_and_saveexec_b64 s[54:55], s[40:41]
; %bb.8575:                             ;   in Loop: Header=BB6_8499 Depth=3
	v_bfe_u32 v1, v0, 20, 1
	v_add_co_u32_e64 v1, s[40:41], v0, v1
	v_add_co_u32_e64 v1, s[40:41], -1, v1
; %bb.8576:                             ;   in Loop: Header=BB6_8499 Depth=3
	s_or_b64 exec, exec, s[54:55]
	v_add_u32_e32 v2, 0xffffff81, v6
	v_mov_b32_e32 v6, 0xffffff82
	v_cndmask_b32_e32 v2, v2, v6, vcc
	v_lshrrev_b32_e32 v6, 23, v0
	v_add3_u32 v7, v7, v2, v6
	v_add_u32_e32 v6, 6, v7
	v_and_b32_e32 v1, 0xfffff, v1
	v_add_u32_e32 v52, v1, v0
	v_cmp_ne_u32_e32 vcc, 0, v6
                                        ; implicit-def: $vgpr0_vgpr1
                                        ; implicit-def: $vgpr2
	s_and_saveexec_b64 s[40:41], vcc
	s_xor_b64 s[40:41], exec, s[40:41]
; %bb.8577:                             ;   in Loop: Header=BB6_8499 Depth=3
	v_cmp_lt_u64_e32 vcc, s[88:89], v[52:53]
	v_add_u32_e32 v0, 7, v7
	v_cndmask_b32_e32 v2, v6, v0, vcc
	v_cndmask_b32_e64 v0, 0, 1, vcc
	v_lshrrev_b64 v[0:1], v0, v[52:53]
; %bb.8578:                             ;   in Loop: Header=BB6_8499 Depth=3
	s_andn2_saveexec_b64 s[40:41], s[40:41]
; %bb.8579:                             ;   in Loop: Header=BB6_8499 Depth=3
	v_mov_b32_e32 v0, v52
	v_mov_b32_e32 v1, v53
	v_bfe_u32 v2, v52, 23, 1
; %bb.8580:                             ;   in Loop: Header=BB6_8499 Depth=3
	s_or_b64 exec, exec, s[40:41]
	v_lshrrev_b64 v[0:1], 20, v[0:1]
	v_cmp_gt_i32_e32 vcc, 16, v2
	v_cndmask_b32_e32 v1, 0, v1, vcc
	v_cndmask_b32_e32 v0, 7, v0, vcc
	v_cmp_eq_u64_e64 s[40:41], 0, v[0:1]
	v_min_i32_e32 v1, 15, v2
	v_lshlrev_b32_e32 v1, 3, v1
	v_cmp_eq_u32_e32 vcc, 0, v2
	v_and_b32_e32 v1, 0xf8, v1
	v_and_or_b32 v0, v0, 7, v1
	s_and_b64 s[40:41], vcc, s[40:41]
	v_cndmask_b32_e64 v0, v0, 0, s[40:41]
	v_or_b32_e32 v31, v0, v3
.LBB6_8581:                             ;   in Loop: Header=BB6_8499 Depth=3
	s_or_b64 exec, exec, s[46:47]
                                        ; implicit-def: $vgpr3
.LBB6_8582:                             ;   in Loop: Header=BB6_8499 Depth=3
	s_andn2_saveexec_b64 s[40:41], s[44:45]
; %bb.8583:                             ;   in Loop: Header=BB6_8499 Depth=3
	v_or_b32_e32 v31, 0x7e, v3
; %bb.8584:                             ;   in Loop: Header=BB6_8499 Depth=3
	s_or_b64 exec, exec, s[40:41]
                                        ; implicit-def: $vgpr1
.LBB6_8585:                             ;   in Loop: Header=BB6_8499 Depth=3
	s_andn2_saveexec_b64 s[40:41], s[42:43]
; %bb.8586:                             ;   in Loop: Header=BB6_8499 Depth=3
	v_or_b32_sdwa v31, v1, s83 dst_sel:DWORD dst_unused:UNUSED_PAD src0_sel:BYTE_3 src1_sel:DWORD
; %bb.8587:                             ;   in Loop: Header=BB6_8499 Depth=3
	s_or_b64 exec, exec, s[40:41]
	v_bfe_u32 v3, v12, 16, 3
	v_bfe_u32 v1, v12, 16, 7
	v_cmp_eq_u32_e64 s[40:41], s83, v1
	v_cmp_gt_u32_e32 vcc, 8, v1
	v_ffbh_u32_e32 v1, v3
	v_min_u32_e32 v7, 32, v1
	v_lshrrev_b32_e32 v0, 16, v12
	v_subrev_u32_e32 v1, 28, v7
	v_lshlrev_b64 v[1:2], v1, v[0:1]
	v_bfe_u32 v6, v0, 3, 4
	v_sub_u32_e32 v2, 29, v7
	v_and_b32_e32 v1, 7, v1
	v_cndmask_b32_e32 v2, v6, v2, vcc
	v_cndmask_b32_e32 v1, v3, v1, vcc
	v_lshlrev_b32_e32 v3, 8, v12
	v_bfrev_b32_e32 v6, 60
	v_lshlrev_b32_e32 v1, 20, v1
	v_and_b32_e32 v3, 0x80000000, v3
	v_lshl_add_u32 v2, v2, 23, v6
	v_or3_b32 v1, v3, v2, v1
	v_lshrrev_b32_e32 v2, 16, v8
	v_cmp_ne_u16_sdwa s[42:43], v2, v53 src0_sel:BYTE_0 src1_sel:DWORD
	s_mov_b64 s[44:45], -1
	s_and_b64 vcc, exec, s[52:53]
                                        ; implicit-def: $vgpr6
	s_cbranch_vccz .LBB6_8601
; %bb.8588:                             ;   in Loop: Header=BB6_8499 Depth=3
	v_mov_b32_e32 v3, 0
	s_and_saveexec_b64 s[44:45], s[42:43]
	s_cbranch_execz .LBB6_8594
; %bb.8589:                             ;   in Loop: Header=BB6_8499 Depth=3
	v_cmp_ne_u16_sdwa vcc, v2, s82 src0_sel:BYTE_0 src1_sel:DWORD
	v_bfrev_b32_e32 v3, 1
	s_and_saveexec_b64 s[46:47], vcc
	s_cbranch_execz .LBB6_8593
; %bb.8590:                             ;   in Loop: Header=BB6_8499 Depth=3
	v_bfe_u32 v6, v8, 16, 7
	v_cmp_ne_u32_e32 vcc, s83, v6
	v_mov_b32_e32 v3, 0x7f800001
	s_and_saveexec_b64 s[54:55], vcc
	s_cbranch_execz .LBB6_8592
; %bb.8591:                             ;   in Loop: Header=BB6_8499 Depth=3
	v_and_b32_e32 v3, 7, v2
	v_lshrrev_b32_e32 v18, 3, v6
	v_cmp_gt_u32_e32 vcc, 8, v6
	v_ffbh_u32_e32 v6, v3
	v_min_u32_e32 v19, 32, v6
	v_subrev_u32_e32 v6, 28, v19
	v_lshlrev_b64 v[6:7], v6, v[2:3]
	v_sub_u32_e32 v7, 29, v19
	v_and_b32_e32 v6, 7, v6
	v_cndmask_b32_e32 v7, v18, v7, vcc
	v_cndmask_b32_e32 v3, v3, v6, vcc
	v_lshlrev_b32_e32 v6, 24, v2
	v_bfrev_b32_e32 v18, 60
	v_lshlrev_b32_e32 v3, 20, v3
	v_and_b32_e32 v6, 0x80000000, v6
	v_lshl_add_u32 v7, v7, 23, v18
	v_or3_b32 v3, v6, v7, v3
.LBB6_8592:                             ;   in Loop: Header=BB6_8499 Depth=3
	s_or_b64 exec, exec, s[54:55]
.LBB6_8593:                             ;   in Loop: Header=BB6_8499 Depth=3
	s_or_b64 exec, exec, s[46:47]
.LBB6_8594:                             ;   in Loop: Header=BB6_8499 Depth=3
	s_or_b64 exec, exec, s[44:45]
	v_cmp_gt_i16_sdwa s[46:47], v0, s83 src0_sel:BYTE_0 src1_sel:DWORD
	s_mov_b64 s[44:45], 0
	s_and_saveexec_b64 vcc, s[46:47]
	s_xor_b64 s[46:47], exec, vcc
	s_cbranch_execz .LBB6_9166
; %bb.8595:                             ;   in Loop: Header=BB6_8499 Depth=3
	v_cmp_eq_u16_sdwa s[54:55], v0, s82 src0_sel:BYTE_0 src1_sel:DWORD
	s_mov_b64 s[44:45], -1
	s_and_saveexec_b64 vcc, s[54:55]
; %bb.8596:                             ;   in Loop: Header=BB6_8499 Depth=3
	s_xor_b64 s[44:45], exec, -1
; %bb.8597:                             ;   in Loop: Header=BB6_8499 Depth=3
	s_or_b64 exec, exec, vcc
	s_and_b64 s[44:45], s[44:45], exec
	s_or_saveexec_b64 s[46:47], s[46:47]
	v_bfrev_b32_e32 v6, 1
	s_xor_b64 exec, exec, s[46:47]
	s_cbranch_execnz .LBB6_9167
.LBB6_8598:                             ;   in Loop: Header=BB6_8499 Depth=3
	s_or_b64 exec, exec, s[46:47]
	s_and_saveexec_b64 s[46:47], s[44:45]
.LBB6_8599:                             ;   in Loop: Header=BB6_8499 Depth=3
	v_mov_b32_e32 v6, 0x7f800001
	v_cndmask_b32_e64 v6, v1, v6, s[40:41]
.LBB6_8600:                             ;   in Loop: Header=BB6_8499 Depth=3
	s_or_b64 exec, exec, s[46:47]
	v_max_f32_e32 v6, v6, v6
	v_max_f32_e32 v3, v3, v3
	;; [unrolled: 1-line block ×3, first 2 shown]
	s_mov_b64 s[44:45], 0
.LBB6_8601:                             ;   in Loop: Header=BB6_8499 Depth=3
	s_and_b64 vcc, exec, s[44:45]
	s_cbranch_vccz .LBB6_8615
; %bb.8602:                             ;   in Loop: Header=BB6_8499 Depth=3
	v_mov_b32_e32 v3, 0
	s_and_saveexec_b64 s[44:45], s[42:43]
	s_cbranch_execz .LBB6_8608
; %bb.8603:                             ;   in Loop: Header=BB6_8499 Depth=3
	v_cmp_ne_u16_sdwa s[46:47], v2, s82 src0_sel:BYTE_0 src1_sel:DWORD
	v_bfrev_b32_e32 v3, 1
	s_and_saveexec_b64 s[42:43], s[46:47]
	s_cbranch_execz .LBB6_8607
; %bb.8604:                             ;   in Loop: Header=BB6_8499 Depth=3
	v_bfe_u32 v6, v8, 16, 7
	v_cmp_ne_u32_e32 vcc, s83, v6
	v_mov_b32_e32 v3, 0x7f800001
	s_and_saveexec_b64 s[46:47], vcc
	s_cbranch_execz .LBB6_8606
; %bb.8605:                             ;   in Loop: Header=BB6_8499 Depth=3
	v_and_b32_e32 v3, 7, v2
	v_lshrrev_b32_e32 v18, 3, v6
	v_cmp_gt_u32_e32 vcc, 8, v6
	v_ffbh_u32_e32 v6, v3
	v_min_u32_e32 v19, 32, v6
	v_subrev_u32_e32 v6, 28, v19
	v_lshlrev_b64 v[6:7], v6, v[2:3]
	v_sub_u32_e32 v7, 29, v19
	v_and_b32_e32 v6, 7, v6
	v_cndmask_b32_e32 v7, v18, v7, vcc
	v_cndmask_b32_e32 v3, v3, v6, vcc
	v_lshlrev_b32_e32 v2, 24, v2
	v_bfrev_b32_e32 v6, 60
	v_lshlrev_b32_e32 v3, 20, v3
	v_and_b32_e32 v2, 0x80000000, v2
	v_lshl_add_u32 v6, v7, 23, v6
	v_or3_b32 v3, v2, v6, v3
.LBB6_8606:                             ;   in Loop: Header=BB6_8499 Depth=3
	s_or_b64 exec, exec, s[46:47]
.LBB6_8607:                             ;   in Loop: Header=BB6_8499 Depth=3
	s_or_b64 exec, exec, s[42:43]
.LBB6_8608:                             ;   in Loop: Header=BB6_8499 Depth=3
	s_or_b64 exec, exec, s[44:45]
	v_cmp_gt_i16_sdwa s[44:45], v0, s83 src0_sel:BYTE_0 src1_sel:DWORD
	s_mov_b64 s[42:43], 0
	s_and_saveexec_b64 s[46:47], s[44:45]
	s_xor_b64 s[44:45], exec, s[46:47]
	s_cbranch_execz .LBB6_9168
; %bb.8609:                             ;   in Loop: Header=BB6_8499 Depth=3
	v_cmp_eq_u16_sdwa vcc, v0, s82 src0_sel:BYTE_0 src1_sel:DWORD
	s_mov_b64 s[42:43], -1
	s_and_saveexec_b64 s[46:47], vcc
; %bb.8610:                             ;   in Loop: Header=BB6_8499 Depth=3
	s_xor_b64 s[42:43], exec, -1
; %bb.8611:                             ;   in Loop: Header=BB6_8499 Depth=3
	s_or_b64 exec, exec, s[46:47]
	s_and_b64 s[42:43], s[42:43], exec
                                        ; implicit-def: $vgpr0
	s_or_saveexec_b64 s[44:45], s[44:45]
	v_bfrev_b32_e32 v2, 1
	s_xor_b64 exec, exec, s[44:45]
	s_cbranch_execnz .LBB6_9169
.LBB6_8612:                             ;   in Loop: Header=BB6_8499 Depth=3
	s_or_b64 exec, exec, s[44:45]
	s_and_saveexec_b64 s[44:45], s[42:43]
.LBB6_8613:                             ;   in Loop: Header=BB6_8499 Depth=3
	v_mov_b32_e32 v0, 0x7f800001
	v_cndmask_b32_e64 v2, v1, v0, s[40:41]
.LBB6_8614:                             ;   in Loop: Header=BB6_8499 Depth=3
	s_or_b64 exec, exec, s[44:45]
	v_max_f32_e32 v0, v2, v2
	v_max_f32_e32 v1, v3, v3
	v_min_f32_e32 v6, v1, v0
.LBB6_8615:                             ;   in Loop: Header=BB6_8499 Depth=3
	v_and_b32_e32 v52, 0x7f800000, v6
	v_cmp_ne_u64_e32 vcc, s[76:77], v[52:53]
                                        ; implicit-def: $vgpr32
	s_and_saveexec_b64 s[40:41], vcc
	s_xor_b64 s[42:43], exec, s[40:41]
	s_cbranch_execz .LBB6_8629
; %bb.8616:                             ;   in Loop: Header=BB6_8499 Depth=3
	v_and_b32_e32 v52, 0x7fffffff, v6
	v_cmp_gt_u64_e32 vcc, s[78:79], v[52:53]
	v_and_b32_sdwa v3, v6, s82 dst_sel:DWORD dst_unused:UNUSED_PAD src0_sel:BYTE_3 src1_sel:DWORD
                                        ; implicit-def: $vgpr32
	s_and_saveexec_b64 s[40:41], vcc
	s_xor_b64 s[44:45], exec, s[40:41]
	s_cbranch_execz .LBB6_8626
; %bb.8617:                             ;   in Loop: Header=BB6_8499 Depth=3
	v_mov_b32_e32 v32, 0
	v_cmp_ne_u32_e32 vcc, 0, v6
	s_and_saveexec_b64 s[46:47], vcc
	s_cbranch_execz .LBB6_8625
; %bb.8618:                             ;   in Loop: Header=BB6_8499 Depth=3
	v_and_b32_e32 v0, 0x7fffff, v6
	v_bfe_u32 v6, v6, 23, 8
	v_cmp_gt_u32_e64 s[40:41], s85, v6
	v_sub_u32_e32 v1, 0x79, v6
	v_cmp_eq_u32_e32 vcc, 0, v6
	v_cndmask_b32_e64 v1, 0, v1, s[40:41]
	v_mov_b32_e32 v7, 0x78
	v_or_b32_e32 v2, 0x800000, v0
	v_cndmask_b32_e32 v7, v1, v7, vcc
	v_cndmask_b32_e32 v52, v2, v0, vcc
	v_add_u32_e32 v0, 20, v7
	v_lshlrev_b64 v[0:1], v0, -1
	v_add_u32_e32 v2, 19, v7
	v_lshlrev_b64 v[18:19], v2, 1
	v_bfi_b32 v1, v1, 0, 0
	v_bfi_b32 v0, v0, 0, v52
	v_cmp_eq_u64_e64 s[40:41], v[0:1], v[18:19]
	v_lshrrev_b64 v[0:1], v7, v[52:53]
	v_mov_b32_e32 v2, v1
	v_mov_b32_e32 v1, v0
	s_and_saveexec_b64 s[54:55], s[40:41]
; %bb.8619:                             ;   in Loop: Header=BB6_8499 Depth=3
	v_bfe_u32 v1, v0, 20, 1
	v_add_co_u32_e64 v1, s[40:41], v0, v1
	v_add_co_u32_e64 v1, s[40:41], -1, v1
; %bb.8620:                             ;   in Loop: Header=BB6_8499 Depth=3
	s_or_b64 exec, exec, s[54:55]
	v_add_u32_e32 v2, 0xffffff81, v6
	v_mov_b32_e32 v6, 0xffffff82
	v_cndmask_b32_e32 v2, v2, v6, vcc
	v_lshrrev_b32_e32 v6, 23, v0
	v_add3_u32 v7, v7, v2, v6
	v_add_u32_e32 v6, 6, v7
	v_and_b32_e32 v1, 0xfffff, v1
	v_add_u32_e32 v52, v1, v0
	v_cmp_ne_u32_e32 vcc, 0, v6
                                        ; implicit-def: $vgpr0_vgpr1
                                        ; implicit-def: $vgpr2
	s_and_saveexec_b64 s[40:41], vcc
	s_xor_b64 s[40:41], exec, s[40:41]
; %bb.8621:                             ;   in Loop: Header=BB6_8499 Depth=3
	v_cmp_lt_u64_e32 vcc, s[88:89], v[52:53]
	v_add_u32_e32 v0, 7, v7
	v_cndmask_b32_e32 v2, v6, v0, vcc
	v_cndmask_b32_e64 v0, 0, 1, vcc
	v_lshrrev_b64 v[0:1], v0, v[52:53]
; %bb.8622:                             ;   in Loop: Header=BB6_8499 Depth=3
	s_andn2_saveexec_b64 s[40:41], s[40:41]
; %bb.8623:                             ;   in Loop: Header=BB6_8499 Depth=3
	v_mov_b32_e32 v0, v52
	v_mov_b32_e32 v1, v53
	v_bfe_u32 v2, v52, 23, 1
; %bb.8624:                             ;   in Loop: Header=BB6_8499 Depth=3
	s_or_b64 exec, exec, s[40:41]
	v_lshrrev_b64 v[0:1], 20, v[0:1]
	v_cmp_gt_i32_e32 vcc, 16, v2
	v_cndmask_b32_e32 v1, 0, v1, vcc
	v_cndmask_b32_e32 v0, 7, v0, vcc
	v_cmp_eq_u64_e64 s[40:41], 0, v[0:1]
	v_min_i32_e32 v1, 15, v2
	v_lshlrev_b32_e32 v1, 3, v1
	v_cmp_eq_u32_e32 vcc, 0, v2
	v_and_b32_e32 v1, 0xf8, v1
	v_and_or_b32 v0, v0, 7, v1
	s_and_b64 s[40:41], vcc, s[40:41]
	v_cndmask_b32_e64 v0, v0, 0, s[40:41]
	v_or_b32_e32 v32, v0, v3
.LBB6_8625:                             ;   in Loop: Header=BB6_8499 Depth=3
	s_or_b64 exec, exec, s[46:47]
                                        ; implicit-def: $vgpr3
.LBB6_8626:                             ;   in Loop: Header=BB6_8499 Depth=3
	s_andn2_saveexec_b64 s[40:41], s[44:45]
; %bb.8627:                             ;   in Loop: Header=BB6_8499 Depth=3
	v_or_b32_e32 v32, 0x7e, v3
; %bb.8628:                             ;   in Loop: Header=BB6_8499 Depth=3
	s_or_b64 exec, exec, s[40:41]
                                        ; implicit-def: $vgpr6
.LBB6_8629:                             ;   in Loop: Header=BB6_8499 Depth=3
	s_andn2_saveexec_b64 s[40:41], s[42:43]
; %bb.8630:                             ;   in Loop: Header=BB6_8499 Depth=3
	v_or_b32_sdwa v32, v6, s83 dst_sel:DWORD dst_unused:UNUSED_PAD src0_sel:BYTE_3 src1_sel:DWORD
; %bb.8631:                             ;   in Loop: Header=BB6_8499 Depth=3
	s_or_b64 exec, exec, s[40:41]
	v_bfe_u32 v3, v12, 24, 3
	v_bfe_u32 v2, v12, 24, 7
	v_cmp_eq_u32_e64 s[44:45], s83, v2
	v_cmp_gt_u32_e32 vcc, 8, v2
	v_ffbh_u32_e32 v2, v3
	v_min_u32_e32 v7, 32, v2
	v_lshrrev_b32_e32 v1, 24, v12
	v_subrev_u32_e32 v2, 28, v7
	v_bfe_u32 v6, v1, 3, 4
	v_cmp_eq_u32_e64 s[42:43], s82, v1
	v_lshlrev_b64 v[1:2], v2, v[1:2]
	v_sub_u32_e32 v2, 29, v7
	v_and_b32_e32 v1, 7, v1
	v_cndmask_b32_e32 v2, v6, v2, vcc
	v_cndmask_b32_e32 v1, v3, v1, vcc
	v_bfrev_b32_e32 v6, 60
	v_lshlrev_b32_e32 v1, 20, v1
	v_and_b32_e32 v3, 0x80000000, v12
	v_lshl_add_u32 v2, v2, 23, v6
	v_lshrrev_b32_e32 v0, 24, v8
	v_cmp_gt_u32_e64 s[40:41], s61, v12
	v_or3_b32 v1, v3, v2, v1
	v_cmp_lt_u32_e64 s[46:47], s63, v8
	s_mov_b64 s[54:55], -1
	s_and_b64 vcc, exec, s[52:53]
                                        ; implicit-def: $vgpr2
	s_cbranch_vccz .LBB6_8639
; %bb.8632:                             ;   in Loop: Header=BB6_8499 Depth=3
	v_mov_b32_e32 v2, 0
	s_and_saveexec_b64 s[54:55], s[46:47]
	s_cbranch_execz .LBB6_8638
; %bb.8633:                             ;   in Loop: Header=BB6_8499 Depth=3
	v_cmp_ne_u32_e32 vcc, s82, v0
	v_bfrev_b32_e32 v2, 1
	s_and_saveexec_b64 s[64:65], vcc
	s_cbranch_execz .LBB6_8637
; %bb.8634:                             ;   in Loop: Header=BB6_8499 Depth=3
	v_bfe_u32 v3, v8, 24, 7
	v_cmp_ne_u32_e32 vcc, s83, v3
	v_mov_b32_e32 v2, 0x7f800001
	s_and_saveexec_b64 s[66:67], vcc
	s_cbranch_execz .LBB6_8636
; %bb.8635:                             ;   in Loop: Header=BB6_8499 Depth=3
	v_and_b32_e32 v6, 7, v0
	v_ffbh_u32_e32 v2, v6
	v_min_u32_e32 v18, 32, v2
	v_subrev_u32_e32 v2, 28, v18
	v_lshrrev_b32_e32 v7, 3, v3
	v_cmp_gt_u32_e32 vcc, 8, v3
	v_lshlrev_b64 v[2:3], v2, v[0:1]
	v_sub_u32_e32 v3, 29, v18
	v_and_b32_e32 v2, 7, v2
	v_cndmask_b32_e32 v3, v7, v3, vcc
	v_cndmask_b32_e32 v2, v6, v2, vcc
	v_lshlrev_b32_e32 v6, 24, v0
	v_bfrev_b32_e32 v7, 60
	v_lshlrev_b32_e32 v2, 20, v2
	v_and_b32_e32 v6, 0x80000000, v6
	v_lshl_add_u32 v3, v3, 23, v7
	v_or3_b32 v2, v6, v3, v2
.LBB6_8636:                             ;   in Loop: Header=BB6_8499 Depth=3
	s_or_b64 exec, exec, s[66:67]
.LBB6_8637:                             ;   in Loop: Header=BB6_8499 Depth=3
	s_or_b64 exec, exec, s[64:65]
.LBB6_8638:                             ;   in Loop: Header=BB6_8499 Depth=3
	s_or_b64 exec, exec, s[54:55]
	v_mov_b32_e32 v3, 0x7f800001
	v_cndmask_b32_e64 v3, v1, v3, s[44:45]
	v_bfrev_b32_e32 v6, 1
	v_cndmask_b32_e64 v3, v3, v6, s[42:43]
	v_cndmask_b32_e64 v3, v3, 0, s[40:41]
	v_max_f32_e32 v3, v3, v3
	v_max_f32_e32 v2, v2, v2
	;; [unrolled: 1-line block ×3, first 2 shown]
	s_mov_b64 s[54:55], 0
.LBB6_8639:                             ;   in Loop: Header=BB6_8499 Depth=3
	s_and_b64 vcc, exec, s[54:55]
	s_cbranch_vccz .LBB6_8647
; %bb.8640:                             ;   in Loop: Header=BB6_8499 Depth=3
	v_mov_b32_e32 v2, 0
	s_and_saveexec_b64 s[54:55], s[46:47]
	s_cbranch_execz .LBB6_8646
; %bb.8641:                             ;   in Loop: Header=BB6_8499 Depth=3
	v_cmp_ne_u32_e32 vcc, s82, v0
	v_bfrev_b32_e32 v2, 1
	s_and_saveexec_b64 s[46:47], vcc
	s_cbranch_execz .LBB6_8645
; %bb.8642:                             ;   in Loop: Header=BB6_8499 Depth=3
	v_bfe_u32 v3, v8, 24, 7
	v_cmp_ne_u32_e32 vcc, s83, v3
	v_mov_b32_e32 v2, 0x7f800001
	s_and_saveexec_b64 s[64:65], vcc
	s_cbranch_execz .LBB6_8644
; %bb.8643:                             ;   in Loop: Header=BB6_8499 Depth=3
	v_and_b32_e32 v6, 7, v0
	v_ffbh_u32_e32 v2, v6
	v_min_u32_e32 v18, 32, v2
	v_subrev_u32_e32 v2, 28, v18
	v_lshrrev_b32_e32 v7, 3, v3
	v_cmp_gt_u32_e32 vcc, 8, v3
	v_lshlrev_b64 v[2:3], v2, v[0:1]
	v_sub_u32_e32 v3, 29, v18
	v_and_b32_e32 v2, 7, v2
	v_cndmask_b32_e32 v3, v7, v3, vcc
	v_cndmask_b32_e32 v2, v6, v2, vcc
	v_lshlrev_b32_e32 v0, 24, v0
	v_bfrev_b32_e32 v6, 60
	v_lshlrev_b32_e32 v2, 20, v2
	v_and_b32_e32 v0, 0x80000000, v0
	v_lshl_add_u32 v3, v3, 23, v6
	v_or3_b32 v2, v0, v3, v2
.LBB6_8644:                             ;   in Loop: Header=BB6_8499 Depth=3
	s_or_b64 exec, exec, s[64:65]
.LBB6_8645:                             ;   in Loop: Header=BB6_8499 Depth=3
	s_or_b64 exec, exec, s[46:47]
.LBB6_8646:                             ;   in Loop: Header=BB6_8499 Depth=3
	s_or_b64 exec, exec, s[54:55]
	v_mov_b32_e32 v0, 0x7f800001
	v_cndmask_b32_e64 v0, v1, v0, s[44:45]
	v_bfrev_b32_e32 v1, 1
	v_cndmask_b32_e64 v0, v0, v1, s[42:43]
	v_cndmask_b32_e64 v0, v0, 0, s[40:41]
	v_max_f32_e32 v0, v0, v0
	v_max_f32_e32 v1, v2, v2
	v_min_f32_e32 v2, v1, v0
.LBB6_8647:                             ;   in Loop: Header=BB6_8499 Depth=3
	v_and_b32_e32 v52, 0x7f800000, v2
	v_cmp_ne_u64_e32 vcc, s[76:77], v[52:53]
                                        ; implicit-def: $vgpr33
	s_and_saveexec_b64 s[40:41], vcc
	s_xor_b64 s[42:43], exec, s[40:41]
	s_cbranch_execz .LBB6_8661
; %bb.8648:                             ;   in Loop: Header=BB6_8499 Depth=3
	v_and_b32_e32 v52, 0x7fffffff, v2
	v_cmp_gt_u64_e32 vcc, s[78:79], v[52:53]
	v_and_b32_sdwa v3, v2, s82 dst_sel:DWORD dst_unused:UNUSED_PAD src0_sel:BYTE_3 src1_sel:DWORD
                                        ; implicit-def: $vgpr33
	s_and_saveexec_b64 s[40:41], vcc
	s_xor_b64 s[44:45], exec, s[40:41]
	s_cbranch_execz .LBB6_8658
; %bb.8649:                             ;   in Loop: Header=BB6_8499 Depth=3
	v_mov_b32_e32 v33, 0
	v_cmp_ne_u32_e32 vcc, 0, v2
	s_and_saveexec_b64 s[46:47], vcc
	s_cbranch_execz .LBB6_8657
; %bb.8650:                             ;   in Loop: Header=BB6_8499 Depth=3
	v_bfe_u32 v6, v2, 23, 8
	v_cmp_gt_u32_e64 s[40:41], s85, v6
	v_sub_u32_e32 v1, 0x79, v6
	v_and_b32_e32 v0, 0x7fffff, v2
	v_cmp_eq_u32_e32 vcc, 0, v6
	v_cndmask_b32_e64 v1, 0, v1, s[40:41]
	v_mov_b32_e32 v7, 0x78
	v_or_b32_e32 v2, 0x800000, v0
	v_cndmask_b32_e32 v7, v1, v7, vcc
	v_cndmask_b32_e32 v52, v2, v0, vcc
	v_add_u32_e32 v0, 20, v7
	v_lshlrev_b64 v[0:1], v0, -1
	v_add_u32_e32 v2, 19, v7
	v_lshlrev_b64 v[18:19], v2, 1
	v_bfi_b32 v1, v1, 0, 0
	v_bfi_b32 v0, v0, 0, v52
	v_cmp_eq_u64_e64 s[40:41], v[0:1], v[18:19]
	v_lshrrev_b64 v[0:1], v7, v[52:53]
	v_mov_b32_e32 v2, v1
	v_mov_b32_e32 v1, v0
	s_and_saveexec_b64 s[54:55], s[40:41]
; %bb.8651:                             ;   in Loop: Header=BB6_8499 Depth=3
	v_bfe_u32 v1, v0, 20, 1
	v_add_co_u32_e64 v1, s[40:41], v0, v1
	v_add_co_u32_e64 v1, s[40:41], -1, v1
; %bb.8652:                             ;   in Loop: Header=BB6_8499 Depth=3
	s_or_b64 exec, exec, s[54:55]
	v_add_u32_e32 v2, 0xffffff81, v6
	v_mov_b32_e32 v6, 0xffffff82
	v_cndmask_b32_e32 v2, v2, v6, vcc
	v_lshrrev_b32_e32 v6, 23, v0
	v_add3_u32 v7, v7, v2, v6
	v_add_u32_e32 v6, 6, v7
	v_and_b32_e32 v1, 0xfffff, v1
	v_add_u32_e32 v52, v1, v0
	v_cmp_ne_u32_e32 vcc, 0, v6
                                        ; implicit-def: $vgpr0_vgpr1
                                        ; implicit-def: $vgpr2
	s_and_saveexec_b64 s[40:41], vcc
	s_xor_b64 s[40:41], exec, s[40:41]
; %bb.8653:                             ;   in Loop: Header=BB6_8499 Depth=3
	v_cmp_lt_u64_e32 vcc, s[88:89], v[52:53]
	v_add_u32_e32 v0, 7, v7
	v_cndmask_b32_e32 v2, v6, v0, vcc
	v_cndmask_b32_e64 v0, 0, 1, vcc
	v_lshrrev_b64 v[0:1], v0, v[52:53]
; %bb.8654:                             ;   in Loop: Header=BB6_8499 Depth=3
	s_andn2_saveexec_b64 s[40:41], s[40:41]
; %bb.8655:                             ;   in Loop: Header=BB6_8499 Depth=3
	v_mov_b32_e32 v0, v52
	v_mov_b32_e32 v1, v53
	v_bfe_u32 v2, v52, 23, 1
; %bb.8656:                             ;   in Loop: Header=BB6_8499 Depth=3
	s_or_b64 exec, exec, s[40:41]
	v_lshrrev_b64 v[0:1], 20, v[0:1]
	v_cmp_gt_i32_e32 vcc, 16, v2
	v_cndmask_b32_e32 v1, 0, v1, vcc
	v_cndmask_b32_e32 v0, 7, v0, vcc
	v_cmp_eq_u64_e64 s[40:41], 0, v[0:1]
	v_min_i32_e32 v1, 15, v2
	v_lshlrev_b32_e32 v1, 3, v1
	v_cmp_eq_u32_e32 vcc, 0, v2
	v_and_b32_e32 v1, 0xf8, v1
	v_and_or_b32 v0, v0, 7, v1
	s_and_b64 s[40:41], vcc, s[40:41]
	v_cndmask_b32_e64 v0, v0, 0, s[40:41]
	v_or_b32_e32 v33, v0, v3
.LBB6_8657:                             ;   in Loop: Header=BB6_8499 Depth=3
	s_or_b64 exec, exec, s[46:47]
                                        ; implicit-def: $vgpr3
.LBB6_8658:                             ;   in Loop: Header=BB6_8499 Depth=3
	s_andn2_saveexec_b64 s[40:41], s[44:45]
; %bb.8659:                             ;   in Loop: Header=BB6_8499 Depth=3
	v_or_b32_e32 v33, 0x7e, v3
; %bb.8660:                             ;   in Loop: Header=BB6_8499 Depth=3
	s_or_b64 exec, exec, s[40:41]
                                        ; implicit-def: $vgpr2
.LBB6_8661:                             ;   in Loop: Header=BB6_8499 Depth=3
	s_andn2_saveexec_b64 s[40:41], s[42:43]
; %bb.8662:                             ;   in Loop: Header=BB6_8499 Depth=3
	v_or_b32_sdwa v33, v2, s83 dst_sel:DWORD dst_unused:UNUSED_PAD src0_sel:BYTE_3 src1_sel:DWORD
; %bb.8663:                             ;   in Loop: Header=BB6_8499 Depth=3
	s_or_b64 exec, exec, s[40:41]
	v_and_b32_e32 v0, 7, v13
	v_ffbh_u32_e32 v0, v0
	v_and_b32_e32 v1, 0x7f, v13
	v_min_u32_e32 v0, 32, v0
	v_bfe_u32 v2, v13, 3, 4
	v_cmp_eq_u32_e64 s[40:41], s83, v1
	v_cmp_gt_u32_e32 vcc, 8, v1
	v_subrev_u32_e32 v1, 28, v0
	v_sub_u32_e32 v0, 29, v0
	v_mov_b32_e32 v52, v13
	v_cndmask_b32_e32 v2, v2, v0, vcc
	v_cndmask_b32_e32 v0, 0, v1, vcc
	v_lshlrev_b64 v[0:1], v0, v[52:53]
	v_lshlrev_b32_e32 v1, 24, v13
	v_lshlrev_b32_e32 v0, 20, v0
	v_bfrev_b32_e32 v3, 60
	v_and_b32_e32 v0, 0x700000, v0
	v_and_b32_e32 v1, 0x80000000, v1
	v_lshl_add_u32 v2, v2, 23, v3
	v_or3_b32 v0, v1, v2, v0
	v_mov_b32_e32 v2, v9
	v_mov_b32_e32 v3, v53
	v_cmp_ne_u16_sdwa s[42:43], v9, v53 src0_sel:BYTE_0 src1_sel:DWORD
	s_mov_b64 s[44:45], -1
	s_and_b64 vcc, exec, s[52:53]
                                        ; implicit-def: $vgpr1
	s_cbranch_vccz .LBB6_8677
; %bb.8664:                             ;   in Loop: Header=BB6_8499 Depth=3
	v_mov_b32_e32 v1, 0
	s_and_saveexec_b64 s[44:45], s[42:43]
	s_cbranch_execz .LBB6_8670
; %bb.8665:                             ;   in Loop: Header=BB6_8499 Depth=3
	v_cmp_ne_u16_sdwa vcc, v9, s82 src0_sel:BYTE_0 src1_sel:DWORD
	v_bfrev_b32_e32 v1, 1
	s_and_saveexec_b64 s[46:47], vcc
	s_cbranch_execz .LBB6_8669
; %bb.8666:                             ;   in Loop: Header=BB6_8499 Depth=3
	v_and_b32_e32 v6, 0x7f, v9
	v_cmp_ne_u32_e32 vcc, s83, v6
	v_mov_b32_e32 v1, 0x7f800001
	s_and_saveexec_b64 s[54:55], vcc
	s_cbranch_execz .LBB6_8668
; %bb.8667:                             ;   in Loop: Header=BB6_8499 Depth=3
	v_and_b32_e32 v1, 7, v9
	v_ffbh_u32_e32 v1, v1
	v_min_u32_e32 v1, 32, v1
	v_lshrrev_b32_e32 v7, 3, v6
	v_cmp_gt_u32_e32 vcc, 8, v6
	v_subrev_u32_e32 v6, 28, v1
	v_sub_u32_e32 v1, 29, v1
	v_cndmask_b32_e32 v6, 0, v6, vcc
	v_cndmask_b32_e32 v1, v7, v1, vcc
	v_lshlrev_b64 v[6:7], v6, v[2:3]
	v_lshlrev_b32_e32 v7, 24, v2
	v_lshlrev_b32_e32 v6, 20, v6
	v_bfrev_b32_e32 v18, 60
	v_and_b32_e32 v6, 0x700000, v6
	v_and_b32_e32 v7, 0x80000000, v7
	v_lshl_add_u32 v1, v1, 23, v18
	v_or3_b32 v1, v7, v1, v6
.LBB6_8668:                             ;   in Loop: Header=BB6_8499 Depth=3
	s_or_b64 exec, exec, s[54:55]
.LBB6_8669:                             ;   in Loop: Header=BB6_8499 Depth=3
	s_or_b64 exec, exec, s[46:47]
.LBB6_8670:                             ;   in Loop: Header=BB6_8499 Depth=3
	s_or_b64 exec, exec, s[44:45]
	v_cmp_gt_i16_sdwa s[46:47], v13, s83 src0_sel:BYTE_0 src1_sel:DWORD
	s_mov_b64 s[44:45], 0
	s_and_saveexec_b64 vcc, s[46:47]
	s_xor_b64 s[46:47], exec, vcc
	s_cbranch_execz .LBB6_9170
; %bb.8671:                             ;   in Loop: Header=BB6_8499 Depth=3
	v_cmp_eq_u16_sdwa s[54:55], v13, s82 src0_sel:BYTE_0 src1_sel:DWORD
	s_mov_b64 s[44:45], -1
	s_and_saveexec_b64 vcc, s[54:55]
; %bb.8672:                             ;   in Loop: Header=BB6_8499 Depth=3
	s_xor_b64 s[44:45], exec, -1
; %bb.8673:                             ;   in Loop: Header=BB6_8499 Depth=3
	s_or_b64 exec, exec, vcc
	s_and_b64 s[44:45], s[44:45], exec
	s_or_saveexec_b64 s[46:47], s[46:47]
	v_bfrev_b32_e32 v6, 1
	s_xor_b64 exec, exec, s[46:47]
	s_cbranch_execnz .LBB6_9171
.LBB6_8674:                             ;   in Loop: Header=BB6_8499 Depth=3
	s_or_b64 exec, exec, s[46:47]
	s_and_saveexec_b64 s[46:47], s[44:45]
.LBB6_8675:                             ;   in Loop: Header=BB6_8499 Depth=3
	v_mov_b32_e32 v6, 0x7f800001
	v_cndmask_b32_e64 v6, v0, v6, s[40:41]
.LBB6_8676:                             ;   in Loop: Header=BB6_8499 Depth=3
	s_or_b64 exec, exec, s[46:47]
	v_max_f32_e32 v6, v6, v6
	v_max_f32_e32 v1, v1, v1
	;; [unrolled: 1-line block ×3, first 2 shown]
	s_mov_b64 s[44:45], 0
.LBB6_8677:                             ;   in Loop: Header=BB6_8499 Depth=3
	s_and_b64 vcc, exec, s[44:45]
	s_cbranch_vccz .LBB6_8691
; %bb.8678:                             ;   in Loop: Header=BB6_8499 Depth=3
	v_mov_b32_e32 v1, 0
	s_and_saveexec_b64 s[44:45], s[42:43]
	s_cbranch_execz .LBB6_8684
; %bb.8679:                             ;   in Loop: Header=BB6_8499 Depth=3
	v_cmp_ne_u16_sdwa s[46:47], v9, s82 src0_sel:BYTE_0 src1_sel:DWORD
	v_bfrev_b32_e32 v1, 1
	s_and_saveexec_b64 s[42:43], s[46:47]
	s_cbranch_execz .LBB6_8683
; %bb.8680:                             ;   in Loop: Header=BB6_8499 Depth=3
	v_and_b32_e32 v6, 0x7f, v9
	v_cmp_ne_u32_e32 vcc, s83, v6
	v_mov_b32_e32 v1, 0x7f800001
	s_and_saveexec_b64 s[46:47], vcc
	s_cbranch_execz .LBB6_8682
; %bb.8681:                             ;   in Loop: Header=BB6_8499 Depth=3
	v_and_b32_e32 v1, 7, v9
	v_ffbh_u32_e32 v1, v1
	v_min_u32_e32 v1, 32, v1
	v_lshrrev_b32_e32 v7, 3, v6
	v_cmp_gt_u32_e32 vcc, 8, v6
	v_subrev_u32_e32 v6, 28, v1
	v_sub_u32_e32 v1, 29, v1
	v_cndmask_b32_e32 v6, 0, v6, vcc
	v_cndmask_b32_e32 v1, v7, v1, vcc
	v_lshlrev_b64 v[6:7], v6, v[2:3]
	v_bfrev_b32_e32 v7, 60
	v_lshlrev_b32_e32 v3, 20, v6
	v_lshlrev_b32_e32 v6, 24, v2
	v_and_b32_e32 v3, 0x700000, v3
	v_and_b32_e32 v6, 0x80000000, v6
	v_lshl_add_u32 v1, v1, 23, v7
	v_or3_b32 v1, v6, v1, v3
.LBB6_8682:                             ;   in Loop: Header=BB6_8499 Depth=3
	s_or_b64 exec, exec, s[46:47]
.LBB6_8683:                             ;   in Loop: Header=BB6_8499 Depth=3
	s_or_b64 exec, exec, s[42:43]
.LBB6_8684:                             ;   in Loop: Header=BB6_8499 Depth=3
	s_or_b64 exec, exec, s[44:45]
	v_cmp_gt_i16_sdwa s[44:45], v13, s83 src0_sel:BYTE_0 src1_sel:DWORD
	s_mov_b64 s[42:43], 0
	s_and_saveexec_b64 s[46:47], s[44:45]
	s_xor_b64 s[44:45], exec, s[46:47]
	s_cbranch_execz .LBB6_9172
; %bb.8685:                             ;   in Loop: Header=BB6_8499 Depth=3
	v_cmp_eq_u16_sdwa vcc, v13, s82 src0_sel:BYTE_0 src1_sel:DWORD
	s_mov_b64 s[42:43], -1
	s_and_saveexec_b64 s[46:47], vcc
; %bb.8686:                             ;   in Loop: Header=BB6_8499 Depth=3
	s_xor_b64 s[42:43], exec, -1
; %bb.8687:                             ;   in Loop: Header=BB6_8499 Depth=3
	s_or_b64 exec, exec, s[46:47]
	s_and_b64 s[42:43], s[42:43], exec
	s_or_saveexec_b64 s[44:45], s[44:45]
	v_bfrev_b32_e32 v3, 1
	s_xor_b64 exec, exec, s[44:45]
	s_cbranch_execnz .LBB6_9173
.LBB6_8688:                             ;   in Loop: Header=BB6_8499 Depth=3
	s_or_b64 exec, exec, s[44:45]
	s_and_saveexec_b64 s[44:45], s[42:43]
.LBB6_8689:                             ;   in Loop: Header=BB6_8499 Depth=3
	v_mov_b32_e32 v3, 0x7f800001
	v_cndmask_b32_e64 v3, v0, v3, s[40:41]
.LBB6_8690:                             ;   in Loop: Header=BB6_8499 Depth=3
	s_or_b64 exec, exec, s[44:45]
	v_max_f32_e32 v0, v3, v3
	v_max_f32_e32 v1, v1, v1
	v_min_f32_e32 v1, v1, v0
.LBB6_8691:                             ;   in Loop: Header=BB6_8499 Depth=3
	v_and_b32_e32 v6, 0x7f800000, v1
	v_mov_b32_e32 v7, v53
	v_cmp_ne_u64_e32 vcc, s[76:77], v[6:7]
                                        ; implicit-def: $vgpr18
	s_and_saveexec_b64 s[40:41], vcc
	s_xor_b64 s[42:43], exec, s[40:41]
	s_cbranch_execz .LBB6_8705
; %bb.8692:                             ;   in Loop: Header=BB6_8499 Depth=3
	v_and_b32_e32 v6, 0x7fffffff, v1
	v_mov_b32_e32 v7, v53
	v_cmp_gt_u64_e32 vcc, s[78:79], v[6:7]
	v_and_b32_sdwa v3, v1, s82 dst_sel:DWORD dst_unused:UNUSED_PAD src0_sel:BYTE_3 src1_sel:DWORD
                                        ; implicit-def: $vgpr18
	s_and_saveexec_b64 s[40:41], vcc
	s_xor_b64 s[44:45], exec, s[40:41]
	s_cbranch_execz .LBB6_8702
; %bb.8693:                             ;   in Loop: Header=BB6_8499 Depth=3
	v_mov_b32_e32 v18, 0
	v_cmp_ne_u32_e32 vcc, 0, v1
	s_and_saveexec_b64 s[46:47], vcc
	s_cbranch_execz .LBB6_8701
; %bb.8694:                             ;   in Loop: Header=BB6_8499 Depth=3
	v_bfe_u32 v18, v1, 23, 8
	v_and_b32_e32 v0, 0x7fffff, v1
	v_cmp_gt_u32_e64 s[40:41], s85, v18
	v_sub_u32_e32 v1, 0x79, v18
	v_cmp_eq_u32_e32 vcc, 0, v18
	v_cndmask_b32_e64 v1, 0, v1, s[40:41]
	v_mov_b32_e32 v7, 0x78
	v_or_b32_e32 v6, 0x800000, v0
	v_cndmask_b32_e32 v19, v1, v7, vcc
	v_cndmask_b32_e32 v0, v6, v0, vcc
	v_add_u32_e32 v6, 20, v19
	v_lshlrev_b64 v[6:7], v6, -1
	v_mov_b32_e32 v1, v53
	v_add_u32_e32 v34, 19, v19
	v_bfi_b32 v6, v6, 0, v0
	v_lshlrev_b64 v[34:35], v34, 1
	v_lshrrev_b64 v[0:1], v19, v[0:1]
	v_bfi_b32 v7, v7, 0, 0
	v_cmp_eq_u64_e64 s[40:41], v[6:7], v[34:35]
	v_mov_b32_e32 v7, v1
	v_mov_b32_e32 v6, v0
	s_and_saveexec_b64 s[54:55], s[40:41]
; %bb.8695:                             ;   in Loop: Header=BB6_8499 Depth=3
	v_bfe_u32 v1, v0, 20, 1
	v_add_co_u32_e64 v1, s[40:41], v0, v1
	v_add_co_u32_e64 v6, s[40:41], -1, v1
; %bb.8696:                             ;   in Loop: Header=BB6_8499 Depth=3
	s_or_b64 exec, exec, s[54:55]
	v_add_u32_e32 v1, 0xffffff81, v18
	v_mov_b32_e32 v7, 0xffffff82
	v_cndmask_b32_e32 v1, v1, v7, vcc
	v_lshrrev_b32_e32 v7, 23, v0
	v_add3_u32 v7, v19, v1, v7
	v_add_u32_e32 v1, 6, v7
	v_and_b32_e32 v6, 0xfffff, v6
	v_add_u32_e32 v18, v6, v0
	v_mov_b32_e32 v19, v53
	v_cmp_ne_u32_e32 vcc, 0, v1
                                        ; implicit-def: $vgpr0
	s_and_saveexec_b64 s[40:41], vcc
	s_xor_b64 s[40:41], exec, s[40:41]
; %bb.8697:                             ;   in Loop: Header=BB6_8499 Depth=3
	v_cmp_lt_u64_e32 vcc, s[88:89], v[18:19]
	v_add_u32_e32 v0, 7, v7
	v_cndmask_b32_e32 v0, v1, v0, vcc
	v_cndmask_b32_e64 v1, 0, 1, vcc
	v_lshrrev_b64 v[18:19], v1, v[18:19]
; %bb.8698:                             ;   in Loop: Header=BB6_8499 Depth=3
	s_andn2_saveexec_b64 s[40:41], s[40:41]
; %bb.8699:                             ;   in Loop: Header=BB6_8499 Depth=3
	v_bfe_u32 v0, v18, 23, 1
; %bb.8700:                             ;   in Loop: Header=BB6_8499 Depth=3
	s_or_b64 exec, exec, s[40:41]
	v_lshrrev_b64 v[6:7], 20, v[18:19]
	v_cmp_gt_i32_e32 vcc, 16, v0
	v_cndmask_b32_e32 v7, 0, v7, vcc
	v_cndmask_b32_e32 v6, 7, v6, vcc
	v_cmp_eq_u32_e32 vcc, 0, v0
	v_min_i32_e32 v0, 15, v0
	v_cmp_eq_u64_e64 s[40:41], 0, v[6:7]
	v_lshlrev_b32_e32 v0, 3, v0
	v_and_b32_e32 v0, 0xf8, v0
	v_and_or_b32 v0, v6, 7, v0
	s_and_b64 s[40:41], vcc, s[40:41]
	v_cndmask_b32_e64 v0, v0, 0, s[40:41]
	v_or_b32_e32 v18, v0, v3
.LBB6_8701:                             ;   in Loop: Header=BB6_8499 Depth=3
	s_or_b64 exec, exec, s[46:47]
                                        ; implicit-def: $vgpr3
.LBB6_8702:                             ;   in Loop: Header=BB6_8499 Depth=3
	s_andn2_saveexec_b64 s[40:41], s[44:45]
; %bb.8703:                             ;   in Loop: Header=BB6_8499 Depth=3
	v_or_b32_e32 v18, 0x7e, v3
; %bb.8704:                             ;   in Loop: Header=BB6_8499 Depth=3
	s_or_b64 exec, exec, s[40:41]
                                        ; implicit-def: $vgpr1
.LBB6_8705:                             ;   in Loop: Header=BB6_8499 Depth=3
	s_andn2_saveexec_b64 s[40:41], s[42:43]
; %bb.8706:                             ;   in Loop: Header=BB6_8499 Depth=3
	v_or_b32_sdwa v18, v1, s83 dst_sel:DWORD dst_unused:UNUSED_PAD src0_sel:BYTE_3 src1_sel:DWORD
; %bb.8707:                             ;   in Loop: Header=BB6_8499 Depth=3
	s_or_b64 exec, exec, s[40:41]
	v_lshrrev_b16_e32 v52, 8, v52
	v_and_b32_e32 v6, 7, v52
	v_and_b32_e32 v0, 0x7f, v52
	v_cmp_eq_u32_e64 s[40:41], s83, v0
	v_cmp_gt_u32_e32 vcc, 8, v0
	v_ffbh_u32_e32 v0, v6
	v_min_u32_e32 v19, 32, v0
	v_subrev_u32_e32 v0, 28, v19
	v_lshlrev_b64 v[0:1], v0, v[52:53]
	v_bfe_u32 v7, v52, 3, 4
	v_sub_u32_e32 v1, 29, v19
	v_and_b32_e32 v0, 7, v0
	v_cndmask_b32_e32 v1, v7, v1, vcc
	v_cndmask_b32_e32 v0, v6, v0, vcc
	v_lshlrev_b32_e32 v6, 24, v52
	v_bfrev_b32_e32 v7, 60
	v_lshrrev_b16_e32 v3, 8, v2
	v_lshlrev_b32_e32 v0, 20, v0
	v_and_b32_e32 v6, 0x80000000, v6
	v_lshl_add_u32 v1, v1, 23, v7
	v_or3_b32 v0, v6, v1, v0
	v_cmp_ne_u16_e64 s[42:43], 0, v3
	s_mov_b64 s[44:45], -1
	s_and_b64 vcc, exec, s[52:53]
                                        ; implicit-def: $vgpr1
	s_cbranch_vccz .LBB6_8721
; %bb.8708:                             ;   in Loop: Header=BB6_8499 Depth=3
	v_mov_b32_e32 v1, 0
	s_and_saveexec_b64 s[44:45], s[42:43]
	s_cbranch_execz .LBB6_8714
; %bb.8709:                             ;   in Loop: Header=BB6_8499 Depth=3
	v_cmp_ne_u16_e32 vcc, s82, v3
	v_bfrev_b32_e32 v1, 1
	s_and_saveexec_b64 s[46:47], vcc
	s_cbranch_execz .LBB6_8713
; %bb.8710:                             ;   in Loop: Header=BB6_8499 Depth=3
	v_and_b32_e32 v6, 0x7f, v3
	v_cmp_ne_u32_e32 vcc, s83, v6
	v_mov_b32_e32 v1, 0x7f800001
	s_and_saveexec_b64 s[54:55], vcc
	s_cbranch_execz .LBB6_8712
; %bb.8711:                             ;   in Loop: Header=BB6_8499 Depth=3
	v_and_b32_e32 v1, 7, v3
	v_lshrrev_b32_e32 v19, 3, v6
	v_cmp_gt_u32_e32 vcc, 8, v6
	v_ffbh_u32_e32 v6, v1
	v_min_u32_e32 v34, 32, v6
	v_subrev_u32_e32 v6, 28, v34
	v_lshlrev_b64 v[6:7], v6, v[3:4]
	v_sub_u32_e32 v7, 29, v34
	v_and_b32_e32 v6, 7, v6
	v_cndmask_b32_e32 v7, v19, v7, vcc
	v_cndmask_b32_e32 v1, v1, v6, vcc
	v_lshlrev_b32_e32 v6, 16, v2
	v_bfrev_b32_e32 v19, 60
	v_lshlrev_b32_e32 v1, 20, v1
	v_and_b32_e32 v6, 0x80000000, v6
	v_lshl_add_u32 v7, v7, 23, v19
	v_or3_b32 v1, v6, v7, v1
.LBB6_8712:                             ;   in Loop: Header=BB6_8499 Depth=3
	s_or_b64 exec, exec, s[54:55]
.LBB6_8713:                             ;   in Loop: Header=BB6_8499 Depth=3
	s_or_b64 exec, exec, s[46:47]
.LBB6_8714:                             ;   in Loop: Header=BB6_8499 Depth=3
	s_or_b64 exec, exec, s[44:45]
	v_cmp_lt_i16_e32 vcc, s83, v52
	s_mov_b64 s[44:45], 0
	s_and_saveexec_b64 s[46:47], vcc
	s_xor_b64 s[46:47], exec, s[46:47]
	s_cbranch_execz .LBB6_9174
; %bb.8715:                             ;   in Loop: Header=BB6_8499 Depth=3
	v_cmp_eq_u16_e32 vcc, s82, v52
	s_mov_b64 s[44:45], -1
	s_and_saveexec_b64 s[54:55], vcc
; %bb.8716:                             ;   in Loop: Header=BB6_8499 Depth=3
	s_xor_b64 s[44:45], exec, -1
; %bb.8717:                             ;   in Loop: Header=BB6_8499 Depth=3
	s_or_b64 exec, exec, s[54:55]
	s_and_b64 s[44:45], s[44:45], exec
	s_or_saveexec_b64 s[46:47], s[46:47]
	v_bfrev_b32_e32 v6, 1
	s_xor_b64 exec, exec, s[46:47]
	s_cbranch_execnz .LBB6_9175
.LBB6_8718:                             ;   in Loop: Header=BB6_8499 Depth=3
	s_or_b64 exec, exec, s[46:47]
	s_and_saveexec_b64 s[46:47], s[44:45]
.LBB6_8719:                             ;   in Loop: Header=BB6_8499 Depth=3
	v_mov_b32_e32 v6, 0x7f800001
	v_cndmask_b32_e64 v6, v0, v6, s[40:41]
.LBB6_8720:                             ;   in Loop: Header=BB6_8499 Depth=3
	s_or_b64 exec, exec, s[46:47]
	v_max_f32_e32 v6, v6, v6
	v_max_f32_e32 v1, v1, v1
	;; [unrolled: 1-line block ×3, first 2 shown]
	s_mov_b64 s[44:45], 0
.LBB6_8721:                             ;   in Loop: Header=BB6_8499 Depth=3
	s_and_b64 vcc, exec, s[44:45]
	s_cbranch_vccz .LBB6_8735
; %bb.8722:                             ;   in Loop: Header=BB6_8499 Depth=3
	v_mov_b32_e32 v1, 0
	s_and_saveexec_b64 s[44:45], s[42:43]
	s_cbranch_execz .LBB6_8728
; %bb.8723:                             ;   in Loop: Header=BB6_8499 Depth=3
	v_cmp_ne_u16_e32 vcc, s82, v3
	v_bfrev_b32_e32 v1, 1
	s_and_saveexec_b64 s[42:43], vcc
	s_cbranch_execz .LBB6_8727
; %bb.8724:                             ;   in Loop: Header=BB6_8499 Depth=3
	v_and_b32_e32 v6, 0x7f, v3
	v_cmp_ne_u32_e32 vcc, s83, v6
	v_mov_b32_e32 v1, 0x7f800001
	s_and_saveexec_b64 s[46:47], vcc
	s_cbranch_execz .LBB6_8726
; %bb.8725:                             ;   in Loop: Header=BB6_8499 Depth=3
	v_and_b32_e32 v1, 7, v3
	v_lshrrev_b32_e32 v19, 3, v6
	v_cmp_gt_u32_e32 vcc, 8, v6
	v_ffbh_u32_e32 v6, v1
	v_min_u32_e32 v34, 32, v6
	v_subrev_u32_e32 v6, 28, v34
	v_lshlrev_b64 v[6:7], v6, v[3:4]
	v_sub_u32_e32 v3, 29, v34
	v_and_b32_e32 v6, 7, v6
	v_cndmask_b32_e32 v3, v19, v3, vcc
	v_cndmask_b32_e32 v1, v1, v6, vcc
	v_lshlrev_b32_e32 v2, 16, v2
	v_bfrev_b32_e32 v6, 60
	v_lshlrev_b32_e32 v1, 20, v1
	v_and_b32_e32 v2, 0x80000000, v2
	v_lshl_add_u32 v3, v3, 23, v6
	v_or3_b32 v1, v2, v3, v1
.LBB6_8726:                             ;   in Loop: Header=BB6_8499 Depth=3
	s_or_b64 exec, exec, s[46:47]
.LBB6_8727:                             ;   in Loop: Header=BB6_8499 Depth=3
	s_or_b64 exec, exec, s[42:43]
.LBB6_8728:                             ;   in Loop: Header=BB6_8499 Depth=3
	s_or_b64 exec, exec, s[44:45]
	v_cmp_lt_i16_e32 vcc, s83, v52
	s_mov_b64 s[42:43], 0
	s_and_saveexec_b64 s[44:45], vcc
	s_xor_b64 s[44:45], exec, s[44:45]
	s_cbranch_execz .LBB6_9176
; %bb.8729:                             ;   in Loop: Header=BB6_8499 Depth=3
	v_cmp_eq_u16_e32 vcc, s82, v52
	s_mov_b64 s[42:43], -1
	s_and_saveexec_b64 s[46:47], vcc
; %bb.8730:                             ;   in Loop: Header=BB6_8499 Depth=3
	s_xor_b64 s[42:43], exec, -1
; %bb.8731:                             ;   in Loop: Header=BB6_8499 Depth=3
	s_or_b64 exec, exec, s[46:47]
	s_and_b64 s[42:43], s[42:43], exec
	s_or_saveexec_b64 s[44:45], s[44:45]
	v_bfrev_b32_e32 v2, 1
	s_xor_b64 exec, exec, s[44:45]
	s_cbranch_execnz .LBB6_9177
.LBB6_8732:                             ;   in Loop: Header=BB6_8499 Depth=3
	s_or_b64 exec, exec, s[44:45]
	s_and_saveexec_b64 s[44:45], s[42:43]
.LBB6_8733:                             ;   in Loop: Header=BB6_8499 Depth=3
	v_mov_b32_e32 v2, 0x7f800001
	v_cndmask_b32_e64 v2, v0, v2, s[40:41]
.LBB6_8734:                             ;   in Loop: Header=BB6_8499 Depth=3
	s_or_b64 exec, exec, s[44:45]
	v_max_f32_e32 v0, v2, v2
	v_max_f32_e32 v1, v1, v1
	v_min_f32_e32 v1, v1, v0
.LBB6_8735:                             ;   in Loop: Header=BB6_8499 Depth=3
	v_and_b32_e32 v52, 0x7f800000, v1
	v_cmp_ne_u64_e32 vcc, s[76:77], v[52:53]
                                        ; implicit-def: $vgpr19
	s_and_saveexec_b64 s[40:41], vcc
	s_xor_b64 s[42:43], exec, s[40:41]
	s_cbranch_execz .LBB6_8749
; %bb.8736:                             ;   in Loop: Header=BB6_8499 Depth=3
	v_and_b32_e32 v52, 0x7fffffff, v1
	v_cmp_gt_u64_e32 vcc, s[78:79], v[52:53]
	v_and_b32_sdwa v3, v1, s82 dst_sel:DWORD dst_unused:UNUSED_PAD src0_sel:BYTE_3 src1_sel:DWORD
                                        ; implicit-def: $vgpr19
	s_and_saveexec_b64 s[40:41], vcc
	s_xor_b64 s[44:45], exec, s[40:41]
	s_cbranch_execz .LBB6_8746
; %bb.8737:                             ;   in Loop: Header=BB6_8499 Depth=3
	v_mov_b32_e32 v19, 0
	v_cmp_ne_u32_e32 vcc, 0, v1
	s_and_saveexec_b64 s[46:47], vcc
	s_cbranch_execz .LBB6_8745
; %bb.8738:                             ;   in Loop: Header=BB6_8499 Depth=3
	v_bfe_u32 v6, v1, 23, 8
	v_and_b32_e32 v0, 0x7fffff, v1
	v_cmp_gt_u32_e64 s[40:41], s85, v6
	v_sub_u32_e32 v1, 0x79, v6
	v_cmp_eq_u32_e32 vcc, 0, v6
	v_cndmask_b32_e64 v1, 0, v1, s[40:41]
	v_mov_b32_e32 v7, 0x78
	v_or_b32_e32 v2, 0x800000, v0
	v_cndmask_b32_e32 v7, v1, v7, vcc
	v_cndmask_b32_e32 v52, v2, v0, vcc
	v_add_u32_e32 v0, 20, v7
	v_lshlrev_b64 v[0:1], v0, -1
	v_add_u32_e32 v2, 19, v7
	v_lshlrev_b64 v[34:35], v2, 1
	v_bfi_b32 v1, v1, 0, 0
	v_bfi_b32 v0, v0, 0, v52
	v_cmp_eq_u64_e64 s[40:41], v[0:1], v[34:35]
	v_lshrrev_b64 v[0:1], v7, v[52:53]
	v_mov_b32_e32 v2, v1
	v_mov_b32_e32 v1, v0
	s_and_saveexec_b64 s[54:55], s[40:41]
; %bb.8739:                             ;   in Loop: Header=BB6_8499 Depth=3
	v_bfe_u32 v1, v0, 20, 1
	v_add_co_u32_e64 v1, s[40:41], v0, v1
	v_add_co_u32_e64 v1, s[40:41], -1, v1
; %bb.8740:                             ;   in Loop: Header=BB6_8499 Depth=3
	s_or_b64 exec, exec, s[54:55]
	v_add_u32_e32 v2, 0xffffff81, v6
	v_mov_b32_e32 v6, 0xffffff82
	v_cndmask_b32_e32 v2, v2, v6, vcc
	v_lshrrev_b32_e32 v6, 23, v0
	v_add3_u32 v7, v7, v2, v6
	v_add_u32_e32 v6, 6, v7
	v_and_b32_e32 v1, 0xfffff, v1
	v_add_u32_e32 v52, v1, v0
	v_cmp_ne_u32_e32 vcc, 0, v6
                                        ; implicit-def: $vgpr0_vgpr1
                                        ; implicit-def: $vgpr2
	s_and_saveexec_b64 s[40:41], vcc
	s_xor_b64 s[40:41], exec, s[40:41]
; %bb.8741:                             ;   in Loop: Header=BB6_8499 Depth=3
	v_cmp_lt_u64_e32 vcc, s[88:89], v[52:53]
	v_add_u32_e32 v0, 7, v7
	v_cndmask_b32_e32 v2, v6, v0, vcc
	v_cndmask_b32_e64 v0, 0, 1, vcc
	v_lshrrev_b64 v[0:1], v0, v[52:53]
; %bb.8742:                             ;   in Loop: Header=BB6_8499 Depth=3
	s_andn2_saveexec_b64 s[40:41], s[40:41]
; %bb.8743:                             ;   in Loop: Header=BB6_8499 Depth=3
	v_mov_b32_e32 v0, v52
	v_mov_b32_e32 v1, v53
	v_bfe_u32 v2, v52, 23, 1
; %bb.8744:                             ;   in Loop: Header=BB6_8499 Depth=3
	s_or_b64 exec, exec, s[40:41]
	v_lshrrev_b64 v[0:1], 20, v[0:1]
	v_cmp_gt_i32_e32 vcc, 16, v2
	v_cndmask_b32_e32 v1, 0, v1, vcc
	v_cndmask_b32_e32 v0, 7, v0, vcc
	v_cmp_eq_u64_e64 s[40:41], 0, v[0:1]
	v_min_i32_e32 v1, 15, v2
	v_lshlrev_b32_e32 v1, 3, v1
	v_cmp_eq_u32_e32 vcc, 0, v2
	v_and_b32_e32 v1, 0xf8, v1
	v_and_or_b32 v0, v0, 7, v1
	s_and_b64 s[40:41], vcc, s[40:41]
	v_cndmask_b32_e64 v0, v0, 0, s[40:41]
	v_or_b32_e32 v19, v0, v3
.LBB6_8745:                             ;   in Loop: Header=BB6_8499 Depth=3
	s_or_b64 exec, exec, s[46:47]
                                        ; implicit-def: $vgpr3
.LBB6_8746:                             ;   in Loop: Header=BB6_8499 Depth=3
	s_andn2_saveexec_b64 s[40:41], s[44:45]
; %bb.8747:                             ;   in Loop: Header=BB6_8499 Depth=3
	v_or_b32_e32 v19, 0x7e, v3
; %bb.8748:                             ;   in Loop: Header=BB6_8499 Depth=3
	s_or_b64 exec, exec, s[40:41]
                                        ; implicit-def: $vgpr1
.LBB6_8749:                             ;   in Loop: Header=BB6_8499 Depth=3
	s_andn2_saveexec_b64 s[40:41], s[42:43]
; %bb.8750:                             ;   in Loop: Header=BB6_8499 Depth=3
	v_or_b32_sdwa v19, v1, s83 dst_sel:DWORD dst_unused:UNUSED_PAD src0_sel:BYTE_3 src1_sel:DWORD
; %bb.8751:                             ;   in Loop: Header=BB6_8499 Depth=3
	s_or_b64 exec, exec, s[40:41]
	v_bfe_u32 v3, v13, 16, 3
	v_bfe_u32 v1, v13, 16, 7
	v_cmp_eq_u32_e64 s[40:41], s83, v1
	v_cmp_gt_u32_e32 vcc, 8, v1
	v_ffbh_u32_e32 v1, v3
	v_min_u32_e32 v7, 32, v1
	v_lshrrev_b32_e32 v0, 16, v13
	v_subrev_u32_e32 v1, 28, v7
	v_lshlrev_b64 v[1:2], v1, v[0:1]
	v_bfe_u32 v6, v0, 3, 4
	v_sub_u32_e32 v2, 29, v7
	v_and_b32_e32 v1, 7, v1
	v_cndmask_b32_e32 v2, v6, v2, vcc
	v_cndmask_b32_e32 v1, v3, v1, vcc
	v_lshlrev_b32_e32 v3, 8, v13
	v_bfrev_b32_e32 v6, 60
	v_lshlrev_b32_e32 v1, 20, v1
	v_and_b32_e32 v3, 0x80000000, v3
	v_lshl_add_u32 v2, v2, 23, v6
	v_or3_b32 v1, v3, v2, v1
	v_lshrrev_b32_e32 v2, 16, v9
	v_cmp_ne_u16_sdwa s[42:43], v2, v53 src0_sel:BYTE_0 src1_sel:DWORD
	s_mov_b64 s[44:45], -1
	s_and_b64 vcc, exec, s[52:53]
                                        ; implicit-def: $vgpr6
	s_cbranch_vccz .LBB6_8765
; %bb.8752:                             ;   in Loop: Header=BB6_8499 Depth=3
	v_mov_b32_e32 v3, 0
	s_and_saveexec_b64 s[44:45], s[42:43]
	s_cbranch_execz .LBB6_8758
; %bb.8753:                             ;   in Loop: Header=BB6_8499 Depth=3
	v_cmp_ne_u16_sdwa vcc, v2, s82 src0_sel:BYTE_0 src1_sel:DWORD
	v_bfrev_b32_e32 v3, 1
	s_and_saveexec_b64 s[46:47], vcc
	s_cbranch_execz .LBB6_8757
; %bb.8754:                             ;   in Loop: Header=BB6_8499 Depth=3
	v_bfe_u32 v6, v9, 16, 7
	v_cmp_ne_u32_e32 vcc, s83, v6
	v_mov_b32_e32 v3, 0x7f800001
	s_and_saveexec_b64 s[54:55], vcc
	s_cbranch_execz .LBB6_8756
; %bb.8755:                             ;   in Loop: Header=BB6_8499 Depth=3
	v_and_b32_e32 v3, 7, v2
	v_lshrrev_b32_e32 v34, 3, v6
	v_cmp_gt_u32_e32 vcc, 8, v6
	v_ffbh_u32_e32 v6, v3
	v_min_u32_e32 v35, 32, v6
	v_subrev_u32_e32 v6, 28, v35
	v_lshlrev_b64 v[6:7], v6, v[2:3]
	v_sub_u32_e32 v7, 29, v35
	v_and_b32_e32 v6, 7, v6
	v_cndmask_b32_e32 v7, v34, v7, vcc
	v_cndmask_b32_e32 v3, v3, v6, vcc
	v_lshlrev_b32_e32 v6, 24, v2
	v_bfrev_b32_e32 v34, 60
	v_lshlrev_b32_e32 v3, 20, v3
	v_and_b32_e32 v6, 0x80000000, v6
	v_lshl_add_u32 v7, v7, 23, v34
	v_or3_b32 v3, v6, v7, v3
.LBB6_8756:                             ;   in Loop: Header=BB6_8499 Depth=3
	s_or_b64 exec, exec, s[54:55]
.LBB6_8757:                             ;   in Loop: Header=BB6_8499 Depth=3
	s_or_b64 exec, exec, s[46:47]
.LBB6_8758:                             ;   in Loop: Header=BB6_8499 Depth=3
	s_or_b64 exec, exec, s[44:45]
	v_cmp_gt_i16_sdwa s[46:47], v0, s83 src0_sel:BYTE_0 src1_sel:DWORD
	s_mov_b64 s[44:45], 0
	s_and_saveexec_b64 vcc, s[46:47]
	s_xor_b64 s[46:47], exec, vcc
	s_cbranch_execz .LBB6_9178
; %bb.8759:                             ;   in Loop: Header=BB6_8499 Depth=3
	v_cmp_eq_u16_sdwa s[54:55], v0, s82 src0_sel:BYTE_0 src1_sel:DWORD
	s_mov_b64 s[44:45], -1
	s_and_saveexec_b64 vcc, s[54:55]
; %bb.8760:                             ;   in Loop: Header=BB6_8499 Depth=3
	s_xor_b64 s[44:45], exec, -1
; %bb.8761:                             ;   in Loop: Header=BB6_8499 Depth=3
	s_or_b64 exec, exec, vcc
	s_and_b64 s[44:45], s[44:45], exec
	s_or_saveexec_b64 s[46:47], s[46:47]
	v_bfrev_b32_e32 v6, 1
	s_xor_b64 exec, exec, s[46:47]
	s_cbranch_execnz .LBB6_9179
.LBB6_8762:                             ;   in Loop: Header=BB6_8499 Depth=3
	s_or_b64 exec, exec, s[46:47]
	s_and_saveexec_b64 s[46:47], s[44:45]
.LBB6_8763:                             ;   in Loop: Header=BB6_8499 Depth=3
	v_mov_b32_e32 v6, 0x7f800001
	v_cndmask_b32_e64 v6, v1, v6, s[40:41]
.LBB6_8764:                             ;   in Loop: Header=BB6_8499 Depth=3
	s_or_b64 exec, exec, s[46:47]
	v_max_f32_e32 v6, v6, v6
	v_max_f32_e32 v3, v3, v3
	;; [unrolled: 1-line block ×3, first 2 shown]
	s_mov_b64 s[44:45], 0
.LBB6_8765:                             ;   in Loop: Header=BB6_8499 Depth=3
	s_and_b64 vcc, exec, s[44:45]
	s_cbranch_vccz .LBB6_8779
; %bb.8766:                             ;   in Loop: Header=BB6_8499 Depth=3
	v_mov_b32_e32 v3, 0
	s_and_saveexec_b64 s[44:45], s[42:43]
	s_cbranch_execz .LBB6_8772
; %bb.8767:                             ;   in Loop: Header=BB6_8499 Depth=3
	v_cmp_ne_u16_sdwa s[46:47], v2, s82 src0_sel:BYTE_0 src1_sel:DWORD
	v_bfrev_b32_e32 v3, 1
	s_and_saveexec_b64 s[42:43], s[46:47]
	s_cbranch_execz .LBB6_8771
; %bb.8768:                             ;   in Loop: Header=BB6_8499 Depth=3
	v_bfe_u32 v6, v9, 16, 7
	v_cmp_ne_u32_e32 vcc, s83, v6
	v_mov_b32_e32 v3, 0x7f800001
	s_and_saveexec_b64 s[46:47], vcc
	s_cbranch_execz .LBB6_8770
; %bb.8769:                             ;   in Loop: Header=BB6_8499 Depth=3
	v_and_b32_e32 v3, 7, v2
	v_lshrrev_b32_e32 v34, 3, v6
	v_cmp_gt_u32_e32 vcc, 8, v6
	v_ffbh_u32_e32 v6, v3
	v_min_u32_e32 v35, 32, v6
	v_subrev_u32_e32 v6, 28, v35
	v_lshlrev_b64 v[6:7], v6, v[2:3]
	v_sub_u32_e32 v7, 29, v35
	v_and_b32_e32 v6, 7, v6
	v_cndmask_b32_e32 v7, v34, v7, vcc
	v_cndmask_b32_e32 v3, v3, v6, vcc
	v_lshlrev_b32_e32 v2, 24, v2
	v_bfrev_b32_e32 v6, 60
	v_lshlrev_b32_e32 v3, 20, v3
	v_and_b32_e32 v2, 0x80000000, v2
	v_lshl_add_u32 v6, v7, 23, v6
	v_or3_b32 v3, v2, v6, v3
.LBB6_8770:                             ;   in Loop: Header=BB6_8499 Depth=3
	s_or_b64 exec, exec, s[46:47]
.LBB6_8771:                             ;   in Loop: Header=BB6_8499 Depth=3
	s_or_b64 exec, exec, s[42:43]
.LBB6_8772:                             ;   in Loop: Header=BB6_8499 Depth=3
	s_or_b64 exec, exec, s[44:45]
	v_cmp_gt_i16_sdwa s[44:45], v0, s83 src0_sel:BYTE_0 src1_sel:DWORD
	s_mov_b64 s[42:43], 0
	s_and_saveexec_b64 s[46:47], s[44:45]
	s_xor_b64 s[44:45], exec, s[46:47]
	s_cbranch_execz .LBB6_9180
; %bb.8773:                             ;   in Loop: Header=BB6_8499 Depth=3
	v_cmp_eq_u16_sdwa vcc, v0, s82 src0_sel:BYTE_0 src1_sel:DWORD
	s_mov_b64 s[42:43], -1
	s_and_saveexec_b64 s[46:47], vcc
; %bb.8774:                             ;   in Loop: Header=BB6_8499 Depth=3
	s_xor_b64 s[42:43], exec, -1
; %bb.8775:                             ;   in Loop: Header=BB6_8499 Depth=3
	s_or_b64 exec, exec, s[46:47]
	s_and_b64 s[42:43], s[42:43], exec
                                        ; implicit-def: $vgpr0
	s_or_saveexec_b64 s[44:45], s[44:45]
	v_bfrev_b32_e32 v2, 1
	s_xor_b64 exec, exec, s[44:45]
	s_cbranch_execnz .LBB6_9181
.LBB6_8776:                             ;   in Loop: Header=BB6_8499 Depth=3
	s_or_b64 exec, exec, s[44:45]
	s_and_saveexec_b64 s[44:45], s[42:43]
.LBB6_8777:                             ;   in Loop: Header=BB6_8499 Depth=3
	v_mov_b32_e32 v0, 0x7f800001
	v_cndmask_b32_e64 v2, v1, v0, s[40:41]
.LBB6_8778:                             ;   in Loop: Header=BB6_8499 Depth=3
	s_or_b64 exec, exec, s[44:45]
	v_max_f32_e32 v0, v2, v2
	v_max_f32_e32 v1, v3, v3
	v_min_f32_e32 v6, v1, v0
.LBB6_8779:                             ;   in Loop: Header=BB6_8499 Depth=3
	v_and_b32_e32 v52, 0x7f800000, v6
	v_cmp_ne_u64_e32 vcc, s[76:77], v[52:53]
                                        ; implicit-def: $vgpr34
	s_and_saveexec_b64 s[40:41], vcc
	s_xor_b64 s[42:43], exec, s[40:41]
	s_cbranch_execz .LBB6_8793
; %bb.8780:                             ;   in Loop: Header=BB6_8499 Depth=3
	v_and_b32_e32 v52, 0x7fffffff, v6
	v_cmp_gt_u64_e32 vcc, s[78:79], v[52:53]
	v_and_b32_sdwa v3, v6, s82 dst_sel:DWORD dst_unused:UNUSED_PAD src0_sel:BYTE_3 src1_sel:DWORD
                                        ; implicit-def: $vgpr34
	s_and_saveexec_b64 s[40:41], vcc
	s_xor_b64 s[44:45], exec, s[40:41]
	s_cbranch_execz .LBB6_8790
; %bb.8781:                             ;   in Loop: Header=BB6_8499 Depth=3
	v_mov_b32_e32 v34, 0
	v_cmp_ne_u32_e32 vcc, 0, v6
	s_and_saveexec_b64 s[46:47], vcc
	s_cbranch_execz .LBB6_8789
; %bb.8782:                             ;   in Loop: Header=BB6_8499 Depth=3
	v_and_b32_e32 v0, 0x7fffff, v6
	v_bfe_u32 v6, v6, 23, 8
	v_cmp_gt_u32_e64 s[40:41], s85, v6
	v_sub_u32_e32 v1, 0x79, v6
	v_cmp_eq_u32_e32 vcc, 0, v6
	v_cndmask_b32_e64 v1, 0, v1, s[40:41]
	v_mov_b32_e32 v7, 0x78
	v_or_b32_e32 v2, 0x800000, v0
	v_cndmask_b32_e32 v7, v1, v7, vcc
	v_cndmask_b32_e32 v52, v2, v0, vcc
	v_add_u32_e32 v0, 20, v7
	v_lshlrev_b64 v[0:1], v0, -1
	v_add_u32_e32 v2, 19, v7
	v_lshlrev_b64 v[34:35], v2, 1
	v_bfi_b32 v1, v1, 0, 0
	v_bfi_b32 v0, v0, 0, v52
	v_cmp_eq_u64_e64 s[40:41], v[0:1], v[34:35]
	v_lshrrev_b64 v[0:1], v7, v[52:53]
	v_mov_b32_e32 v2, v1
	v_mov_b32_e32 v1, v0
	s_and_saveexec_b64 s[54:55], s[40:41]
; %bb.8783:                             ;   in Loop: Header=BB6_8499 Depth=3
	v_bfe_u32 v1, v0, 20, 1
	v_add_co_u32_e64 v1, s[40:41], v0, v1
	v_add_co_u32_e64 v1, s[40:41], -1, v1
; %bb.8784:                             ;   in Loop: Header=BB6_8499 Depth=3
	s_or_b64 exec, exec, s[54:55]
	v_add_u32_e32 v2, 0xffffff81, v6
	v_mov_b32_e32 v6, 0xffffff82
	v_cndmask_b32_e32 v2, v2, v6, vcc
	v_lshrrev_b32_e32 v6, 23, v0
	v_add3_u32 v7, v7, v2, v6
	v_add_u32_e32 v6, 6, v7
	v_and_b32_e32 v1, 0xfffff, v1
	v_add_u32_e32 v52, v1, v0
	v_cmp_ne_u32_e32 vcc, 0, v6
                                        ; implicit-def: $vgpr0_vgpr1
                                        ; implicit-def: $vgpr2
	s_and_saveexec_b64 s[40:41], vcc
	s_xor_b64 s[40:41], exec, s[40:41]
; %bb.8785:                             ;   in Loop: Header=BB6_8499 Depth=3
	v_cmp_lt_u64_e32 vcc, s[88:89], v[52:53]
	v_add_u32_e32 v0, 7, v7
	v_cndmask_b32_e32 v2, v6, v0, vcc
	v_cndmask_b32_e64 v0, 0, 1, vcc
	v_lshrrev_b64 v[0:1], v0, v[52:53]
; %bb.8786:                             ;   in Loop: Header=BB6_8499 Depth=3
	s_andn2_saveexec_b64 s[40:41], s[40:41]
; %bb.8787:                             ;   in Loop: Header=BB6_8499 Depth=3
	v_mov_b32_e32 v0, v52
	v_mov_b32_e32 v1, v53
	v_bfe_u32 v2, v52, 23, 1
; %bb.8788:                             ;   in Loop: Header=BB6_8499 Depth=3
	s_or_b64 exec, exec, s[40:41]
	v_lshrrev_b64 v[0:1], 20, v[0:1]
	v_cmp_gt_i32_e32 vcc, 16, v2
	v_cndmask_b32_e32 v1, 0, v1, vcc
	v_cndmask_b32_e32 v0, 7, v0, vcc
	v_cmp_eq_u64_e64 s[40:41], 0, v[0:1]
	v_min_i32_e32 v1, 15, v2
	v_lshlrev_b32_e32 v1, 3, v1
	v_cmp_eq_u32_e32 vcc, 0, v2
	v_and_b32_e32 v1, 0xf8, v1
	v_and_or_b32 v0, v0, 7, v1
	s_and_b64 s[40:41], vcc, s[40:41]
	v_cndmask_b32_e64 v0, v0, 0, s[40:41]
	v_or_b32_e32 v34, v0, v3
.LBB6_8789:                             ;   in Loop: Header=BB6_8499 Depth=3
	s_or_b64 exec, exec, s[46:47]
                                        ; implicit-def: $vgpr3
.LBB6_8790:                             ;   in Loop: Header=BB6_8499 Depth=3
	s_andn2_saveexec_b64 s[40:41], s[44:45]
; %bb.8791:                             ;   in Loop: Header=BB6_8499 Depth=3
	v_or_b32_e32 v34, 0x7e, v3
; %bb.8792:                             ;   in Loop: Header=BB6_8499 Depth=3
	s_or_b64 exec, exec, s[40:41]
                                        ; implicit-def: $vgpr6
.LBB6_8793:                             ;   in Loop: Header=BB6_8499 Depth=3
	s_andn2_saveexec_b64 s[40:41], s[42:43]
; %bb.8794:                             ;   in Loop: Header=BB6_8499 Depth=3
	v_or_b32_sdwa v34, v6, s83 dst_sel:DWORD dst_unused:UNUSED_PAD src0_sel:BYTE_3 src1_sel:DWORD
; %bb.8795:                             ;   in Loop: Header=BB6_8499 Depth=3
	s_or_b64 exec, exec, s[40:41]
	v_bfe_u32 v3, v13, 24, 3
	v_bfe_u32 v2, v13, 24, 7
	v_cmp_eq_u32_e64 s[44:45], s83, v2
	v_cmp_gt_u32_e32 vcc, 8, v2
	v_ffbh_u32_e32 v2, v3
	v_min_u32_e32 v7, 32, v2
	v_lshrrev_b32_e32 v1, 24, v13
	v_subrev_u32_e32 v2, 28, v7
	v_bfe_u32 v6, v1, 3, 4
	v_cmp_eq_u32_e64 s[42:43], s82, v1
	v_lshlrev_b64 v[1:2], v2, v[1:2]
	v_sub_u32_e32 v2, 29, v7
	v_and_b32_e32 v1, 7, v1
	v_cndmask_b32_e32 v2, v6, v2, vcc
	v_cndmask_b32_e32 v1, v3, v1, vcc
	v_bfrev_b32_e32 v6, 60
	v_cmp_gt_u64_e64 s[40:41], s[60:61], v[12:13]
	v_lshlrev_b32_e32 v1, 20, v1
	v_and_b32_e32 v3, 0x80000000, v13
	v_lshl_add_u32 v2, v2, 23, v6
	v_cmp_lt_u64_e64 s[46:47], s[62:63], v[8:9]
	v_lshrrev_b32_e32 v0, 24, v9
	v_or3_b32 v1, v3, v2, v1
	s_mov_b64 s[54:55], -1
	s_and_b64 vcc, exec, s[52:53]
                                        ; implicit-def: $vgpr2
	s_cbranch_vccz .LBB6_8803
; %bb.8796:                             ;   in Loop: Header=BB6_8499 Depth=3
	v_mov_b32_e32 v2, 0
	s_and_saveexec_b64 s[54:55], s[46:47]
	s_cbranch_execz .LBB6_8802
; %bb.8797:                             ;   in Loop: Header=BB6_8499 Depth=3
	v_cmp_ne_u32_e32 vcc, s82, v0
	v_bfrev_b32_e32 v2, 1
	s_and_saveexec_b64 s[64:65], vcc
	s_cbranch_execz .LBB6_8801
; %bb.8798:                             ;   in Loop: Header=BB6_8499 Depth=3
	v_bfe_u32 v3, v9, 24, 7
	v_cmp_ne_u32_e32 vcc, s83, v3
	v_mov_b32_e32 v2, 0x7f800001
	s_and_saveexec_b64 s[66:67], vcc
	s_cbranch_execz .LBB6_8800
; %bb.8799:                             ;   in Loop: Header=BB6_8499 Depth=3
	v_and_b32_e32 v6, 7, v0
	v_ffbh_u32_e32 v2, v6
	v_min_u32_e32 v8, 32, v2
	v_subrev_u32_e32 v2, 28, v8
	v_lshrrev_b32_e32 v7, 3, v3
	v_cmp_gt_u32_e32 vcc, 8, v3
	v_lshlrev_b64 v[2:3], v2, v[0:1]
	v_sub_u32_e32 v3, 29, v8
	v_and_b32_e32 v2, 7, v2
	v_cndmask_b32_e32 v3, v7, v3, vcc
	v_cndmask_b32_e32 v2, v6, v2, vcc
	v_lshlrev_b32_e32 v6, 24, v0
	v_bfrev_b32_e32 v7, 60
	v_lshlrev_b32_e32 v2, 20, v2
	v_and_b32_e32 v6, 0x80000000, v6
	v_lshl_add_u32 v3, v3, 23, v7
	v_or3_b32 v2, v6, v3, v2
.LBB6_8800:                             ;   in Loop: Header=BB6_8499 Depth=3
	s_or_b64 exec, exec, s[66:67]
.LBB6_8801:                             ;   in Loop: Header=BB6_8499 Depth=3
	s_or_b64 exec, exec, s[64:65]
.LBB6_8802:                             ;   in Loop: Header=BB6_8499 Depth=3
	s_or_b64 exec, exec, s[54:55]
	v_mov_b32_e32 v3, 0x7f800001
	v_cndmask_b32_e64 v3, v1, v3, s[44:45]
	v_bfrev_b32_e32 v6, 1
	v_cndmask_b32_e64 v3, v3, v6, s[42:43]
	v_cndmask_b32_e64 v3, v3, 0, s[40:41]
	v_max_f32_e32 v3, v3, v3
	v_max_f32_e32 v2, v2, v2
	;; [unrolled: 1-line block ×3, first 2 shown]
	s_mov_b64 s[54:55], 0
.LBB6_8803:                             ;   in Loop: Header=BB6_8499 Depth=3
	s_and_b64 vcc, exec, s[54:55]
	s_cbranch_vccz .LBB6_8811
; %bb.8804:                             ;   in Loop: Header=BB6_8499 Depth=3
	v_mov_b32_e32 v2, 0
	s_and_saveexec_b64 s[54:55], s[46:47]
	s_cbranch_execz .LBB6_8810
; %bb.8805:                             ;   in Loop: Header=BB6_8499 Depth=3
	v_cmp_ne_u32_e32 vcc, s82, v0
	v_bfrev_b32_e32 v2, 1
	s_and_saveexec_b64 s[46:47], vcc
	s_cbranch_execz .LBB6_8809
; %bb.8806:                             ;   in Loop: Header=BB6_8499 Depth=3
	v_bfe_u32 v3, v9, 24, 7
	v_cmp_ne_u32_e32 vcc, s83, v3
	v_mov_b32_e32 v2, 0x7f800001
	s_and_saveexec_b64 s[64:65], vcc
	s_cbranch_execz .LBB6_8808
; %bb.8807:                             ;   in Loop: Header=BB6_8499 Depth=3
	v_and_b32_e32 v6, 7, v0
	v_ffbh_u32_e32 v2, v6
	v_min_u32_e32 v8, 32, v2
	v_subrev_u32_e32 v2, 28, v8
	v_lshrrev_b32_e32 v7, 3, v3
	v_cmp_gt_u32_e32 vcc, 8, v3
	v_lshlrev_b64 v[2:3], v2, v[0:1]
	v_sub_u32_e32 v3, 29, v8
	v_and_b32_e32 v2, 7, v2
	v_cndmask_b32_e32 v3, v7, v3, vcc
	v_cndmask_b32_e32 v2, v6, v2, vcc
	v_lshlrev_b32_e32 v0, 24, v0
	v_bfrev_b32_e32 v6, 60
	v_lshlrev_b32_e32 v2, 20, v2
	v_and_b32_e32 v0, 0x80000000, v0
	v_lshl_add_u32 v3, v3, 23, v6
	v_or3_b32 v2, v0, v3, v2
.LBB6_8808:                             ;   in Loop: Header=BB6_8499 Depth=3
	s_or_b64 exec, exec, s[64:65]
.LBB6_8809:                             ;   in Loop: Header=BB6_8499 Depth=3
	s_or_b64 exec, exec, s[46:47]
.LBB6_8810:                             ;   in Loop: Header=BB6_8499 Depth=3
	s_or_b64 exec, exec, s[54:55]
	v_mov_b32_e32 v0, 0x7f800001
	v_cndmask_b32_e64 v0, v1, v0, s[44:45]
	v_bfrev_b32_e32 v1, 1
	v_cndmask_b32_e64 v0, v0, v1, s[42:43]
	v_cndmask_b32_e64 v0, v0, 0, s[40:41]
	v_max_f32_e32 v0, v0, v0
	v_max_f32_e32 v1, v2, v2
	v_min_f32_e32 v2, v1, v0
.LBB6_8811:                             ;   in Loop: Header=BB6_8499 Depth=3
	v_and_b32_e32 v52, 0x7f800000, v2
	v_cmp_ne_u64_e32 vcc, s[76:77], v[52:53]
                                        ; implicit-def: $vgpr12
	s_and_saveexec_b64 s[40:41], vcc
	s_xor_b64 s[42:43], exec, s[40:41]
	s_cbranch_execz .LBB6_8825
; %bb.8812:                             ;   in Loop: Header=BB6_8499 Depth=3
	v_and_b32_e32 v52, 0x7fffffff, v2
	v_cmp_gt_u64_e32 vcc, s[78:79], v[52:53]
	v_and_b32_sdwa v3, v2, s82 dst_sel:DWORD dst_unused:UNUSED_PAD src0_sel:BYTE_3 src1_sel:DWORD
                                        ; implicit-def: $vgpr12
	s_and_saveexec_b64 s[40:41], vcc
	s_xor_b64 s[44:45], exec, s[40:41]
	s_cbranch_execz .LBB6_8822
; %bb.8813:                             ;   in Loop: Header=BB6_8499 Depth=3
	v_mov_b32_e32 v12, 0
	v_cmp_ne_u32_e32 vcc, 0, v2
	s_and_saveexec_b64 s[46:47], vcc
	s_cbranch_execz .LBB6_8821
; %bb.8814:                             ;   in Loop: Header=BB6_8499 Depth=3
	v_bfe_u32 v6, v2, 23, 8
	v_cmp_gt_u32_e64 s[40:41], s85, v6
	v_sub_u32_e32 v1, 0x79, v6
	v_and_b32_e32 v0, 0x7fffff, v2
	v_cmp_eq_u32_e32 vcc, 0, v6
	v_cndmask_b32_e64 v1, 0, v1, s[40:41]
	v_mov_b32_e32 v7, 0x78
	v_or_b32_e32 v2, 0x800000, v0
	v_cndmask_b32_e32 v7, v1, v7, vcc
	v_cndmask_b32_e32 v52, v2, v0, vcc
	v_add_u32_e32 v0, 20, v7
	v_lshlrev_b64 v[0:1], v0, -1
	v_add_u32_e32 v2, 19, v7
	v_lshlrev_b64 v[8:9], v2, 1
	v_bfi_b32 v1, v1, 0, 0
	v_bfi_b32 v0, v0, 0, v52
	v_cmp_eq_u64_e64 s[40:41], v[0:1], v[8:9]
	v_lshrrev_b64 v[0:1], v7, v[52:53]
	v_mov_b32_e32 v2, v1
	v_mov_b32_e32 v1, v0
	s_and_saveexec_b64 s[54:55], s[40:41]
; %bb.8815:                             ;   in Loop: Header=BB6_8499 Depth=3
	v_bfe_u32 v1, v0, 20, 1
	v_add_co_u32_e64 v1, s[40:41], v0, v1
	v_add_co_u32_e64 v1, s[40:41], -1, v1
; %bb.8816:                             ;   in Loop: Header=BB6_8499 Depth=3
	s_or_b64 exec, exec, s[54:55]
	v_add_u32_e32 v2, 0xffffff81, v6
	v_mov_b32_e32 v6, 0xffffff82
	v_cndmask_b32_e32 v2, v2, v6, vcc
	v_lshrrev_b32_e32 v6, 23, v0
	v_add3_u32 v7, v7, v2, v6
	v_add_u32_e32 v6, 6, v7
	v_and_b32_e32 v1, 0xfffff, v1
	v_add_u32_e32 v52, v1, v0
	v_cmp_ne_u32_e32 vcc, 0, v6
                                        ; implicit-def: $vgpr0_vgpr1
                                        ; implicit-def: $vgpr2
	s_and_saveexec_b64 s[40:41], vcc
	s_xor_b64 s[40:41], exec, s[40:41]
; %bb.8817:                             ;   in Loop: Header=BB6_8499 Depth=3
	v_cmp_lt_u64_e32 vcc, s[88:89], v[52:53]
	v_add_u32_e32 v0, 7, v7
	v_cndmask_b32_e32 v2, v6, v0, vcc
	v_cndmask_b32_e64 v0, 0, 1, vcc
	v_lshrrev_b64 v[0:1], v0, v[52:53]
; %bb.8818:                             ;   in Loop: Header=BB6_8499 Depth=3
	s_andn2_saveexec_b64 s[40:41], s[40:41]
; %bb.8819:                             ;   in Loop: Header=BB6_8499 Depth=3
	v_mov_b32_e32 v0, v52
	v_mov_b32_e32 v1, v53
	v_bfe_u32 v2, v52, 23, 1
; %bb.8820:                             ;   in Loop: Header=BB6_8499 Depth=3
	s_or_b64 exec, exec, s[40:41]
	v_lshrrev_b64 v[0:1], 20, v[0:1]
	v_cmp_gt_i32_e32 vcc, 16, v2
	v_cndmask_b32_e32 v1, 0, v1, vcc
	v_cndmask_b32_e32 v0, 7, v0, vcc
	v_cmp_eq_u64_e64 s[40:41], 0, v[0:1]
	v_min_i32_e32 v1, 15, v2
	v_lshlrev_b32_e32 v1, 3, v1
	v_cmp_eq_u32_e32 vcc, 0, v2
	v_and_b32_e32 v1, 0xf8, v1
	v_and_or_b32 v0, v0, 7, v1
	s_and_b64 s[40:41], vcc, s[40:41]
	v_cndmask_b32_e64 v0, v0, 0, s[40:41]
	v_or_b32_e32 v12, v0, v3
.LBB6_8821:                             ;   in Loop: Header=BB6_8499 Depth=3
	s_or_b64 exec, exec, s[46:47]
                                        ; implicit-def: $vgpr3
.LBB6_8822:                             ;   in Loop: Header=BB6_8499 Depth=3
	s_andn2_saveexec_b64 s[40:41], s[44:45]
; %bb.8823:                             ;   in Loop: Header=BB6_8499 Depth=3
	v_or_b32_e32 v12, 0x7e, v3
; %bb.8824:                             ;   in Loop: Header=BB6_8499 Depth=3
	s_or_b64 exec, exec, s[40:41]
                                        ; implicit-def: $vgpr2
.LBB6_8825:                             ;   in Loop: Header=BB6_8499 Depth=3
	s_andn2_saveexec_b64 s[40:41], s[42:43]
; %bb.8826:                             ;   in Loop: Header=BB6_8499 Depth=3
	v_or_b32_sdwa v12, v2, s83 dst_sel:DWORD dst_unused:UNUSED_PAD src0_sel:BYTE_3 src1_sel:DWORD
; %bb.8827:                             ;   in Loop: Header=BB6_8499 Depth=3
	s_or_b64 exec, exec, s[40:41]
	v_and_b32_e32 v0, 7, v14
	v_ffbh_u32_e32 v0, v0
	v_and_b32_e32 v1, 0x7f, v14
	v_min_u32_e32 v0, 32, v0
	v_bfe_u32 v2, v14, 3, 4
	v_cmp_eq_u32_e64 s[40:41], s83, v1
	v_cmp_gt_u32_e32 vcc, 8, v1
	v_subrev_u32_e32 v1, 28, v0
	v_sub_u32_e32 v0, 29, v0
	v_cndmask_b32_e32 v2, v2, v0, vcc
	v_cndmask_b32_e32 v0, 0, v1, vcc
	v_lshlrev_b64 v[0:1], v0, v[14:15]
	v_lshlrev_b32_e32 v1, 24, v14
	v_lshlrev_b32_e32 v0, 20, v0
	v_bfrev_b32_e32 v3, 60
	v_and_b32_e32 v0, 0x700000, v0
	v_and_b32_e32 v1, 0x80000000, v1
	v_lshl_add_u32 v2, v2, 23, v3
	v_or3_b32 v0, v1, v2, v0
	v_cmp_ne_u16_sdwa s[42:43], v10, v53 src0_sel:BYTE_0 src1_sel:DWORD
	s_mov_b64 s[44:45], -1
	s_and_b64 vcc, exec, s[52:53]
                                        ; implicit-def: $vgpr1
	s_cbranch_vccz .LBB6_8841
; %bb.8828:                             ;   in Loop: Header=BB6_8499 Depth=3
	v_mov_b32_e32 v1, 0
	s_and_saveexec_b64 s[44:45], s[42:43]
	s_cbranch_execz .LBB6_8834
; %bb.8829:                             ;   in Loop: Header=BB6_8499 Depth=3
	v_cmp_ne_u16_sdwa vcc, v10, s82 src0_sel:BYTE_0 src1_sel:DWORD
	v_bfrev_b32_e32 v1, 1
	s_and_saveexec_b64 s[46:47], vcc
	s_cbranch_execz .LBB6_8833
; %bb.8830:                             ;   in Loop: Header=BB6_8499 Depth=3
	v_and_b32_e32 v2, 0x7f, v10
	v_cmp_ne_u32_e32 vcc, s83, v2
	v_mov_b32_e32 v1, 0x7f800001
	s_and_saveexec_b64 s[54:55], vcc
	s_cbranch_execz .LBB6_8832
; %bb.8831:                             ;   in Loop: Header=BB6_8499 Depth=3
	v_and_b32_e32 v1, 7, v10
	v_ffbh_u32_e32 v1, v1
	v_min_u32_e32 v1, 32, v1
	v_lshrrev_b32_e32 v3, 3, v2
	v_cmp_gt_u32_e32 vcc, 8, v2
	v_subrev_u32_e32 v2, 28, v1
	v_sub_u32_e32 v1, 29, v1
	v_cndmask_b32_e32 v3, v3, v1, vcc
	v_cndmask_b32_e32 v1, 0, v2, vcc
	v_lshlrev_b64 v[1:2], v1, v[10:11]
	v_lshlrev_b32_e32 v2, 24, v10
	v_lshlrev_b32_e32 v1, 20, v1
	v_bfrev_b32_e32 v6, 60
	v_and_b32_e32 v1, 0x700000, v1
	v_and_b32_e32 v2, 0x80000000, v2
	v_lshl_add_u32 v3, v3, 23, v6
	v_or3_b32 v1, v2, v3, v1
.LBB6_8832:                             ;   in Loop: Header=BB6_8499 Depth=3
	s_or_b64 exec, exec, s[54:55]
.LBB6_8833:                             ;   in Loop: Header=BB6_8499 Depth=3
	s_or_b64 exec, exec, s[46:47]
.LBB6_8834:                             ;   in Loop: Header=BB6_8499 Depth=3
	s_or_b64 exec, exec, s[44:45]
	v_cmp_gt_i16_sdwa s[46:47], v14, s83 src0_sel:BYTE_0 src1_sel:DWORD
	s_mov_b64 s[44:45], 0
	s_and_saveexec_b64 vcc, s[46:47]
	s_xor_b64 s[46:47], exec, vcc
	s_cbranch_execz .LBB6_9182
; %bb.8835:                             ;   in Loop: Header=BB6_8499 Depth=3
	v_cmp_eq_u16_sdwa s[54:55], v14, s82 src0_sel:BYTE_0 src1_sel:DWORD
	s_mov_b64 s[44:45], -1
	s_and_saveexec_b64 vcc, s[54:55]
; %bb.8836:                             ;   in Loop: Header=BB6_8499 Depth=3
	s_xor_b64 s[44:45], exec, -1
; %bb.8837:                             ;   in Loop: Header=BB6_8499 Depth=3
	s_or_b64 exec, exec, vcc
	s_and_b64 s[44:45], s[44:45], exec
	s_or_saveexec_b64 s[46:47], s[46:47]
	v_bfrev_b32_e32 v2, 1
	s_xor_b64 exec, exec, s[46:47]
	s_cbranch_execnz .LBB6_9183
.LBB6_8838:                             ;   in Loop: Header=BB6_8499 Depth=3
	s_or_b64 exec, exec, s[46:47]
	s_and_saveexec_b64 s[46:47], s[44:45]
.LBB6_8839:                             ;   in Loop: Header=BB6_8499 Depth=3
	v_mov_b32_e32 v2, 0x7f800001
	v_cndmask_b32_e64 v2, v0, v2, s[40:41]
.LBB6_8840:                             ;   in Loop: Header=BB6_8499 Depth=3
	s_or_b64 exec, exec, s[46:47]
	v_max_f32_e32 v2, v2, v2
	v_max_f32_e32 v1, v1, v1
	;; [unrolled: 1-line block ×3, first 2 shown]
	s_mov_b64 s[44:45], 0
.LBB6_8841:                             ;   in Loop: Header=BB6_8499 Depth=3
	s_and_b64 vcc, exec, s[44:45]
	s_cbranch_vccz .LBB6_8855
; %bb.8842:                             ;   in Loop: Header=BB6_8499 Depth=3
	v_mov_b32_e32 v1, 0
	s_and_saveexec_b64 s[44:45], s[42:43]
	s_cbranch_execz .LBB6_8848
; %bb.8843:                             ;   in Loop: Header=BB6_8499 Depth=3
	v_cmp_ne_u16_sdwa s[46:47], v10, s82 src0_sel:BYTE_0 src1_sel:DWORD
	v_bfrev_b32_e32 v1, 1
	s_and_saveexec_b64 s[42:43], s[46:47]
	s_cbranch_execz .LBB6_8847
; %bb.8844:                             ;   in Loop: Header=BB6_8499 Depth=3
	v_and_b32_e32 v2, 0x7f, v10
	v_cmp_ne_u32_e32 vcc, s83, v2
	v_mov_b32_e32 v1, 0x7f800001
	s_and_saveexec_b64 s[46:47], vcc
	s_cbranch_execz .LBB6_8846
; %bb.8845:                             ;   in Loop: Header=BB6_8499 Depth=3
	v_and_b32_e32 v1, 7, v10
	v_ffbh_u32_e32 v1, v1
	v_min_u32_e32 v1, 32, v1
	v_lshrrev_b32_e32 v3, 3, v2
	v_cmp_gt_u32_e32 vcc, 8, v2
	v_subrev_u32_e32 v2, 28, v1
	v_sub_u32_e32 v1, 29, v1
	v_cndmask_b32_e32 v3, v3, v1, vcc
	v_cndmask_b32_e32 v1, 0, v2, vcc
	v_lshlrev_b64 v[1:2], v1, v[10:11]
	v_lshlrev_b32_e32 v2, 24, v10
	v_lshlrev_b32_e32 v1, 20, v1
	v_bfrev_b32_e32 v6, 60
	v_and_b32_e32 v1, 0x700000, v1
	v_and_b32_e32 v2, 0x80000000, v2
	v_lshl_add_u32 v3, v3, 23, v6
	v_or3_b32 v1, v2, v3, v1
.LBB6_8846:                             ;   in Loop: Header=BB6_8499 Depth=3
	s_or_b64 exec, exec, s[46:47]
.LBB6_8847:                             ;   in Loop: Header=BB6_8499 Depth=3
	s_or_b64 exec, exec, s[42:43]
.LBB6_8848:                             ;   in Loop: Header=BB6_8499 Depth=3
	s_or_b64 exec, exec, s[44:45]
	v_cmp_gt_i16_sdwa s[44:45], v14, s83 src0_sel:BYTE_0 src1_sel:DWORD
	s_mov_b64 s[42:43], 0
	s_and_saveexec_b64 s[46:47], s[44:45]
	s_xor_b64 s[44:45], exec, s[46:47]
	s_cbranch_execz .LBB6_9184
; %bb.8849:                             ;   in Loop: Header=BB6_8499 Depth=3
	v_cmp_eq_u16_sdwa vcc, v14, s82 src0_sel:BYTE_0 src1_sel:DWORD
	s_mov_b64 s[42:43], -1
	s_and_saveexec_b64 s[46:47], vcc
; %bb.8850:                             ;   in Loop: Header=BB6_8499 Depth=3
	s_xor_b64 s[42:43], exec, -1
; %bb.8851:                             ;   in Loop: Header=BB6_8499 Depth=3
	s_or_b64 exec, exec, s[46:47]
	s_and_b64 s[42:43], s[42:43], exec
	s_or_saveexec_b64 s[44:45], s[44:45]
	v_bfrev_b32_e32 v2, 1
	s_xor_b64 exec, exec, s[44:45]
	s_cbranch_execnz .LBB6_9185
.LBB6_8852:                             ;   in Loop: Header=BB6_8499 Depth=3
	s_or_b64 exec, exec, s[44:45]
	s_and_saveexec_b64 s[44:45], s[42:43]
.LBB6_8853:                             ;   in Loop: Header=BB6_8499 Depth=3
	v_mov_b32_e32 v2, 0x7f800001
	v_cndmask_b32_e64 v2, v0, v2, s[40:41]
.LBB6_8854:                             ;   in Loop: Header=BB6_8499 Depth=3
	s_or_b64 exec, exec, s[44:45]
	v_max_f32_e32 v0, v2, v2
	v_max_f32_e32 v1, v1, v1
	v_min_f32_e32 v1, v1, v0
.LBB6_8855:                             ;   in Loop: Header=BB6_8499 Depth=3
	v_and_b32_e32 v52, 0x7f800000, v1
	v_cmp_ne_u64_e32 vcc, s[76:77], v[52:53]
                                        ; implicit-def: $vgpr13
	s_and_saveexec_b64 s[40:41], vcc
	s_xor_b64 s[42:43], exec, s[40:41]
	s_cbranch_execz .LBB6_8869
; %bb.8856:                             ;   in Loop: Header=BB6_8499 Depth=3
	v_and_b32_e32 v52, 0x7fffffff, v1
	v_cmp_gt_u64_e32 vcc, s[78:79], v[52:53]
	v_and_b32_sdwa v3, v1, s82 dst_sel:DWORD dst_unused:UNUSED_PAD src0_sel:BYTE_3 src1_sel:DWORD
                                        ; implicit-def: $vgpr13
	s_and_saveexec_b64 s[40:41], vcc
	s_xor_b64 s[44:45], exec, s[40:41]
	s_cbranch_execz .LBB6_8866
; %bb.8857:                             ;   in Loop: Header=BB6_8499 Depth=3
	v_mov_b32_e32 v13, 0
	v_cmp_ne_u32_e32 vcc, 0, v1
	s_and_saveexec_b64 s[46:47], vcc
	s_cbranch_execz .LBB6_8865
; %bb.8858:                             ;   in Loop: Header=BB6_8499 Depth=3
	v_bfe_u32 v6, v1, 23, 8
	v_and_b32_e32 v0, 0x7fffff, v1
	v_cmp_gt_u32_e64 s[40:41], s85, v6
	v_sub_u32_e32 v1, 0x79, v6
	v_cmp_eq_u32_e32 vcc, 0, v6
	v_cndmask_b32_e64 v1, 0, v1, s[40:41]
	v_mov_b32_e32 v7, 0x78
	v_or_b32_e32 v2, 0x800000, v0
	v_cndmask_b32_e32 v7, v1, v7, vcc
	v_cndmask_b32_e32 v52, v2, v0, vcc
	v_add_u32_e32 v0, 20, v7
	v_lshlrev_b64 v[0:1], v0, -1
	v_add_u32_e32 v2, 19, v7
	v_lshlrev_b64 v[8:9], v2, 1
	v_bfi_b32 v1, v1, 0, 0
	v_bfi_b32 v0, v0, 0, v52
	v_cmp_eq_u64_e64 s[40:41], v[0:1], v[8:9]
	v_lshrrev_b64 v[0:1], v7, v[52:53]
	v_mov_b32_e32 v2, v1
	v_mov_b32_e32 v1, v0
	s_and_saveexec_b64 s[54:55], s[40:41]
; %bb.8859:                             ;   in Loop: Header=BB6_8499 Depth=3
	v_bfe_u32 v1, v0, 20, 1
	v_add_co_u32_e64 v1, s[40:41], v0, v1
	v_add_co_u32_e64 v1, s[40:41], -1, v1
; %bb.8860:                             ;   in Loop: Header=BB6_8499 Depth=3
	s_or_b64 exec, exec, s[54:55]
	v_add_u32_e32 v2, 0xffffff81, v6
	v_mov_b32_e32 v6, 0xffffff82
	v_cndmask_b32_e32 v2, v2, v6, vcc
	v_lshrrev_b32_e32 v6, 23, v0
	v_add3_u32 v7, v7, v2, v6
	v_add_u32_e32 v6, 6, v7
	v_and_b32_e32 v1, 0xfffff, v1
	v_add_u32_e32 v52, v1, v0
	v_cmp_ne_u32_e32 vcc, 0, v6
                                        ; implicit-def: $vgpr0_vgpr1
                                        ; implicit-def: $vgpr2
	s_and_saveexec_b64 s[40:41], vcc
	s_xor_b64 s[40:41], exec, s[40:41]
; %bb.8861:                             ;   in Loop: Header=BB6_8499 Depth=3
	v_cmp_lt_u64_e32 vcc, s[88:89], v[52:53]
	v_add_u32_e32 v0, 7, v7
	v_cndmask_b32_e32 v2, v6, v0, vcc
	v_cndmask_b32_e64 v0, 0, 1, vcc
	v_lshrrev_b64 v[0:1], v0, v[52:53]
; %bb.8862:                             ;   in Loop: Header=BB6_8499 Depth=3
	s_andn2_saveexec_b64 s[40:41], s[40:41]
; %bb.8863:                             ;   in Loop: Header=BB6_8499 Depth=3
	v_mov_b32_e32 v0, v52
	v_mov_b32_e32 v1, v53
	v_bfe_u32 v2, v52, 23, 1
; %bb.8864:                             ;   in Loop: Header=BB6_8499 Depth=3
	s_or_b64 exec, exec, s[40:41]
	v_lshrrev_b64 v[0:1], 20, v[0:1]
	v_cmp_gt_i32_e32 vcc, 16, v2
	v_cndmask_b32_e32 v1, 0, v1, vcc
	v_cndmask_b32_e32 v0, 7, v0, vcc
	v_cmp_eq_u64_e64 s[40:41], 0, v[0:1]
	v_min_i32_e32 v1, 15, v2
	v_lshlrev_b32_e32 v1, 3, v1
	v_cmp_eq_u32_e32 vcc, 0, v2
	v_and_b32_e32 v1, 0xf8, v1
	v_and_or_b32 v0, v0, 7, v1
	s_and_b64 s[40:41], vcc, s[40:41]
	v_cndmask_b32_e64 v0, v0, 0, s[40:41]
	v_or_b32_e32 v13, v0, v3
.LBB6_8865:                             ;   in Loop: Header=BB6_8499 Depth=3
	s_or_b64 exec, exec, s[46:47]
                                        ; implicit-def: $vgpr3
.LBB6_8866:                             ;   in Loop: Header=BB6_8499 Depth=3
	s_andn2_saveexec_b64 s[40:41], s[44:45]
; %bb.8867:                             ;   in Loop: Header=BB6_8499 Depth=3
	v_or_b32_e32 v13, 0x7e, v3
; %bb.8868:                             ;   in Loop: Header=BB6_8499 Depth=3
	s_or_b64 exec, exec, s[40:41]
                                        ; implicit-def: $vgpr1
.LBB6_8869:                             ;   in Loop: Header=BB6_8499 Depth=3
	s_andn2_saveexec_b64 s[40:41], s[42:43]
; %bb.8870:                             ;   in Loop: Header=BB6_8499 Depth=3
	v_or_b32_sdwa v13, v1, s83 dst_sel:DWORD dst_unused:UNUSED_PAD src0_sel:BYTE_3 src1_sel:DWORD
; %bb.8871:                             ;   in Loop: Header=BB6_8499 Depth=3
	s_or_b64 exec, exec, s[40:41]
	v_lshrrev_b16_e32 v52, 8, v14
	v_and_b32_e32 v3, 7, v52
	v_and_b32_e32 v0, 0x7f, v52
	v_cmp_eq_u32_e64 s[40:41], s83, v0
	v_cmp_gt_u32_e32 vcc, 8, v0
	v_ffbh_u32_e32 v0, v3
	v_min_u32_e32 v7, 32, v0
	v_subrev_u32_e32 v0, 28, v7
	v_lshlrev_b64 v[0:1], v0, v[52:53]
	v_bfe_u32 v6, v52, 3, 4
	v_sub_u32_e32 v1, 29, v7
	v_and_b32_e32 v0, 7, v0
	v_cndmask_b32_e32 v1, v6, v1, vcc
	v_cndmask_b32_e32 v0, v3, v0, vcc
	v_lshlrev_b32_e32 v3, 24, v52
	v_bfrev_b32_e32 v6, 60
	v_lshrrev_b16_e32 v2, 8, v10
	v_lshlrev_b32_e32 v0, 20, v0
	v_and_b32_e32 v3, 0x80000000, v3
	v_lshl_add_u32 v1, v1, 23, v6
	v_or3_b32 v0, v3, v1, v0
	v_cmp_ne_u16_e64 s[42:43], 0, v2
	s_mov_b64 s[44:45], -1
	s_and_b64 vcc, exec, s[52:53]
                                        ; implicit-def: $vgpr1
	s_cbranch_vccz .LBB6_8885
; %bb.8872:                             ;   in Loop: Header=BB6_8499 Depth=3
	v_mov_b32_e32 v1, 0
	s_and_saveexec_b64 s[44:45], s[42:43]
	s_cbranch_execz .LBB6_8878
; %bb.8873:                             ;   in Loop: Header=BB6_8499 Depth=3
	v_cmp_ne_u16_e32 vcc, s82, v2
	v_bfrev_b32_e32 v1, 1
	s_and_saveexec_b64 s[46:47], vcc
	s_cbranch_execz .LBB6_8877
; %bb.8874:                             ;   in Loop: Header=BB6_8499 Depth=3
	v_and_b32_e32 v3, 0x7f, v2
	v_cmp_ne_u32_e32 vcc, s83, v3
	v_mov_b32_e32 v1, 0x7f800001
	s_and_saveexec_b64 s[54:55], vcc
	s_cbranch_execz .LBB6_8876
; %bb.8875:                             ;   in Loop: Header=BB6_8499 Depth=3
	v_and_b32_e32 v1, 7, v2
	v_lshrrev_b32_e32 v8, 3, v3
	v_cmp_gt_u32_e32 vcc, 8, v3
	v_ffbh_u32_e32 v3, v1
	v_min_u32_e32 v3, 32, v3
	v_subrev_u32_e32 v6, 28, v3
	v_lshlrev_b64 v[6:7], v6, v[2:3]
	v_sub_u32_e32 v3, 29, v3
	v_and_b32_e32 v6, 7, v6
	v_cndmask_b32_e32 v3, v8, v3, vcc
	v_cndmask_b32_e32 v1, v1, v6, vcc
	v_lshlrev_b32_e32 v6, 16, v10
	v_bfrev_b32_e32 v7, 60
	v_lshlrev_b32_e32 v1, 20, v1
	v_and_b32_e32 v6, 0x80000000, v6
	v_lshl_add_u32 v3, v3, 23, v7
	v_or3_b32 v1, v6, v3, v1
.LBB6_8876:                             ;   in Loop: Header=BB6_8499 Depth=3
	s_or_b64 exec, exec, s[54:55]
.LBB6_8877:                             ;   in Loop: Header=BB6_8499 Depth=3
	s_or_b64 exec, exec, s[46:47]
.LBB6_8878:                             ;   in Loop: Header=BB6_8499 Depth=3
	s_or_b64 exec, exec, s[44:45]
	v_cmp_lt_i16_e32 vcc, s83, v52
	s_mov_b64 s[44:45], 0
	s_and_saveexec_b64 s[46:47], vcc
	s_xor_b64 s[46:47], exec, s[46:47]
	s_cbranch_execz .LBB6_9186
; %bb.8879:                             ;   in Loop: Header=BB6_8499 Depth=3
	v_cmp_eq_u16_e32 vcc, s82, v52
	s_mov_b64 s[44:45], -1
	s_and_saveexec_b64 s[54:55], vcc
; %bb.8880:                             ;   in Loop: Header=BB6_8499 Depth=3
	s_xor_b64 s[44:45], exec, -1
; %bb.8881:                             ;   in Loop: Header=BB6_8499 Depth=3
	s_or_b64 exec, exec, s[54:55]
	s_and_b64 s[44:45], s[44:45], exec
	s_or_saveexec_b64 s[46:47], s[46:47]
	v_bfrev_b32_e32 v3, 1
	s_xor_b64 exec, exec, s[46:47]
	s_cbranch_execnz .LBB6_9187
.LBB6_8882:                             ;   in Loop: Header=BB6_8499 Depth=3
	s_or_b64 exec, exec, s[46:47]
	s_and_saveexec_b64 s[46:47], s[44:45]
.LBB6_8883:                             ;   in Loop: Header=BB6_8499 Depth=3
	v_mov_b32_e32 v3, 0x7f800001
	v_cndmask_b32_e64 v3, v0, v3, s[40:41]
.LBB6_8884:                             ;   in Loop: Header=BB6_8499 Depth=3
	s_or_b64 exec, exec, s[46:47]
	v_max_f32_e32 v3, v3, v3
	v_max_f32_e32 v1, v1, v1
	;; [unrolled: 1-line block ×3, first 2 shown]
	s_mov_b64 s[44:45], 0
.LBB6_8885:                             ;   in Loop: Header=BB6_8499 Depth=3
	s_and_b64 vcc, exec, s[44:45]
	s_cbranch_vccz .LBB6_8899
; %bb.8886:                             ;   in Loop: Header=BB6_8499 Depth=3
	v_mov_b32_e32 v1, 0
	s_and_saveexec_b64 s[44:45], s[42:43]
	s_cbranch_execz .LBB6_8892
; %bb.8887:                             ;   in Loop: Header=BB6_8499 Depth=3
	v_cmp_ne_u16_e32 vcc, s82, v2
	v_bfrev_b32_e32 v1, 1
	s_and_saveexec_b64 s[42:43], vcc
	s_cbranch_execz .LBB6_8891
; %bb.8888:                             ;   in Loop: Header=BB6_8499 Depth=3
	v_and_b32_e32 v3, 0x7f, v2
	v_cmp_ne_u32_e32 vcc, s83, v3
	v_mov_b32_e32 v1, 0x7f800001
	s_and_saveexec_b64 s[46:47], vcc
	s_cbranch_execz .LBB6_8890
; %bb.8889:                             ;   in Loop: Header=BB6_8499 Depth=3
	v_and_b32_e32 v6, 7, v2
	v_ffbh_u32_e32 v1, v6
	v_lshrrev_b32_e32 v7, 3, v3
	v_cmp_gt_u32_e32 vcc, 8, v3
	v_min_u32_e32 v3, 32, v1
	v_subrev_u32_e32 v1, 28, v3
	v_lshlrev_b64 v[1:2], v1, v[2:3]
	v_sub_u32_e32 v2, 29, v3
	v_and_b32_e32 v1, 7, v1
	v_cndmask_b32_e32 v2, v7, v2, vcc
	v_cndmask_b32_e32 v1, v6, v1, vcc
	v_lshlrev_b32_e32 v3, 16, v10
	v_bfrev_b32_e32 v6, 60
	v_lshlrev_b32_e32 v1, 20, v1
	v_and_b32_e32 v3, 0x80000000, v3
	v_lshl_add_u32 v2, v2, 23, v6
	v_or3_b32 v1, v3, v2, v1
.LBB6_8890:                             ;   in Loop: Header=BB6_8499 Depth=3
	s_or_b64 exec, exec, s[46:47]
.LBB6_8891:                             ;   in Loop: Header=BB6_8499 Depth=3
	s_or_b64 exec, exec, s[42:43]
.LBB6_8892:                             ;   in Loop: Header=BB6_8499 Depth=3
	s_or_b64 exec, exec, s[44:45]
	v_cmp_lt_i16_e32 vcc, s83, v52
	s_mov_b64 s[42:43], 0
	s_and_saveexec_b64 s[44:45], vcc
	s_xor_b64 s[44:45], exec, s[44:45]
	s_cbranch_execz .LBB6_9188
; %bb.8893:                             ;   in Loop: Header=BB6_8499 Depth=3
	v_cmp_eq_u16_e32 vcc, s82, v52
	s_mov_b64 s[42:43], -1
	s_and_saveexec_b64 s[46:47], vcc
; %bb.8894:                             ;   in Loop: Header=BB6_8499 Depth=3
	s_xor_b64 s[42:43], exec, -1
; %bb.8895:                             ;   in Loop: Header=BB6_8499 Depth=3
	s_or_b64 exec, exec, s[46:47]
	s_and_b64 s[42:43], s[42:43], exec
	s_or_saveexec_b64 s[44:45], s[44:45]
	v_bfrev_b32_e32 v2, 1
	s_xor_b64 exec, exec, s[44:45]
	s_cbranch_execnz .LBB6_9189
.LBB6_8896:                             ;   in Loop: Header=BB6_8499 Depth=3
	s_or_b64 exec, exec, s[44:45]
	s_and_saveexec_b64 s[44:45], s[42:43]
.LBB6_8897:                             ;   in Loop: Header=BB6_8499 Depth=3
	v_mov_b32_e32 v2, 0x7f800001
	v_cndmask_b32_e64 v2, v0, v2, s[40:41]
.LBB6_8898:                             ;   in Loop: Header=BB6_8499 Depth=3
	s_or_b64 exec, exec, s[44:45]
	v_max_f32_e32 v0, v2, v2
	v_max_f32_e32 v1, v1, v1
	v_min_f32_e32 v1, v1, v0
.LBB6_8899:                             ;   in Loop: Header=BB6_8499 Depth=3
	v_and_b32_e32 v52, 0x7f800000, v1
	v_cmp_ne_u64_e32 vcc, s[76:77], v[52:53]
                                        ; implicit-def: $vgpr35
	s_and_saveexec_b64 s[40:41], vcc
	s_xor_b64 s[42:43], exec, s[40:41]
	s_cbranch_execz .LBB6_8913
; %bb.8900:                             ;   in Loop: Header=BB6_8499 Depth=3
	v_and_b32_e32 v52, 0x7fffffff, v1
	v_cmp_gt_u64_e32 vcc, s[78:79], v[52:53]
	v_and_b32_sdwa v3, v1, s82 dst_sel:DWORD dst_unused:UNUSED_PAD src0_sel:BYTE_3 src1_sel:DWORD
                                        ; implicit-def: $vgpr35
	s_and_saveexec_b64 s[40:41], vcc
	s_xor_b64 s[44:45], exec, s[40:41]
	s_cbranch_execz .LBB6_8910
; %bb.8901:                             ;   in Loop: Header=BB6_8499 Depth=3
	v_mov_b32_e32 v35, 0
	v_cmp_ne_u32_e32 vcc, 0, v1
	s_and_saveexec_b64 s[46:47], vcc
	s_cbranch_execz .LBB6_8909
; %bb.8902:                             ;   in Loop: Header=BB6_8499 Depth=3
	v_bfe_u32 v6, v1, 23, 8
	v_and_b32_e32 v0, 0x7fffff, v1
	v_cmp_gt_u32_e64 s[40:41], s85, v6
	v_sub_u32_e32 v1, 0x79, v6
	v_cmp_eq_u32_e32 vcc, 0, v6
	v_cndmask_b32_e64 v1, 0, v1, s[40:41]
	v_mov_b32_e32 v7, 0x78
	v_or_b32_e32 v2, 0x800000, v0
	v_cndmask_b32_e32 v7, v1, v7, vcc
	v_cndmask_b32_e32 v52, v2, v0, vcc
	v_add_u32_e32 v0, 20, v7
	v_lshlrev_b64 v[0:1], v0, -1
	v_add_u32_e32 v2, 19, v7
	v_lshlrev_b64 v[8:9], v2, 1
	v_bfi_b32 v1, v1, 0, 0
	v_bfi_b32 v0, v0, 0, v52
	v_cmp_eq_u64_e64 s[40:41], v[0:1], v[8:9]
	v_lshrrev_b64 v[0:1], v7, v[52:53]
	v_mov_b32_e32 v2, v1
	v_mov_b32_e32 v1, v0
	s_and_saveexec_b64 s[54:55], s[40:41]
; %bb.8903:                             ;   in Loop: Header=BB6_8499 Depth=3
	v_bfe_u32 v1, v0, 20, 1
	v_add_co_u32_e64 v1, s[40:41], v0, v1
	v_add_co_u32_e64 v1, s[40:41], -1, v1
; %bb.8904:                             ;   in Loop: Header=BB6_8499 Depth=3
	s_or_b64 exec, exec, s[54:55]
	v_add_u32_e32 v2, 0xffffff81, v6
	v_mov_b32_e32 v6, 0xffffff82
	v_cndmask_b32_e32 v2, v2, v6, vcc
	v_lshrrev_b32_e32 v6, 23, v0
	v_add3_u32 v7, v7, v2, v6
	v_add_u32_e32 v6, 6, v7
	v_and_b32_e32 v1, 0xfffff, v1
	v_add_u32_e32 v52, v1, v0
	v_cmp_ne_u32_e32 vcc, 0, v6
                                        ; implicit-def: $vgpr0_vgpr1
                                        ; implicit-def: $vgpr2
	s_and_saveexec_b64 s[40:41], vcc
	s_xor_b64 s[40:41], exec, s[40:41]
; %bb.8905:                             ;   in Loop: Header=BB6_8499 Depth=3
	v_cmp_lt_u64_e32 vcc, s[88:89], v[52:53]
	v_add_u32_e32 v0, 7, v7
	v_cndmask_b32_e32 v2, v6, v0, vcc
	v_cndmask_b32_e64 v0, 0, 1, vcc
	v_lshrrev_b64 v[0:1], v0, v[52:53]
; %bb.8906:                             ;   in Loop: Header=BB6_8499 Depth=3
	s_andn2_saveexec_b64 s[40:41], s[40:41]
; %bb.8907:                             ;   in Loop: Header=BB6_8499 Depth=3
	v_mov_b32_e32 v0, v52
	v_mov_b32_e32 v1, v53
	v_bfe_u32 v2, v52, 23, 1
; %bb.8908:                             ;   in Loop: Header=BB6_8499 Depth=3
	s_or_b64 exec, exec, s[40:41]
	v_lshrrev_b64 v[0:1], 20, v[0:1]
	v_cmp_gt_i32_e32 vcc, 16, v2
	v_cndmask_b32_e32 v1, 0, v1, vcc
	v_cndmask_b32_e32 v0, 7, v0, vcc
	v_cmp_eq_u64_e64 s[40:41], 0, v[0:1]
	v_min_i32_e32 v1, 15, v2
	v_lshlrev_b32_e32 v1, 3, v1
	v_cmp_eq_u32_e32 vcc, 0, v2
	v_and_b32_e32 v1, 0xf8, v1
	v_and_or_b32 v0, v0, 7, v1
	s_and_b64 s[40:41], vcc, s[40:41]
	v_cndmask_b32_e64 v0, v0, 0, s[40:41]
	v_or_b32_e32 v35, v0, v3
.LBB6_8909:                             ;   in Loop: Header=BB6_8499 Depth=3
	s_or_b64 exec, exec, s[46:47]
                                        ; implicit-def: $vgpr3
.LBB6_8910:                             ;   in Loop: Header=BB6_8499 Depth=3
	s_andn2_saveexec_b64 s[40:41], s[44:45]
; %bb.8911:                             ;   in Loop: Header=BB6_8499 Depth=3
	v_or_b32_e32 v35, 0x7e, v3
; %bb.8912:                             ;   in Loop: Header=BB6_8499 Depth=3
	s_or_b64 exec, exec, s[40:41]
                                        ; implicit-def: $vgpr1
.LBB6_8913:                             ;   in Loop: Header=BB6_8499 Depth=3
	s_andn2_saveexec_b64 s[40:41], s[42:43]
; %bb.8914:                             ;   in Loop: Header=BB6_8499 Depth=3
	v_or_b32_sdwa v35, v1, s83 dst_sel:DWORD dst_unused:UNUSED_PAD src0_sel:BYTE_3 src1_sel:DWORD
; %bb.8915:                             ;   in Loop: Header=BB6_8499 Depth=3
	s_or_b64 exec, exec, s[40:41]
	v_bfe_u32 v3, v14, 16, 3
	v_bfe_u32 v1, v14, 16, 7
	v_cmp_eq_u32_e64 s[40:41], s83, v1
	v_cmp_gt_u32_e32 vcc, 8, v1
	v_ffbh_u32_e32 v1, v3
	v_min_u32_e32 v7, 32, v1
	v_lshrrev_b32_e32 v0, 16, v14
	v_subrev_u32_e32 v1, 28, v7
	v_lshlrev_b64 v[1:2], v1, v[0:1]
	v_bfe_u32 v6, v0, 3, 4
	v_sub_u32_e32 v2, 29, v7
	v_and_b32_e32 v1, 7, v1
	v_cndmask_b32_e32 v2, v6, v2, vcc
	v_cndmask_b32_e32 v1, v3, v1, vcc
	v_lshlrev_b32_e32 v3, 8, v14
	v_bfrev_b32_e32 v6, 60
	v_lshlrev_b32_e32 v1, 20, v1
	v_and_b32_e32 v3, 0x80000000, v3
	v_lshl_add_u32 v2, v2, 23, v6
	v_or3_b32 v1, v3, v2, v1
	v_lshrrev_b32_e32 v2, 16, v10
	v_cmp_ne_u16_sdwa s[42:43], v2, v53 src0_sel:BYTE_0 src1_sel:DWORD
	s_mov_b64 s[44:45], -1
	s_and_b64 vcc, exec, s[52:53]
                                        ; implicit-def: $vgpr6
	s_cbranch_vccz .LBB6_8929
; %bb.8916:                             ;   in Loop: Header=BB6_8499 Depth=3
	v_mov_b32_e32 v3, 0
	s_and_saveexec_b64 s[44:45], s[42:43]
	s_cbranch_execz .LBB6_8922
; %bb.8917:                             ;   in Loop: Header=BB6_8499 Depth=3
	v_cmp_ne_u16_sdwa vcc, v2, s82 src0_sel:BYTE_0 src1_sel:DWORD
	v_bfrev_b32_e32 v3, 1
	s_and_saveexec_b64 s[46:47], vcc
	s_cbranch_execz .LBB6_8921
; %bb.8918:                             ;   in Loop: Header=BB6_8499 Depth=3
	v_bfe_u32 v6, v10, 16, 7
	v_cmp_ne_u32_e32 vcc, s83, v6
	v_mov_b32_e32 v3, 0x7f800001
	s_and_saveexec_b64 s[54:55], vcc
	s_cbranch_execz .LBB6_8920
; %bb.8919:                             ;   in Loop: Header=BB6_8499 Depth=3
	v_and_b32_e32 v3, 7, v2
	v_lshrrev_b32_e32 v8, 3, v6
	v_cmp_gt_u32_e32 vcc, 8, v6
	v_ffbh_u32_e32 v6, v3
	v_min_u32_e32 v9, 32, v6
	v_subrev_u32_e32 v6, 28, v9
	v_lshlrev_b64 v[6:7], v6, v[2:3]
	v_sub_u32_e32 v7, 29, v9
	v_and_b32_e32 v6, 7, v6
	v_cndmask_b32_e32 v7, v8, v7, vcc
	v_cndmask_b32_e32 v3, v3, v6, vcc
	v_lshlrev_b32_e32 v6, 24, v2
	v_bfrev_b32_e32 v8, 60
	v_lshlrev_b32_e32 v3, 20, v3
	v_and_b32_e32 v6, 0x80000000, v6
	v_lshl_add_u32 v7, v7, 23, v8
	v_or3_b32 v3, v6, v7, v3
.LBB6_8920:                             ;   in Loop: Header=BB6_8499 Depth=3
	s_or_b64 exec, exec, s[54:55]
.LBB6_8921:                             ;   in Loop: Header=BB6_8499 Depth=3
	s_or_b64 exec, exec, s[46:47]
.LBB6_8922:                             ;   in Loop: Header=BB6_8499 Depth=3
	s_or_b64 exec, exec, s[44:45]
	v_cmp_gt_i16_sdwa s[46:47], v0, s83 src0_sel:BYTE_0 src1_sel:DWORD
	s_mov_b64 s[44:45], 0
	s_and_saveexec_b64 vcc, s[46:47]
	s_xor_b64 s[46:47], exec, vcc
	s_cbranch_execz .LBB6_9190
; %bb.8923:                             ;   in Loop: Header=BB6_8499 Depth=3
	v_cmp_eq_u16_sdwa s[54:55], v0, s82 src0_sel:BYTE_0 src1_sel:DWORD
	s_mov_b64 s[44:45], -1
	s_and_saveexec_b64 vcc, s[54:55]
; %bb.8924:                             ;   in Loop: Header=BB6_8499 Depth=3
	s_xor_b64 s[44:45], exec, -1
; %bb.8925:                             ;   in Loop: Header=BB6_8499 Depth=3
	s_or_b64 exec, exec, vcc
	s_and_b64 s[44:45], s[44:45], exec
	s_or_saveexec_b64 s[46:47], s[46:47]
	v_bfrev_b32_e32 v6, 1
	s_xor_b64 exec, exec, s[46:47]
	s_cbranch_execnz .LBB6_9191
.LBB6_8926:                             ;   in Loop: Header=BB6_8499 Depth=3
	s_or_b64 exec, exec, s[46:47]
	s_and_saveexec_b64 s[46:47], s[44:45]
.LBB6_8927:                             ;   in Loop: Header=BB6_8499 Depth=3
	v_mov_b32_e32 v6, 0x7f800001
	v_cndmask_b32_e64 v6, v1, v6, s[40:41]
.LBB6_8928:                             ;   in Loop: Header=BB6_8499 Depth=3
	s_or_b64 exec, exec, s[46:47]
	v_max_f32_e32 v6, v6, v6
	v_max_f32_e32 v3, v3, v3
	;; [unrolled: 1-line block ×3, first 2 shown]
	s_mov_b64 s[44:45], 0
.LBB6_8929:                             ;   in Loop: Header=BB6_8499 Depth=3
	s_and_b64 vcc, exec, s[44:45]
	s_cbranch_vccz .LBB6_8943
; %bb.8930:                             ;   in Loop: Header=BB6_8499 Depth=3
	v_mov_b32_e32 v3, 0
	s_and_saveexec_b64 s[44:45], s[42:43]
	s_cbranch_execz .LBB6_8936
; %bb.8931:                             ;   in Loop: Header=BB6_8499 Depth=3
	v_cmp_ne_u16_sdwa s[46:47], v2, s82 src0_sel:BYTE_0 src1_sel:DWORD
	v_bfrev_b32_e32 v3, 1
	s_and_saveexec_b64 s[42:43], s[46:47]
	s_cbranch_execz .LBB6_8935
; %bb.8932:                             ;   in Loop: Header=BB6_8499 Depth=3
	v_bfe_u32 v6, v10, 16, 7
	v_cmp_ne_u32_e32 vcc, s83, v6
	v_mov_b32_e32 v3, 0x7f800001
	s_and_saveexec_b64 s[46:47], vcc
	s_cbranch_execz .LBB6_8934
; %bb.8933:                             ;   in Loop: Header=BB6_8499 Depth=3
	v_and_b32_e32 v3, 7, v2
	v_lshrrev_b32_e32 v8, 3, v6
	v_cmp_gt_u32_e32 vcc, 8, v6
	v_ffbh_u32_e32 v6, v3
	v_min_u32_e32 v9, 32, v6
	v_subrev_u32_e32 v6, 28, v9
	v_lshlrev_b64 v[6:7], v6, v[2:3]
	v_sub_u32_e32 v7, 29, v9
	v_and_b32_e32 v6, 7, v6
	v_cndmask_b32_e32 v7, v8, v7, vcc
	v_cndmask_b32_e32 v3, v3, v6, vcc
	v_lshlrev_b32_e32 v2, 24, v2
	v_bfrev_b32_e32 v6, 60
	v_lshlrev_b32_e32 v3, 20, v3
	v_and_b32_e32 v2, 0x80000000, v2
	v_lshl_add_u32 v6, v7, 23, v6
	v_or3_b32 v3, v2, v6, v3
.LBB6_8934:                             ;   in Loop: Header=BB6_8499 Depth=3
	s_or_b64 exec, exec, s[46:47]
.LBB6_8935:                             ;   in Loop: Header=BB6_8499 Depth=3
	s_or_b64 exec, exec, s[42:43]
.LBB6_8936:                             ;   in Loop: Header=BB6_8499 Depth=3
	s_or_b64 exec, exec, s[44:45]
	v_cmp_gt_i16_sdwa s[44:45], v0, s83 src0_sel:BYTE_0 src1_sel:DWORD
	s_mov_b64 s[42:43], 0
	s_and_saveexec_b64 s[46:47], s[44:45]
	s_xor_b64 s[44:45], exec, s[46:47]
	s_cbranch_execz .LBB6_9192
; %bb.8937:                             ;   in Loop: Header=BB6_8499 Depth=3
	v_cmp_eq_u16_sdwa vcc, v0, s82 src0_sel:BYTE_0 src1_sel:DWORD
	s_mov_b64 s[42:43], -1
	s_and_saveexec_b64 s[46:47], vcc
; %bb.8938:                             ;   in Loop: Header=BB6_8499 Depth=3
	s_xor_b64 s[42:43], exec, -1
; %bb.8939:                             ;   in Loop: Header=BB6_8499 Depth=3
	s_or_b64 exec, exec, s[46:47]
	s_and_b64 s[42:43], s[42:43], exec
                                        ; implicit-def: $vgpr0
	s_or_saveexec_b64 s[44:45], s[44:45]
	v_bfrev_b32_e32 v2, 1
	s_xor_b64 exec, exec, s[44:45]
	s_cbranch_execnz .LBB6_9193
.LBB6_8940:                             ;   in Loop: Header=BB6_8499 Depth=3
	s_or_b64 exec, exec, s[44:45]
	s_and_saveexec_b64 s[44:45], s[42:43]
.LBB6_8941:                             ;   in Loop: Header=BB6_8499 Depth=3
	v_mov_b32_e32 v0, 0x7f800001
	v_cndmask_b32_e64 v2, v1, v0, s[40:41]
.LBB6_8942:                             ;   in Loop: Header=BB6_8499 Depth=3
	s_or_b64 exec, exec, s[44:45]
	v_max_f32_e32 v0, v2, v2
	v_max_f32_e32 v1, v3, v3
	v_min_f32_e32 v6, v1, v0
.LBB6_8943:                             ;   in Loop: Header=BB6_8499 Depth=3
	v_and_b32_e32 v52, 0x7f800000, v6
	v_cmp_ne_u64_e32 vcc, s[76:77], v[52:53]
                                        ; implicit-def: $vgpr36
	s_and_saveexec_b64 s[40:41], vcc
	s_xor_b64 s[42:43], exec, s[40:41]
	s_cbranch_execz .LBB6_8957
; %bb.8944:                             ;   in Loop: Header=BB6_8499 Depth=3
	v_and_b32_e32 v52, 0x7fffffff, v6
	v_cmp_gt_u64_e32 vcc, s[78:79], v[52:53]
	v_and_b32_sdwa v3, v6, s82 dst_sel:DWORD dst_unused:UNUSED_PAD src0_sel:BYTE_3 src1_sel:DWORD
                                        ; implicit-def: $vgpr36
	s_and_saveexec_b64 s[40:41], vcc
	s_xor_b64 s[44:45], exec, s[40:41]
	s_cbranch_execz .LBB6_8954
; %bb.8945:                             ;   in Loop: Header=BB6_8499 Depth=3
	v_mov_b32_e32 v36, 0
	v_cmp_ne_u32_e32 vcc, 0, v6
	s_and_saveexec_b64 s[46:47], vcc
	s_cbranch_execz .LBB6_8953
; %bb.8946:                             ;   in Loop: Header=BB6_8499 Depth=3
	v_and_b32_e32 v0, 0x7fffff, v6
	v_bfe_u32 v6, v6, 23, 8
	v_cmp_gt_u32_e64 s[40:41], s85, v6
	v_sub_u32_e32 v1, 0x79, v6
	v_cmp_eq_u32_e32 vcc, 0, v6
	v_cndmask_b32_e64 v1, 0, v1, s[40:41]
	v_mov_b32_e32 v7, 0x78
	v_or_b32_e32 v2, 0x800000, v0
	v_cndmask_b32_e32 v7, v1, v7, vcc
	v_cndmask_b32_e32 v52, v2, v0, vcc
	v_add_u32_e32 v0, 20, v7
	v_lshlrev_b64 v[0:1], v0, -1
	v_add_u32_e32 v2, 19, v7
	v_lshlrev_b64 v[8:9], v2, 1
	v_bfi_b32 v1, v1, 0, 0
	v_bfi_b32 v0, v0, 0, v52
	v_cmp_eq_u64_e64 s[40:41], v[0:1], v[8:9]
	v_lshrrev_b64 v[0:1], v7, v[52:53]
	v_mov_b32_e32 v2, v1
	v_mov_b32_e32 v1, v0
	s_and_saveexec_b64 s[54:55], s[40:41]
; %bb.8947:                             ;   in Loop: Header=BB6_8499 Depth=3
	v_bfe_u32 v1, v0, 20, 1
	v_add_co_u32_e64 v1, s[40:41], v0, v1
	v_add_co_u32_e64 v1, s[40:41], -1, v1
; %bb.8948:                             ;   in Loop: Header=BB6_8499 Depth=3
	s_or_b64 exec, exec, s[54:55]
	v_add_u32_e32 v2, 0xffffff81, v6
	v_mov_b32_e32 v6, 0xffffff82
	v_cndmask_b32_e32 v2, v2, v6, vcc
	v_lshrrev_b32_e32 v6, 23, v0
	v_add3_u32 v7, v7, v2, v6
	v_add_u32_e32 v6, 6, v7
	v_and_b32_e32 v1, 0xfffff, v1
	v_add_u32_e32 v52, v1, v0
	v_cmp_ne_u32_e32 vcc, 0, v6
                                        ; implicit-def: $vgpr0_vgpr1
                                        ; implicit-def: $vgpr2
	s_and_saveexec_b64 s[40:41], vcc
	s_xor_b64 s[40:41], exec, s[40:41]
; %bb.8949:                             ;   in Loop: Header=BB6_8499 Depth=3
	v_cmp_lt_u64_e32 vcc, s[88:89], v[52:53]
	v_add_u32_e32 v0, 7, v7
	v_cndmask_b32_e32 v2, v6, v0, vcc
	v_cndmask_b32_e64 v0, 0, 1, vcc
	v_lshrrev_b64 v[0:1], v0, v[52:53]
; %bb.8950:                             ;   in Loop: Header=BB6_8499 Depth=3
	s_andn2_saveexec_b64 s[40:41], s[40:41]
; %bb.8951:                             ;   in Loop: Header=BB6_8499 Depth=3
	v_mov_b32_e32 v0, v52
	v_mov_b32_e32 v1, v53
	v_bfe_u32 v2, v52, 23, 1
; %bb.8952:                             ;   in Loop: Header=BB6_8499 Depth=3
	s_or_b64 exec, exec, s[40:41]
	v_lshrrev_b64 v[0:1], 20, v[0:1]
	v_cmp_gt_i32_e32 vcc, 16, v2
	v_cndmask_b32_e32 v1, 0, v1, vcc
	v_cndmask_b32_e32 v0, 7, v0, vcc
	v_cmp_eq_u64_e64 s[40:41], 0, v[0:1]
	v_min_i32_e32 v1, 15, v2
	v_lshlrev_b32_e32 v1, 3, v1
	v_cmp_eq_u32_e32 vcc, 0, v2
	v_and_b32_e32 v1, 0xf8, v1
	v_and_or_b32 v0, v0, 7, v1
	s_and_b64 s[40:41], vcc, s[40:41]
	v_cndmask_b32_e64 v0, v0, 0, s[40:41]
	v_or_b32_e32 v36, v0, v3
.LBB6_8953:                             ;   in Loop: Header=BB6_8499 Depth=3
	s_or_b64 exec, exec, s[46:47]
                                        ; implicit-def: $vgpr3
.LBB6_8954:                             ;   in Loop: Header=BB6_8499 Depth=3
	s_andn2_saveexec_b64 s[40:41], s[44:45]
; %bb.8955:                             ;   in Loop: Header=BB6_8499 Depth=3
	v_or_b32_e32 v36, 0x7e, v3
; %bb.8956:                             ;   in Loop: Header=BB6_8499 Depth=3
	s_or_b64 exec, exec, s[40:41]
                                        ; implicit-def: $vgpr6
.LBB6_8957:                             ;   in Loop: Header=BB6_8499 Depth=3
	s_andn2_saveexec_b64 s[40:41], s[42:43]
; %bb.8958:                             ;   in Loop: Header=BB6_8499 Depth=3
	v_or_b32_sdwa v36, v6, s83 dst_sel:DWORD dst_unused:UNUSED_PAD src0_sel:BYTE_3 src1_sel:DWORD
; %bb.8959:                             ;   in Loop: Header=BB6_8499 Depth=3
	s_or_b64 exec, exec, s[40:41]
	v_bfe_u32 v3, v14, 24, 3
	v_bfe_u32 v2, v14, 24, 7
	v_cmp_eq_u32_e64 s[44:45], s83, v2
	v_cmp_gt_u32_e32 vcc, 8, v2
	v_ffbh_u32_e32 v2, v3
	v_min_u32_e32 v7, 32, v2
	v_lshrrev_b32_e32 v1, 24, v14
	v_subrev_u32_e32 v2, 28, v7
	v_bfe_u32 v6, v1, 3, 4
	v_cmp_eq_u32_e64 s[42:43], s82, v1
	v_lshlrev_b64 v[1:2], v2, v[1:2]
	v_sub_u32_e32 v2, 29, v7
	v_and_b32_e32 v1, 7, v1
	v_cndmask_b32_e32 v2, v6, v2, vcc
	v_cndmask_b32_e32 v1, v3, v1, vcc
	v_bfrev_b32_e32 v6, 60
	v_lshlrev_b32_e32 v1, 20, v1
	v_and_b32_e32 v3, 0x80000000, v14
	v_lshl_add_u32 v2, v2, 23, v6
	v_lshrrev_b32_e32 v0, 24, v10
	v_cmp_gt_u32_e64 s[40:41], s61, v14
	v_or3_b32 v1, v3, v2, v1
	v_cmp_lt_u32_e64 s[46:47], s63, v10
	s_mov_b64 s[54:55], -1
	s_and_b64 vcc, exec, s[52:53]
                                        ; implicit-def: $vgpr2
	s_cbranch_vccz .LBB6_8967
; %bb.8960:                             ;   in Loop: Header=BB6_8499 Depth=3
	v_mov_b32_e32 v2, 0
	s_and_saveexec_b64 s[54:55], s[46:47]
	s_cbranch_execz .LBB6_8966
; %bb.8961:                             ;   in Loop: Header=BB6_8499 Depth=3
	v_cmp_ne_u32_e32 vcc, s82, v0
	v_bfrev_b32_e32 v2, 1
	s_and_saveexec_b64 s[64:65], vcc
	s_cbranch_execz .LBB6_8965
; %bb.8962:                             ;   in Loop: Header=BB6_8499 Depth=3
	v_bfe_u32 v3, v10, 24, 7
	v_cmp_ne_u32_e32 vcc, s83, v3
	v_mov_b32_e32 v2, 0x7f800001
	s_and_saveexec_b64 s[66:67], vcc
	s_cbranch_execz .LBB6_8964
; %bb.8963:                             ;   in Loop: Header=BB6_8499 Depth=3
	v_and_b32_e32 v6, 7, v0
	v_ffbh_u32_e32 v2, v6
	v_min_u32_e32 v8, 32, v2
	v_subrev_u32_e32 v2, 28, v8
	v_lshrrev_b32_e32 v7, 3, v3
	v_cmp_gt_u32_e32 vcc, 8, v3
	v_lshlrev_b64 v[2:3], v2, v[0:1]
	v_sub_u32_e32 v3, 29, v8
	v_and_b32_e32 v2, 7, v2
	v_cndmask_b32_e32 v3, v7, v3, vcc
	v_cndmask_b32_e32 v2, v6, v2, vcc
	v_lshlrev_b32_e32 v6, 24, v0
	v_bfrev_b32_e32 v7, 60
	v_lshlrev_b32_e32 v2, 20, v2
	v_and_b32_e32 v6, 0x80000000, v6
	v_lshl_add_u32 v3, v3, 23, v7
	v_or3_b32 v2, v6, v3, v2
.LBB6_8964:                             ;   in Loop: Header=BB6_8499 Depth=3
	s_or_b64 exec, exec, s[66:67]
.LBB6_8965:                             ;   in Loop: Header=BB6_8499 Depth=3
	s_or_b64 exec, exec, s[64:65]
.LBB6_8966:                             ;   in Loop: Header=BB6_8499 Depth=3
	s_or_b64 exec, exec, s[54:55]
	v_mov_b32_e32 v3, 0x7f800001
	v_cndmask_b32_e64 v3, v1, v3, s[44:45]
	v_bfrev_b32_e32 v6, 1
	v_cndmask_b32_e64 v3, v3, v6, s[42:43]
	v_cndmask_b32_e64 v3, v3, 0, s[40:41]
	v_max_f32_e32 v3, v3, v3
	v_max_f32_e32 v2, v2, v2
	;; [unrolled: 1-line block ×3, first 2 shown]
	s_mov_b64 s[54:55], 0
.LBB6_8967:                             ;   in Loop: Header=BB6_8499 Depth=3
	s_and_b64 vcc, exec, s[54:55]
	s_cbranch_vccz .LBB6_8975
; %bb.8968:                             ;   in Loop: Header=BB6_8499 Depth=3
	v_mov_b32_e32 v2, 0
	s_and_saveexec_b64 s[54:55], s[46:47]
	s_cbranch_execz .LBB6_8974
; %bb.8969:                             ;   in Loop: Header=BB6_8499 Depth=3
	v_cmp_ne_u32_e32 vcc, s82, v0
	v_bfrev_b32_e32 v2, 1
	s_and_saveexec_b64 s[46:47], vcc
	s_cbranch_execz .LBB6_8973
; %bb.8970:                             ;   in Loop: Header=BB6_8499 Depth=3
	v_bfe_u32 v3, v10, 24, 7
	v_cmp_ne_u32_e32 vcc, s83, v3
	v_mov_b32_e32 v2, 0x7f800001
	s_and_saveexec_b64 s[64:65], vcc
	s_cbranch_execz .LBB6_8972
; %bb.8971:                             ;   in Loop: Header=BB6_8499 Depth=3
	v_and_b32_e32 v6, 7, v0
	v_ffbh_u32_e32 v2, v6
	v_min_u32_e32 v8, 32, v2
	v_subrev_u32_e32 v2, 28, v8
	v_lshrrev_b32_e32 v7, 3, v3
	v_cmp_gt_u32_e32 vcc, 8, v3
	v_lshlrev_b64 v[2:3], v2, v[0:1]
	v_sub_u32_e32 v3, 29, v8
	v_and_b32_e32 v2, 7, v2
	v_cndmask_b32_e32 v3, v7, v3, vcc
	v_cndmask_b32_e32 v2, v6, v2, vcc
	v_lshlrev_b32_e32 v0, 24, v0
	v_bfrev_b32_e32 v6, 60
	v_lshlrev_b32_e32 v2, 20, v2
	v_and_b32_e32 v0, 0x80000000, v0
	v_lshl_add_u32 v3, v3, 23, v6
	v_or3_b32 v2, v0, v3, v2
.LBB6_8972:                             ;   in Loop: Header=BB6_8499 Depth=3
	s_or_b64 exec, exec, s[64:65]
.LBB6_8973:                             ;   in Loop: Header=BB6_8499 Depth=3
	s_or_b64 exec, exec, s[46:47]
.LBB6_8974:                             ;   in Loop: Header=BB6_8499 Depth=3
	s_or_b64 exec, exec, s[54:55]
	v_mov_b32_e32 v0, 0x7f800001
	v_cndmask_b32_e64 v0, v1, v0, s[44:45]
	v_bfrev_b32_e32 v1, 1
	v_cndmask_b32_e64 v0, v0, v1, s[42:43]
	v_cndmask_b32_e64 v0, v0, 0, s[40:41]
	v_max_f32_e32 v0, v0, v0
	v_max_f32_e32 v1, v2, v2
	v_min_f32_e32 v2, v1, v0
.LBB6_8975:                             ;   in Loop: Header=BB6_8499 Depth=3
	v_and_b32_e32 v52, 0x7f800000, v2
	v_cmp_ne_u64_e32 vcc, s[76:77], v[52:53]
                                        ; implicit-def: $vgpr37
	s_and_saveexec_b64 s[40:41], vcc
	s_xor_b64 s[42:43], exec, s[40:41]
	s_cbranch_execz .LBB6_8989
; %bb.8976:                             ;   in Loop: Header=BB6_8499 Depth=3
	v_and_b32_e32 v52, 0x7fffffff, v2
	v_cmp_gt_u64_e32 vcc, s[78:79], v[52:53]
	v_and_b32_sdwa v3, v2, s82 dst_sel:DWORD dst_unused:UNUSED_PAD src0_sel:BYTE_3 src1_sel:DWORD
                                        ; implicit-def: $vgpr37
	s_and_saveexec_b64 s[40:41], vcc
	s_xor_b64 s[44:45], exec, s[40:41]
	s_cbranch_execz .LBB6_8986
; %bb.8977:                             ;   in Loop: Header=BB6_8499 Depth=3
	v_mov_b32_e32 v37, 0
	v_cmp_ne_u32_e32 vcc, 0, v2
	s_and_saveexec_b64 s[46:47], vcc
	s_cbranch_execz .LBB6_8985
; %bb.8978:                             ;   in Loop: Header=BB6_8499 Depth=3
	v_bfe_u32 v6, v2, 23, 8
	v_cmp_gt_u32_e64 s[40:41], s85, v6
	v_sub_u32_e32 v1, 0x79, v6
	v_and_b32_e32 v0, 0x7fffff, v2
	v_cmp_eq_u32_e32 vcc, 0, v6
	v_cndmask_b32_e64 v1, 0, v1, s[40:41]
	v_mov_b32_e32 v7, 0x78
	v_or_b32_e32 v2, 0x800000, v0
	v_cndmask_b32_e32 v7, v1, v7, vcc
	v_cndmask_b32_e32 v52, v2, v0, vcc
	v_add_u32_e32 v0, 20, v7
	v_lshlrev_b64 v[0:1], v0, -1
	v_add_u32_e32 v2, 19, v7
	v_lshlrev_b64 v[8:9], v2, 1
	v_bfi_b32 v1, v1, 0, 0
	v_bfi_b32 v0, v0, 0, v52
	v_cmp_eq_u64_e64 s[40:41], v[0:1], v[8:9]
	v_lshrrev_b64 v[0:1], v7, v[52:53]
	v_mov_b32_e32 v2, v1
	v_mov_b32_e32 v1, v0
	s_and_saveexec_b64 s[54:55], s[40:41]
; %bb.8979:                             ;   in Loop: Header=BB6_8499 Depth=3
	v_bfe_u32 v1, v0, 20, 1
	v_add_co_u32_e64 v1, s[40:41], v0, v1
	v_add_co_u32_e64 v1, s[40:41], -1, v1
; %bb.8980:                             ;   in Loop: Header=BB6_8499 Depth=3
	s_or_b64 exec, exec, s[54:55]
	v_add_u32_e32 v2, 0xffffff81, v6
	v_mov_b32_e32 v6, 0xffffff82
	v_cndmask_b32_e32 v2, v2, v6, vcc
	v_lshrrev_b32_e32 v6, 23, v0
	v_add3_u32 v7, v7, v2, v6
	v_add_u32_e32 v6, 6, v7
	v_and_b32_e32 v1, 0xfffff, v1
	v_add_u32_e32 v52, v1, v0
	v_cmp_ne_u32_e32 vcc, 0, v6
                                        ; implicit-def: $vgpr0_vgpr1
                                        ; implicit-def: $vgpr2
	s_and_saveexec_b64 s[40:41], vcc
	s_xor_b64 s[40:41], exec, s[40:41]
; %bb.8981:                             ;   in Loop: Header=BB6_8499 Depth=3
	v_cmp_lt_u64_e32 vcc, s[88:89], v[52:53]
	v_add_u32_e32 v0, 7, v7
	v_cndmask_b32_e32 v2, v6, v0, vcc
	v_cndmask_b32_e64 v0, 0, 1, vcc
	v_lshrrev_b64 v[0:1], v0, v[52:53]
; %bb.8982:                             ;   in Loop: Header=BB6_8499 Depth=3
	s_andn2_saveexec_b64 s[40:41], s[40:41]
; %bb.8983:                             ;   in Loop: Header=BB6_8499 Depth=3
	v_mov_b32_e32 v0, v52
	v_mov_b32_e32 v1, v53
	v_bfe_u32 v2, v52, 23, 1
; %bb.8984:                             ;   in Loop: Header=BB6_8499 Depth=3
	s_or_b64 exec, exec, s[40:41]
	v_lshrrev_b64 v[0:1], 20, v[0:1]
	v_cmp_gt_i32_e32 vcc, 16, v2
	v_cndmask_b32_e32 v1, 0, v1, vcc
	v_cndmask_b32_e32 v0, 7, v0, vcc
	v_cmp_eq_u64_e64 s[40:41], 0, v[0:1]
	v_min_i32_e32 v1, 15, v2
	v_lshlrev_b32_e32 v1, 3, v1
	v_cmp_eq_u32_e32 vcc, 0, v2
	v_and_b32_e32 v1, 0xf8, v1
	v_and_or_b32 v0, v0, 7, v1
	s_and_b64 s[40:41], vcc, s[40:41]
	v_cndmask_b32_e64 v0, v0, 0, s[40:41]
	v_or_b32_e32 v37, v0, v3
.LBB6_8985:                             ;   in Loop: Header=BB6_8499 Depth=3
	s_or_b64 exec, exec, s[46:47]
                                        ; implicit-def: $vgpr3
.LBB6_8986:                             ;   in Loop: Header=BB6_8499 Depth=3
	s_andn2_saveexec_b64 s[40:41], s[44:45]
; %bb.8987:                             ;   in Loop: Header=BB6_8499 Depth=3
	v_or_b32_e32 v37, 0x7e, v3
; %bb.8988:                             ;   in Loop: Header=BB6_8499 Depth=3
	s_or_b64 exec, exec, s[40:41]
                                        ; implicit-def: $vgpr2
.LBB6_8989:                             ;   in Loop: Header=BB6_8499 Depth=3
	s_andn2_saveexec_b64 s[40:41], s[42:43]
; %bb.8990:                             ;   in Loop: Header=BB6_8499 Depth=3
	v_or_b32_sdwa v37, v2, s83 dst_sel:DWORD dst_unused:UNUSED_PAD src0_sel:BYTE_3 src1_sel:DWORD
; %bb.8991:                             ;   in Loop: Header=BB6_8499 Depth=3
	s_or_b64 exec, exec, s[40:41]
	v_and_b32_e32 v0, 7, v15
	v_ffbh_u32_e32 v0, v0
	v_and_b32_e32 v1, 0x7f, v15
	v_min_u32_e32 v0, 32, v0
	v_bfe_u32 v6, v15, 3, 4
	v_cmp_eq_u32_e64 s[40:41], s83, v1
	v_cmp_gt_u32_e32 vcc, 8, v1
	v_subrev_u32_e32 v1, 28, v0
	v_sub_u32_e32 v0, 29, v0
	v_mov_b32_e32 v2, v15
	v_mov_b32_e32 v3, v53
	v_cndmask_b32_e32 v6, v6, v0, vcc
	v_cndmask_b32_e32 v0, 0, v1, vcc
	v_lshlrev_b64 v[0:1], v0, v[2:3]
	v_lshlrev_b32_e32 v1, 24, v15
	v_lshlrev_b32_e32 v0, 20, v0
	v_bfrev_b32_e32 v3, 60
	v_and_b32_e32 v0, 0x700000, v0
	v_and_b32_e32 v1, 0x80000000, v1
	v_lshl_add_u32 v3, v6, 23, v3
	v_mov_b32_e32 v52, v11
	v_or3_b32 v0, v1, v3, v0
	v_cmp_ne_u16_sdwa s[42:43], v11, v53 src0_sel:BYTE_0 src1_sel:DWORD
	s_mov_b64 s[44:45], -1
	s_and_b64 vcc, exec, s[52:53]
                                        ; implicit-def: $vgpr1
	s_cbranch_vccz .LBB6_9005
; %bb.8992:                             ;   in Loop: Header=BB6_8499 Depth=3
	v_mov_b32_e32 v1, 0
	s_and_saveexec_b64 s[44:45], s[42:43]
	s_cbranch_execz .LBB6_8998
; %bb.8993:                             ;   in Loop: Header=BB6_8499 Depth=3
	v_cmp_ne_u16_sdwa vcc, v11, s82 src0_sel:BYTE_0 src1_sel:DWORD
	v_bfrev_b32_e32 v1, 1
	s_and_saveexec_b64 s[46:47], vcc
	s_cbranch_execz .LBB6_8997
; %bb.8994:                             ;   in Loop: Header=BB6_8499 Depth=3
	v_and_b32_e32 v3, 0x7f, v11
	v_cmp_ne_u32_e32 vcc, s83, v3
	v_mov_b32_e32 v1, 0x7f800001
	s_and_saveexec_b64 s[54:55], vcc
	s_cbranch_execz .LBB6_8996
; %bb.8995:                             ;   in Loop: Header=BB6_8499 Depth=3
	v_and_b32_e32 v1, 7, v11
	v_ffbh_u32_e32 v1, v1
	v_min_u32_e32 v1, 32, v1
	v_lshrrev_b32_e32 v6, 3, v3
	v_cmp_gt_u32_e32 vcc, 8, v3
	v_subrev_u32_e32 v3, 28, v1
	v_sub_u32_e32 v1, 29, v1
	v_cndmask_b32_e32 v3, 0, v3, vcc
	v_cndmask_b32_e32 v1, v6, v1, vcc
	v_lshlrev_b64 v[6:7], v3, v[52:53]
	v_bfrev_b32_e32 v7, 60
	v_lshlrev_b32_e32 v3, 20, v6
	v_lshlrev_b32_e32 v6, 24, v52
	v_and_b32_e32 v3, 0x700000, v3
	v_and_b32_e32 v6, 0x80000000, v6
	v_lshl_add_u32 v1, v1, 23, v7
	v_or3_b32 v1, v6, v1, v3
.LBB6_8996:                             ;   in Loop: Header=BB6_8499 Depth=3
	s_or_b64 exec, exec, s[54:55]
.LBB6_8997:                             ;   in Loop: Header=BB6_8499 Depth=3
	s_or_b64 exec, exec, s[46:47]
.LBB6_8998:                             ;   in Loop: Header=BB6_8499 Depth=3
	s_or_b64 exec, exec, s[44:45]
	v_cmp_gt_i16_sdwa s[46:47], v15, s83 src0_sel:BYTE_0 src1_sel:DWORD
	s_mov_b64 s[44:45], 0
	s_and_saveexec_b64 vcc, s[46:47]
	s_xor_b64 s[46:47], exec, vcc
	s_cbranch_execz .LBB6_9194
; %bb.8999:                             ;   in Loop: Header=BB6_8499 Depth=3
	v_cmp_eq_u16_sdwa s[54:55], v15, s82 src0_sel:BYTE_0 src1_sel:DWORD
	s_mov_b64 s[44:45], -1
	s_and_saveexec_b64 vcc, s[54:55]
; %bb.9000:                             ;   in Loop: Header=BB6_8499 Depth=3
	s_xor_b64 s[44:45], exec, -1
; %bb.9001:                             ;   in Loop: Header=BB6_8499 Depth=3
	s_or_b64 exec, exec, vcc
	s_and_b64 s[44:45], s[44:45], exec
	s_or_saveexec_b64 s[46:47], s[46:47]
	v_bfrev_b32_e32 v3, 1
	s_xor_b64 exec, exec, s[46:47]
	s_cbranch_execnz .LBB6_9195
.LBB6_9002:                             ;   in Loop: Header=BB6_8499 Depth=3
	s_or_b64 exec, exec, s[46:47]
	s_and_saveexec_b64 s[46:47], s[44:45]
.LBB6_9003:                             ;   in Loop: Header=BB6_8499 Depth=3
	v_mov_b32_e32 v3, 0x7f800001
	v_cndmask_b32_e64 v3, v0, v3, s[40:41]
.LBB6_9004:                             ;   in Loop: Header=BB6_8499 Depth=3
	s_or_b64 exec, exec, s[46:47]
	v_max_f32_e32 v3, v3, v3
	v_max_f32_e32 v1, v1, v1
	v_max_f32_e32 v1, v1, v3
	s_mov_b64 s[44:45], 0
.LBB6_9005:                             ;   in Loop: Header=BB6_8499 Depth=3
	s_and_b64 vcc, exec, s[44:45]
	s_cbranch_vccz .LBB6_9019
; %bb.9006:                             ;   in Loop: Header=BB6_8499 Depth=3
	v_mov_b32_e32 v1, 0
	s_and_saveexec_b64 s[44:45], s[42:43]
	s_cbranch_execz .LBB6_9012
; %bb.9007:                             ;   in Loop: Header=BB6_8499 Depth=3
	v_cmp_ne_u16_sdwa s[46:47], v11, s82 src0_sel:BYTE_0 src1_sel:DWORD
	v_bfrev_b32_e32 v1, 1
	s_and_saveexec_b64 s[42:43], s[46:47]
	s_cbranch_execz .LBB6_9011
; %bb.9008:                             ;   in Loop: Header=BB6_8499 Depth=3
	v_and_b32_e32 v3, 0x7f, v11
	v_cmp_ne_u32_e32 vcc, s83, v3
	v_mov_b32_e32 v1, 0x7f800001
	s_and_saveexec_b64 s[46:47], vcc
	s_cbranch_execz .LBB6_9010
; %bb.9009:                             ;   in Loop: Header=BB6_8499 Depth=3
	v_and_b32_e32 v1, 7, v11
	v_ffbh_u32_e32 v1, v1
	v_min_u32_e32 v1, 32, v1
	v_lshrrev_b32_e32 v6, 3, v3
	v_cmp_gt_u32_e32 vcc, 8, v3
	v_subrev_u32_e32 v3, 28, v1
	v_sub_u32_e32 v1, 29, v1
	v_cndmask_b32_e32 v3, 0, v3, vcc
	v_cndmask_b32_e32 v1, v6, v1, vcc
	v_lshlrev_b64 v[6:7], v3, v[52:53]
	v_bfrev_b32_e32 v7, 60
	v_lshlrev_b32_e32 v3, 20, v6
	v_lshlrev_b32_e32 v6, 24, v52
	v_and_b32_e32 v3, 0x700000, v3
	v_and_b32_e32 v6, 0x80000000, v6
	v_lshl_add_u32 v1, v1, 23, v7
	v_or3_b32 v1, v6, v1, v3
.LBB6_9010:                             ;   in Loop: Header=BB6_8499 Depth=3
	s_or_b64 exec, exec, s[46:47]
.LBB6_9011:                             ;   in Loop: Header=BB6_8499 Depth=3
	s_or_b64 exec, exec, s[42:43]
.LBB6_9012:                             ;   in Loop: Header=BB6_8499 Depth=3
	s_or_b64 exec, exec, s[44:45]
	v_cmp_gt_i16_sdwa s[44:45], v15, s83 src0_sel:BYTE_0 src1_sel:DWORD
	s_mov_b64 s[42:43], 0
	s_and_saveexec_b64 s[46:47], s[44:45]
	s_xor_b64 s[44:45], exec, s[46:47]
	s_cbranch_execz .LBB6_9196
; %bb.9013:                             ;   in Loop: Header=BB6_8499 Depth=3
	v_cmp_eq_u16_sdwa vcc, v15, s82 src0_sel:BYTE_0 src1_sel:DWORD
	s_mov_b64 s[42:43], -1
	s_and_saveexec_b64 s[46:47], vcc
; %bb.9014:                             ;   in Loop: Header=BB6_8499 Depth=3
	s_xor_b64 s[42:43], exec, -1
; %bb.9015:                             ;   in Loop: Header=BB6_8499 Depth=3
	s_or_b64 exec, exec, s[46:47]
	s_and_b64 s[42:43], s[42:43], exec
	s_or_saveexec_b64 s[44:45], s[44:45]
	v_bfrev_b32_e32 v3, 1
	s_xor_b64 exec, exec, s[44:45]
	s_cbranch_execnz .LBB6_9197
.LBB6_9016:                             ;   in Loop: Header=BB6_8499 Depth=3
	s_or_b64 exec, exec, s[44:45]
	s_and_saveexec_b64 s[44:45], s[42:43]
.LBB6_9017:                             ;   in Loop: Header=BB6_8499 Depth=3
	v_mov_b32_e32 v3, 0x7f800001
	v_cndmask_b32_e64 v3, v0, v3, s[40:41]
.LBB6_9018:                             ;   in Loop: Header=BB6_8499 Depth=3
	s_or_b64 exec, exec, s[44:45]
	v_max_f32_e32 v0, v3, v3
	v_max_f32_e32 v1, v1, v1
	v_min_f32_e32 v1, v1, v0
.LBB6_9019:                             ;   in Loop: Header=BB6_8499 Depth=3
	v_and_b32_e32 v6, 0x7f800000, v1
	v_mov_b32_e32 v7, v53
	v_cmp_ne_u64_e32 vcc, s[76:77], v[6:7]
                                        ; implicit-def: $vgpr6
	s_and_saveexec_b64 s[40:41], vcc
	s_xor_b64 s[42:43], exec, s[40:41]
	s_cbranch_execz .LBB6_9033
; %bb.9020:                             ;   in Loop: Header=BB6_8499 Depth=3
	v_and_b32_e32 v6, 0x7fffffff, v1
	v_mov_b32_e32 v7, v53
	v_cmp_gt_u64_e32 vcc, s[78:79], v[6:7]
	v_and_b32_sdwa v3, v1, s82 dst_sel:DWORD dst_unused:UNUSED_PAD src0_sel:BYTE_3 src1_sel:DWORD
                                        ; implicit-def: $vgpr6
	s_and_saveexec_b64 s[40:41], vcc
	s_xor_b64 s[44:45], exec, s[40:41]
	s_cbranch_execz .LBB6_9030
; %bb.9021:                             ;   in Loop: Header=BB6_8499 Depth=3
	v_mov_b32_e32 v6, 0
	v_cmp_ne_u32_e32 vcc, 0, v1
	s_and_saveexec_b64 s[46:47], vcc
	s_cbranch_execz .LBB6_9029
; %bb.9022:                             ;   in Loop: Header=BB6_8499 Depth=3
	v_bfe_u32 v8, v1, 23, 8
	v_and_b32_e32 v0, 0x7fffff, v1
	v_cmp_gt_u32_e64 s[40:41], s85, v8
	v_sub_u32_e32 v1, 0x79, v8
	v_cmp_eq_u32_e32 vcc, 0, v8
	v_cndmask_b32_e64 v1, 0, v1, s[40:41]
	v_mov_b32_e32 v7, 0x78
	v_or_b32_e32 v6, 0x800000, v0
	v_cndmask_b32_e32 v9, v1, v7, vcc
	v_cndmask_b32_e32 v0, v6, v0, vcc
	v_add_u32_e32 v6, 20, v9
	v_lshlrev_b64 v[6:7], v6, -1
	v_mov_b32_e32 v1, v53
	v_add_u32_e32 v38, 19, v9
	v_bfi_b32 v6, v6, 0, v0
	v_lshlrev_b64 v[38:39], v38, 1
	v_lshrrev_b64 v[0:1], v9, v[0:1]
	v_bfi_b32 v7, v7, 0, 0
	v_cmp_eq_u64_e64 s[40:41], v[6:7], v[38:39]
	v_mov_b32_e32 v7, v1
	v_mov_b32_e32 v6, v0
	s_and_saveexec_b64 s[54:55], s[40:41]
; %bb.9023:                             ;   in Loop: Header=BB6_8499 Depth=3
	v_bfe_u32 v1, v0, 20, 1
	v_add_co_u32_e64 v1, s[40:41], v0, v1
	v_add_co_u32_e64 v6, s[40:41], -1, v1
; %bb.9024:                             ;   in Loop: Header=BB6_8499 Depth=3
	s_or_b64 exec, exec, s[54:55]
	v_add_u32_e32 v1, 0xffffff81, v8
	v_mov_b32_e32 v7, 0xffffff82
	v_cndmask_b32_e32 v1, v1, v7, vcc
	v_lshrrev_b32_e32 v7, 23, v0
	v_add3_u32 v7, v9, v1, v7
	v_add_u32_e32 v1, 6, v7
	v_and_b32_e32 v6, 0xfffff, v6
	v_add_u32_e32 v8, v6, v0
	v_mov_b32_e32 v9, v53
	v_cmp_ne_u32_e32 vcc, 0, v1
                                        ; implicit-def: $vgpr0
	s_and_saveexec_b64 s[40:41], vcc
	s_xor_b64 s[40:41], exec, s[40:41]
; %bb.9025:                             ;   in Loop: Header=BB6_8499 Depth=3
	v_cmp_lt_u64_e32 vcc, s[88:89], v[8:9]
	v_add_u32_e32 v0, 7, v7
	v_cndmask_b32_e32 v0, v1, v0, vcc
	v_cndmask_b32_e64 v1, 0, 1, vcc
	v_lshrrev_b64 v[8:9], v1, v[8:9]
; %bb.9026:                             ;   in Loop: Header=BB6_8499 Depth=3
	s_andn2_saveexec_b64 s[40:41], s[40:41]
; %bb.9027:                             ;   in Loop: Header=BB6_8499 Depth=3
	v_bfe_u32 v0, v8, 23, 1
; %bb.9028:                             ;   in Loop: Header=BB6_8499 Depth=3
	s_or_b64 exec, exec, s[40:41]
	v_lshrrev_b64 v[6:7], 20, v[8:9]
	v_cmp_gt_i32_e32 vcc, 16, v0
	v_cndmask_b32_e32 v7, 0, v7, vcc
	v_cndmask_b32_e32 v6, 7, v6, vcc
	v_cmp_eq_u32_e32 vcc, 0, v0
	v_min_i32_e32 v0, 15, v0
	v_cmp_eq_u64_e64 s[40:41], 0, v[6:7]
	v_lshlrev_b32_e32 v0, 3, v0
	v_and_b32_e32 v0, 0xf8, v0
	v_and_or_b32 v0, v6, 7, v0
	s_and_b64 s[40:41], vcc, s[40:41]
	v_cndmask_b32_e64 v0, v0, 0, s[40:41]
	v_or_b32_e32 v6, v0, v3
.LBB6_9029:                             ;   in Loop: Header=BB6_8499 Depth=3
	s_or_b64 exec, exec, s[46:47]
                                        ; implicit-def: $vgpr3
.LBB6_9030:                             ;   in Loop: Header=BB6_8499 Depth=3
	s_andn2_saveexec_b64 s[40:41], s[44:45]
; %bb.9031:                             ;   in Loop: Header=BB6_8499 Depth=3
	v_or_b32_e32 v6, 0x7e, v3
; %bb.9032:                             ;   in Loop: Header=BB6_8499 Depth=3
	s_or_b64 exec, exec, s[40:41]
                                        ; implicit-def: $vgpr1
.LBB6_9033:                             ;   in Loop: Header=BB6_8499 Depth=3
	s_andn2_saveexec_b64 s[40:41], s[42:43]
; %bb.9034:                             ;   in Loop: Header=BB6_8499 Depth=3
	v_or_b32_sdwa v6, v1, s83 dst_sel:DWORD dst_unused:UNUSED_PAD src0_sel:BYTE_3 src1_sel:DWORD
; %bb.9035:                             ;   in Loop: Header=BB6_8499 Depth=3
	s_or_b64 exec, exec, s[40:41]
	v_lshrrev_b16_e32 v2, 8, v2
	v_and_b32_e32 v7, 7, v2
	v_and_b32_e32 v0, 0x7f, v2
	v_cmp_eq_u32_e64 s[40:41], s83, v0
	v_cmp_gt_u32_e32 vcc, 8, v0
	v_ffbh_u32_e32 v0, v7
	v_min_u32_e32 v38, 32, v0
	v_mov_b32_e32 v3, v53
	v_subrev_u32_e32 v0, 28, v38
	v_lshlrev_b64 v[0:1], v0, v[2:3]
	v_bfe_u32 v9, v2, 3, 4
	v_sub_u32_e32 v1, 29, v38
	v_and_b32_e32 v0, 7, v0
	v_cndmask_b32_e32 v1, v9, v1, vcc
	v_cndmask_b32_e32 v0, v7, v0, vcc
	v_lshlrev_b32_e32 v3, 24, v2
	v_bfrev_b32_e32 v7, 60
	v_lshrrev_b16_e32 v8, 8, v52
	v_lshlrev_b32_e32 v0, 20, v0
	v_and_b32_e32 v3, 0x80000000, v3
	v_lshl_add_u32 v1, v1, 23, v7
	v_or3_b32 v0, v3, v1, v0
	v_cmp_ne_u16_e64 s[42:43], 0, v8
	s_mov_b64 s[44:45], -1
	s_and_b64 vcc, exec, s[52:53]
                                        ; implicit-def: $vgpr1
	s_cbranch_vccz .LBB6_9049
; %bb.9036:                             ;   in Loop: Header=BB6_8499 Depth=3
	v_mov_b32_e32 v1, 0
	s_and_saveexec_b64 s[44:45], s[42:43]
	s_cbranch_execz .LBB6_9042
; %bb.9037:                             ;   in Loop: Header=BB6_8499 Depth=3
	v_cmp_ne_u16_e32 vcc, s82, v8
	v_bfrev_b32_e32 v1, 1
	s_and_saveexec_b64 s[46:47], vcc
	s_cbranch_execz .LBB6_9041
; %bb.9038:                             ;   in Loop: Header=BB6_8499 Depth=3
	v_and_b32_e32 v3, 0x7f, v8
	v_cmp_ne_u32_e32 vcc, s83, v3
	v_mov_b32_e32 v1, 0x7f800001
	s_and_saveexec_b64 s[54:55], vcc
	s_cbranch_execz .LBB6_9040
; %bb.9039:                             ;   in Loop: Header=BB6_8499 Depth=3
	v_and_b32_e32 v1, 7, v8
	v_lshrrev_b32_e32 v7, 3, v3
	v_cmp_gt_u32_e32 vcc, 8, v3
	v_ffbh_u32_e32 v3, v1
	v_min_u32_e32 v3, 32, v3
	v_subrev_u32_e32 v9, 28, v3
	v_lshlrev_b64 v[38:39], v9, v[8:9]
	v_sub_u32_e32 v3, 29, v3
	v_and_b32_e32 v9, 7, v38
	v_cndmask_b32_e32 v3, v7, v3, vcc
	v_cndmask_b32_e32 v1, v1, v9, vcc
	v_lshlrev_b32_e32 v7, 16, v52
	v_bfrev_b32_e32 v9, 60
	v_lshlrev_b32_e32 v1, 20, v1
	v_and_b32_e32 v7, 0x80000000, v7
	v_lshl_add_u32 v3, v3, 23, v9
	v_or3_b32 v1, v7, v3, v1
.LBB6_9040:                             ;   in Loop: Header=BB6_8499 Depth=3
	s_or_b64 exec, exec, s[54:55]
.LBB6_9041:                             ;   in Loop: Header=BB6_8499 Depth=3
	s_or_b64 exec, exec, s[46:47]
.LBB6_9042:                             ;   in Loop: Header=BB6_8499 Depth=3
	s_or_b64 exec, exec, s[44:45]
	v_cmp_lt_i16_e32 vcc, s83, v2
	s_mov_b64 s[44:45], 0
	s_and_saveexec_b64 s[46:47], vcc
	s_xor_b64 s[46:47], exec, s[46:47]
	s_cbranch_execz .LBB6_9198
; %bb.9043:                             ;   in Loop: Header=BB6_8499 Depth=3
	v_cmp_eq_u16_e32 vcc, s82, v2
	s_mov_b64 s[44:45], -1
	s_and_saveexec_b64 s[54:55], vcc
; %bb.9044:                             ;   in Loop: Header=BB6_8499 Depth=3
	s_xor_b64 s[44:45], exec, -1
; %bb.9045:                             ;   in Loop: Header=BB6_8499 Depth=3
	s_or_b64 exec, exec, s[54:55]
	s_and_b64 s[44:45], s[44:45], exec
	s_or_saveexec_b64 s[46:47], s[46:47]
	v_bfrev_b32_e32 v3, 1
	s_xor_b64 exec, exec, s[46:47]
	s_cbranch_execnz .LBB6_9199
.LBB6_9046:                             ;   in Loop: Header=BB6_8499 Depth=3
	s_or_b64 exec, exec, s[46:47]
	s_and_saveexec_b64 s[46:47], s[44:45]
.LBB6_9047:                             ;   in Loop: Header=BB6_8499 Depth=3
	v_mov_b32_e32 v3, 0x7f800001
	v_cndmask_b32_e64 v3, v0, v3, s[40:41]
.LBB6_9048:                             ;   in Loop: Header=BB6_8499 Depth=3
	s_or_b64 exec, exec, s[46:47]
	v_max_f32_e32 v3, v3, v3
	v_max_f32_e32 v1, v1, v1
	;; [unrolled: 1-line block ×3, first 2 shown]
	s_mov_b64 s[44:45], 0
.LBB6_9049:                             ;   in Loop: Header=BB6_8499 Depth=3
	s_and_b64 vcc, exec, s[44:45]
	s_cbranch_vccz .LBB6_9063
; %bb.9050:                             ;   in Loop: Header=BB6_8499 Depth=3
	v_mov_b32_e32 v1, 0
	s_and_saveexec_b64 s[44:45], s[42:43]
	s_cbranch_execz .LBB6_9056
; %bb.9051:                             ;   in Loop: Header=BB6_8499 Depth=3
	v_cmp_ne_u16_e32 vcc, s82, v8
	v_bfrev_b32_e32 v1, 1
	s_and_saveexec_b64 s[42:43], vcc
	s_cbranch_execz .LBB6_9055
; %bb.9052:                             ;   in Loop: Header=BB6_8499 Depth=3
	v_and_b32_e32 v3, 0x7f, v8
	v_cmp_ne_u32_e32 vcc, s83, v3
	v_mov_b32_e32 v1, 0x7f800001
	s_and_saveexec_b64 s[46:47], vcc
	s_cbranch_execz .LBB6_9054
; %bb.9053:                             ;   in Loop: Header=BB6_8499 Depth=3
	v_and_b32_e32 v1, 7, v8
	v_lshrrev_b32_e32 v9, 3, v3
	v_cmp_gt_u32_e32 vcc, 8, v3
	v_ffbh_u32_e32 v3, v1
	v_min_u32_e32 v3, 32, v3
	v_subrev_u32_e32 v7, 28, v3
	v_lshlrev_b64 v[7:8], v7, v[8:9]
	v_sub_u32_e32 v3, 29, v3
	v_and_b32_e32 v7, 7, v7
	v_cndmask_b32_e32 v3, v9, v3, vcc
	v_cndmask_b32_e32 v1, v1, v7, vcc
	v_lshlrev_b32_e32 v7, 16, v52
	v_bfrev_b32_e32 v8, 60
	v_lshlrev_b32_e32 v1, 20, v1
	v_and_b32_e32 v7, 0x80000000, v7
	v_lshl_add_u32 v3, v3, 23, v8
	v_or3_b32 v1, v7, v3, v1
.LBB6_9054:                             ;   in Loop: Header=BB6_8499 Depth=3
	s_or_b64 exec, exec, s[46:47]
.LBB6_9055:                             ;   in Loop: Header=BB6_8499 Depth=3
	s_or_b64 exec, exec, s[42:43]
.LBB6_9056:                             ;   in Loop: Header=BB6_8499 Depth=3
	s_or_b64 exec, exec, s[44:45]
	v_cmp_lt_i16_e32 vcc, s83, v2
	s_mov_b64 s[42:43], 0
	s_and_saveexec_b64 s[44:45], vcc
	s_xor_b64 s[44:45], exec, s[44:45]
	s_cbranch_execz .LBB6_9200
; %bb.9057:                             ;   in Loop: Header=BB6_8499 Depth=3
	v_cmp_eq_u16_e32 vcc, s82, v2
	s_mov_b64 s[42:43], -1
	s_and_saveexec_b64 s[46:47], vcc
; %bb.9058:                             ;   in Loop: Header=BB6_8499 Depth=3
	s_xor_b64 s[42:43], exec, -1
; %bb.9059:                             ;   in Loop: Header=BB6_8499 Depth=3
	s_or_b64 exec, exec, s[46:47]
	s_and_b64 s[42:43], s[42:43], exec
                                        ; implicit-def: $vgpr2
	s_or_saveexec_b64 s[44:45], s[44:45]
	v_bfrev_b32_e32 v3, 1
	s_xor_b64 exec, exec, s[44:45]
	s_cbranch_execnz .LBB6_9201
.LBB6_9060:                             ;   in Loop: Header=BB6_8499 Depth=3
	s_or_b64 exec, exec, s[44:45]
	s_and_saveexec_b64 s[44:45], s[42:43]
.LBB6_9061:                             ;   in Loop: Header=BB6_8499 Depth=3
	v_mov_b32_e32 v2, 0x7f800001
	v_cndmask_b32_e64 v3, v0, v2, s[40:41]
.LBB6_9062:                             ;   in Loop: Header=BB6_8499 Depth=3
	s_or_b64 exec, exec, s[44:45]
	v_max_f32_e32 v0, v3, v3
	v_max_f32_e32 v1, v1, v1
	v_min_f32_e32 v1, v1, v0
.LBB6_9063:                             ;   in Loop: Header=BB6_8499 Depth=3
	v_and_b32_e32 v52, 0x7f800000, v1
	v_cmp_ne_u64_e32 vcc, s[76:77], v[52:53]
                                        ; implicit-def: $vgpr3
	s_and_saveexec_b64 s[40:41], vcc
	s_xor_b64 s[42:43], exec, s[40:41]
	s_cbranch_execz .LBB6_9077
; %bb.9064:                             ;   in Loop: Header=BB6_8499 Depth=3
	v_and_b32_e32 v52, 0x7fffffff, v1
	v_cmp_gt_u64_e32 vcc, s[78:79], v[52:53]
	v_and_b32_sdwa v7, v1, s82 dst_sel:DWORD dst_unused:UNUSED_PAD src0_sel:BYTE_3 src1_sel:DWORD
                                        ; implicit-def: $vgpr3
	s_and_saveexec_b64 s[40:41], vcc
	s_xor_b64 s[44:45], exec, s[40:41]
	s_cbranch_execz .LBB6_9074
; %bb.9065:                             ;   in Loop: Header=BB6_8499 Depth=3
	v_mov_b32_e32 v3, 0
	v_cmp_ne_u32_e32 vcc, 0, v1
	s_and_saveexec_b64 s[46:47], vcc
	s_cbranch_execz .LBB6_9073
; %bb.9066:                             ;   in Loop: Header=BB6_8499 Depth=3
	v_bfe_u32 v3, v1, 23, 8
	v_and_b32_e32 v0, 0x7fffff, v1
	v_cmp_gt_u32_e64 s[40:41], s85, v3
	v_sub_u32_e32 v1, 0x79, v3
	v_cmp_eq_u32_e32 vcc, 0, v3
	v_cndmask_b32_e64 v1, 0, v1, s[40:41]
	v_mov_b32_e32 v8, 0x78
	v_or_b32_e32 v2, 0x800000, v0
	v_cndmask_b32_e32 v8, v1, v8, vcc
	v_cndmask_b32_e32 v52, v2, v0, vcc
	v_add_u32_e32 v0, 20, v8
	v_lshlrev_b64 v[0:1], v0, -1
	v_add_u32_e32 v2, 19, v8
	v_lshlrev_b64 v[38:39], v2, 1
	v_bfi_b32 v1, v1, 0, 0
	v_bfi_b32 v0, v0, 0, v52
	v_cmp_eq_u64_e64 s[40:41], v[0:1], v[38:39]
	v_lshrrev_b64 v[0:1], v8, v[52:53]
	v_mov_b32_e32 v2, v1
	v_mov_b32_e32 v1, v0
	s_and_saveexec_b64 s[54:55], s[40:41]
; %bb.9067:                             ;   in Loop: Header=BB6_8499 Depth=3
	v_bfe_u32 v1, v0, 20, 1
	v_add_co_u32_e64 v1, s[40:41], v0, v1
	v_add_co_u32_e64 v1, s[40:41], -1, v1
; %bb.9068:                             ;   in Loop: Header=BB6_8499 Depth=3
	s_or_b64 exec, exec, s[54:55]
	v_add_u32_e32 v2, 0xffffff81, v3
	v_mov_b32_e32 v3, 0xffffff82
	v_cndmask_b32_e32 v2, v2, v3, vcc
	v_lshrrev_b32_e32 v3, 23, v0
	v_add3_u32 v8, v8, v2, v3
	v_add_u32_e32 v3, 6, v8
	v_and_b32_e32 v1, 0xfffff, v1
	v_add_u32_e32 v52, v1, v0
	v_cmp_ne_u32_e32 vcc, 0, v3
                                        ; implicit-def: $vgpr0_vgpr1
                                        ; implicit-def: $vgpr2
	s_and_saveexec_b64 s[40:41], vcc
	s_xor_b64 s[40:41], exec, s[40:41]
; %bb.9069:                             ;   in Loop: Header=BB6_8499 Depth=3
	v_cmp_lt_u64_e32 vcc, s[88:89], v[52:53]
	v_add_u32_e32 v0, 7, v8
	v_cndmask_b32_e32 v2, v3, v0, vcc
	v_cndmask_b32_e64 v0, 0, 1, vcc
	v_lshrrev_b64 v[0:1], v0, v[52:53]
; %bb.9070:                             ;   in Loop: Header=BB6_8499 Depth=3
	s_andn2_saveexec_b64 s[40:41], s[40:41]
; %bb.9071:                             ;   in Loop: Header=BB6_8499 Depth=3
	v_mov_b32_e32 v0, v52
	v_mov_b32_e32 v1, v53
	v_bfe_u32 v2, v52, 23, 1
; %bb.9072:                             ;   in Loop: Header=BB6_8499 Depth=3
	s_or_b64 exec, exec, s[40:41]
	v_lshrrev_b64 v[0:1], 20, v[0:1]
	v_cmp_gt_i32_e32 vcc, 16, v2
	v_cndmask_b32_e32 v1, 0, v1, vcc
	v_cndmask_b32_e32 v0, 7, v0, vcc
	v_cmp_eq_u64_e64 s[40:41], 0, v[0:1]
	v_min_i32_e32 v1, 15, v2
	v_lshlrev_b32_e32 v1, 3, v1
	v_cmp_eq_u32_e32 vcc, 0, v2
	v_and_b32_e32 v1, 0xf8, v1
	v_and_or_b32 v0, v0, 7, v1
	s_and_b64 s[40:41], vcc, s[40:41]
	v_cndmask_b32_e64 v0, v0, 0, s[40:41]
	v_or_b32_e32 v3, v0, v7
.LBB6_9073:                             ;   in Loop: Header=BB6_8499 Depth=3
	s_or_b64 exec, exec, s[46:47]
                                        ; implicit-def: $vgpr7
.LBB6_9074:                             ;   in Loop: Header=BB6_8499 Depth=3
	s_andn2_saveexec_b64 s[40:41], s[44:45]
; %bb.9075:                             ;   in Loop: Header=BB6_8499 Depth=3
	v_or_b32_e32 v3, 0x7e, v7
; %bb.9076:                             ;   in Loop: Header=BB6_8499 Depth=3
	s_or_b64 exec, exec, s[40:41]
                                        ; implicit-def: $vgpr1
.LBB6_9077:                             ;   in Loop: Header=BB6_8499 Depth=3
	s_andn2_saveexec_b64 s[40:41], s[42:43]
; %bb.9078:                             ;   in Loop: Header=BB6_8499 Depth=3
	v_or_b32_sdwa v3, v1, s83 dst_sel:DWORD dst_unused:UNUSED_PAD src0_sel:BYTE_3 src1_sel:DWORD
; %bb.9079:                             ;   in Loop: Header=BB6_8499 Depth=3
	s_or_b64 exec, exec, s[40:41]
	v_bfe_u32 v7, v15, 16, 3
	v_bfe_u32 v1, v15, 16, 7
	v_cmp_eq_u32_e64 s[40:41], s83, v1
	v_cmp_gt_u32_e32 vcc, 8, v1
	v_ffbh_u32_e32 v1, v7
	v_min_u32_e32 v9, 32, v1
	v_lshrrev_b32_e32 v0, 16, v15
	v_subrev_u32_e32 v1, 28, v9
	v_lshlrev_b64 v[1:2], v1, v[0:1]
	v_bfe_u32 v8, v0, 3, 4
	v_sub_u32_e32 v2, 29, v9
	v_and_b32_e32 v1, 7, v1
	v_cndmask_b32_e32 v2, v8, v2, vcc
	v_cndmask_b32_e32 v1, v7, v1, vcc
	v_lshlrev_b32_e32 v7, 8, v15
	v_bfrev_b32_e32 v8, 60
	v_lshlrev_b32_e32 v1, 20, v1
	v_and_b32_e32 v7, 0x80000000, v7
	v_lshl_add_u32 v2, v2, 23, v8
	v_or3_b32 v1, v7, v2, v1
	v_lshrrev_b32_e32 v2, 16, v11
	v_cmp_ne_u16_sdwa s[42:43], v2, v53 src0_sel:BYTE_0 src1_sel:DWORD
	s_mov_b64 s[44:45], -1
	s_and_b64 vcc, exec, s[52:53]
                                        ; implicit-def: $vgpr9
	s_cbranch_vccz .LBB6_9093
; %bb.9080:                             ;   in Loop: Header=BB6_8499 Depth=3
	v_mov_b32_e32 v7, 0
	s_and_saveexec_b64 s[44:45], s[42:43]
	s_cbranch_execz .LBB6_9086
; %bb.9081:                             ;   in Loop: Header=BB6_8499 Depth=3
	v_cmp_ne_u16_sdwa vcc, v2, s82 src0_sel:BYTE_0 src1_sel:DWORD
	v_bfrev_b32_e32 v7, 1
	s_and_saveexec_b64 s[46:47], vcc
	s_cbranch_execz .LBB6_9085
; %bb.9082:                             ;   in Loop: Header=BB6_8499 Depth=3
	v_bfe_u32 v8, v11, 16, 7
	v_cmp_ne_u32_e32 vcc, s83, v8
	v_mov_b32_e32 v7, 0x7f800001
	s_and_saveexec_b64 s[54:55], vcc
	s_cbranch_execz .LBB6_9084
; %bb.9083:                             ;   in Loop: Header=BB6_8499 Depth=3
	v_and_b32_e32 v9, 7, v2
	v_ffbh_u32_e32 v7, v9
	v_min_u32_e32 v39, 32, v7
	v_subrev_u32_e32 v7, 28, v39
	v_lshrrev_b32_e32 v38, 3, v8
	v_cmp_gt_u32_e32 vcc, 8, v8
	v_lshlrev_b64 v[7:8], v7, v[2:3]
	v_sub_u32_e32 v8, 29, v39
	v_and_b32_e32 v7, 7, v7
	v_cndmask_b32_e32 v8, v38, v8, vcc
	v_cndmask_b32_e32 v7, v9, v7, vcc
	v_lshlrev_b32_e32 v9, 24, v2
	v_bfrev_b32_e32 v38, 60
	v_lshlrev_b32_e32 v7, 20, v7
	v_and_b32_e32 v9, 0x80000000, v9
	v_lshl_add_u32 v8, v8, 23, v38
	v_or3_b32 v7, v9, v8, v7
.LBB6_9084:                             ;   in Loop: Header=BB6_8499 Depth=3
	s_or_b64 exec, exec, s[54:55]
.LBB6_9085:                             ;   in Loop: Header=BB6_8499 Depth=3
	s_or_b64 exec, exec, s[46:47]
.LBB6_9086:                             ;   in Loop: Header=BB6_8499 Depth=3
	s_or_b64 exec, exec, s[44:45]
	v_cmp_gt_i16_sdwa s[46:47], v0, s83 src0_sel:BYTE_0 src1_sel:DWORD
	s_mov_b64 s[44:45], 0
	s_and_saveexec_b64 vcc, s[46:47]
	s_xor_b64 s[46:47], exec, vcc
	s_cbranch_execz .LBB6_9202
; %bb.9087:                             ;   in Loop: Header=BB6_8499 Depth=3
	v_cmp_eq_u16_sdwa s[54:55], v0, s82 src0_sel:BYTE_0 src1_sel:DWORD
	s_mov_b64 s[44:45], -1
	s_and_saveexec_b64 vcc, s[54:55]
; %bb.9088:                             ;   in Loop: Header=BB6_8499 Depth=3
	s_xor_b64 s[44:45], exec, -1
; %bb.9089:                             ;   in Loop: Header=BB6_8499 Depth=3
	s_or_b64 exec, exec, vcc
	s_and_b64 s[44:45], s[44:45], exec
	s_or_saveexec_b64 s[46:47], s[46:47]
	v_bfrev_b32_e32 v8, 1
	s_xor_b64 exec, exec, s[46:47]
	s_cbranch_execnz .LBB6_9203
.LBB6_9090:                             ;   in Loop: Header=BB6_8499 Depth=3
	s_or_b64 exec, exec, s[46:47]
	s_and_saveexec_b64 s[46:47], s[44:45]
.LBB6_9091:                             ;   in Loop: Header=BB6_8499 Depth=3
	v_mov_b32_e32 v8, 0x7f800001
	v_cndmask_b32_e64 v8, v1, v8, s[40:41]
.LBB6_9092:                             ;   in Loop: Header=BB6_8499 Depth=3
	s_or_b64 exec, exec, s[46:47]
	v_max_f32_e32 v8, v8, v8
	v_max_f32_e32 v7, v7, v7
	;; [unrolled: 1-line block ×3, first 2 shown]
	s_mov_b64 s[44:45], 0
.LBB6_9093:                             ;   in Loop: Header=BB6_8499 Depth=3
	s_and_b64 vcc, exec, s[44:45]
	s_cbranch_vccz .LBB6_9107
; %bb.9094:                             ;   in Loop: Header=BB6_8499 Depth=3
	v_mov_b32_e32 v7, 0
	s_and_saveexec_b64 s[44:45], s[42:43]
	s_cbranch_execz .LBB6_9100
; %bb.9095:                             ;   in Loop: Header=BB6_8499 Depth=3
	v_cmp_ne_u16_sdwa s[46:47], v2, s82 src0_sel:BYTE_0 src1_sel:DWORD
	v_bfrev_b32_e32 v7, 1
	s_and_saveexec_b64 s[42:43], s[46:47]
	s_cbranch_execz .LBB6_9099
; %bb.9096:                             ;   in Loop: Header=BB6_8499 Depth=3
	v_bfe_u32 v8, v11, 16, 7
	v_cmp_ne_u32_e32 vcc, s83, v8
	v_mov_b32_e32 v7, 0x7f800001
	s_and_saveexec_b64 s[46:47], vcc
	s_cbranch_execz .LBB6_9098
; %bb.9097:                             ;   in Loop: Header=BB6_8499 Depth=3
	v_and_b32_e32 v9, 7, v2
	v_ffbh_u32_e32 v7, v9
	v_min_u32_e32 v39, 32, v7
	v_subrev_u32_e32 v7, 28, v39
	v_lshrrev_b32_e32 v38, 3, v8
	v_cmp_gt_u32_e32 vcc, 8, v8
	v_lshlrev_b64 v[7:8], v7, v[2:3]
	v_sub_u32_e32 v8, 29, v39
	v_and_b32_e32 v7, 7, v7
	v_cndmask_b32_e32 v8, v38, v8, vcc
	v_cndmask_b32_e32 v7, v9, v7, vcc
	v_lshlrev_b32_e32 v2, 24, v2
	v_bfrev_b32_e32 v9, 60
	v_lshlrev_b32_e32 v7, 20, v7
	v_and_b32_e32 v2, 0x80000000, v2
	v_lshl_add_u32 v8, v8, 23, v9
	v_or3_b32 v7, v2, v8, v7
.LBB6_9098:                             ;   in Loop: Header=BB6_8499 Depth=3
	s_or_b64 exec, exec, s[46:47]
.LBB6_9099:                             ;   in Loop: Header=BB6_8499 Depth=3
	s_or_b64 exec, exec, s[42:43]
.LBB6_9100:                             ;   in Loop: Header=BB6_8499 Depth=3
	s_or_b64 exec, exec, s[44:45]
	v_cmp_gt_i16_sdwa s[44:45], v0, s83 src0_sel:BYTE_0 src1_sel:DWORD
	s_mov_b64 s[42:43], 0
	s_and_saveexec_b64 s[46:47], s[44:45]
	s_xor_b64 s[44:45], exec, s[46:47]
	s_cbranch_execz .LBB6_9204
; %bb.9101:                             ;   in Loop: Header=BB6_8499 Depth=3
	v_cmp_eq_u16_sdwa vcc, v0, s82 src0_sel:BYTE_0 src1_sel:DWORD
	s_mov_b64 s[42:43], -1
	s_and_saveexec_b64 s[46:47], vcc
; %bb.9102:                             ;   in Loop: Header=BB6_8499 Depth=3
	s_xor_b64 s[42:43], exec, -1
; %bb.9103:                             ;   in Loop: Header=BB6_8499 Depth=3
	s_or_b64 exec, exec, s[46:47]
	s_and_b64 s[42:43], s[42:43], exec
                                        ; implicit-def: $vgpr0
	s_or_saveexec_b64 s[44:45], s[44:45]
	v_bfrev_b32_e32 v2, 1
	s_xor_b64 exec, exec, s[44:45]
	s_cbranch_execnz .LBB6_9205
.LBB6_9104:                             ;   in Loop: Header=BB6_8499 Depth=3
	s_or_b64 exec, exec, s[44:45]
	s_and_saveexec_b64 s[44:45], s[42:43]
.LBB6_9105:                             ;   in Loop: Header=BB6_8499 Depth=3
	v_mov_b32_e32 v0, 0x7f800001
	v_cndmask_b32_e64 v2, v1, v0, s[40:41]
.LBB6_9106:                             ;   in Loop: Header=BB6_8499 Depth=3
	s_or_b64 exec, exec, s[44:45]
	v_max_f32_e32 v0, v2, v2
	v_max_f32_e32 v1, v7, v7
	v_min_f32_e32 v9, v1, v0
.LBB6_9107:                             ;   in Loop: Header=BB6_8499 Depth=3
	v_and_b32_e32 v52, 0x7f800000, v9
	v_cmp_ne_u64_e32 vcc, s[76:77], v[52:53]
                                        ; implicit-def: $vgpr7
	s_and_saveexec_b64 s[40:41], vcc
	s_xor_b64 s[42:43], exec, s[40:41]
	s_cbranch_execz .LBB6_9121
; %bb.9108:                             ;   in Loop: Header=BB6_8499 Depth=3
	v_and_b32_e32 v52, 0x7fffffff, v9
	v_cmp_gt_u64_e32 vcc, s[78:79], v[52:53]
	v_and_b32_sdwa v8, v9, s82 dst_sel:DWORD dst_unused:UNUSED_PAD src0_sel:BYTE_3 src1_sel:DWORD
                                        ; implicit-def: $vgpr7
	s_and_saveexec_b64 s[40:41], vcc
	s_xor_b64 s[44:45], exec, s[40:41]
	s_cbranch_execz .LBB6_9118
; %bb.9109:                             ;   in Loop: Header=BB6_8499 Depth=3
	v_mov_b32_e32 v7, 0
	v_cmp_ne_u32_e32 vcc, 0, v9
	s_and_saveexec_b64 s[46:47], vcc
	s_cbranch_execz .LBB6_9117
; %bb.9110:                             ;   in Loop: Header=BB6_8499 Depth=3
	v_bfe_u32 v7, v9, 23, 8
	v_cmp_gt_u32_e64 s[40:41], s85, v7
	v_sub_u32_e32 v1, 0x79, v7
	v_and_b32_e32 v0, 0x7fffff, v9
	v_cmp_eq_u32_e32 vcc, 0, v7
	v_cndmask_b32_e64 v1, 0, v1, s[40:41]
	v_mov_b32_e32 v9, 0x78
	v_or_b32_e32 v2, 0x800000, v0
	v_cndmask_b32_e32 v9, v1, v9, vcc
	v_cndmask_b32_e32 v52, v2, v0, vcc
	v_add_u32_e32 v0, 20, v9
	v_lshlrev_b64 v[0:1], v0, -1
	v_add_u32_e32 v2, 19, v9
	v_lshlrev_b64 v[38:39], v2, 1
	v_bfi_b32 v1, v1, 0, 0
	v_bfi_b32 v0, v0, 0, v52
	v_cmp_eq_u64_e64 s[40:41], v[0:1], v[38:39]
	v_lshrrev_b64 v[0:1], v9, v[52:53]
	v_mov_b32_e32 v2, v1
	v_mov_b32_e32 v1, v0
	s_and_saveexec_b64 s[54:55], s[40:41]
; %bb.9111:                             ;   in Loop: Header=BB6_8499 Depth=3
	v_bfe_u32 v1, v0, 20, 1
	v_add_co_u32_e64 v1, s[40:41], v0, v1
	v_add_co_u32_e64 v1, s[40:41], -1, v1
; %bb.9112:                             ;   in Loop: Header=BB6_8499 Depth=3
	s_or_b64 exec, exec, s[54:55]
	v_add_u32_e32 v2, 0xffffff81, v7
	v_mov_b32_e32 v7, 0xffffff82
	v_cndmask_b32_e32 v2, v2, v7, vcc
	v_lshrrev_b32_e32 v7, 23, v0
	v_add3_u32 v9, v9, v2, v7
	v_add_u32_e32 v7, 6, v9
	v_and_b32_e32 v1, 0xfffff, v1
	v_add_u32_e32 v52, v1, v0
	v_cmp_ne_u32_e32 vcc, 0, v7
                                        ; implicit-def: $vgpr0_vgpr1
                                        ; implicit-def: $vgpr2
	s_and_saveexec_b64 s[40:41], vcc
	s_xor_b64 s[40:41], exec, s[40:41]
; %bb.9113:                             ;   in Loop: Header=BB6_8499 Depth=3
	v_cmp_lt_u64_e32 vcc, s[88:89], v[52:53]
	v_add_u32_e32 v0, 7, v9
	v_cndmask_b32_e32 v2, v7, v0, vcc
	v_cndmask_b32_e64 v0, 0, 1, vcc
	v_lshrrev_b64 v[0:1], v0, v[52:53]
; %bb.9114:                             ;   in Loop: Header=BB6_8499 Depth=3
	s_andn2_saveexec_b64 s[40:41], s[40:41]
; %bb.9115:                             ;   in Loop: Header=BB6_8499 Depth=3
	v_mov_b32_e32 v0, v52
	v_mov_b32_e32 v1, v53
	v_bfe_u32 v2, v52, 23, 1
; %bb.9116:                             ;   in Loop: Header=BB6_8499 Depth=3
	s_or_b64 exec, exec, s[40:41]
	v_lshrrev_b64 v[0:1], 20, v[0:1]
	v_cmp_gt_i32_e32 vcc, 16, v2
	v_cndmask_b32_e32 v1, 0, v1, vcc
	v_cndmask_b32_e32 v0, 7, v0, vcc
	v_cmp_eq_u64_e64 s[40:41], 0, v[0:1]
	v_min_i32_e32 v1, 15, v2
	v_lshlrev_b32_e32 v1, 3, v1
	v_cmp_eq_u32_e32 vcc, 0, v2
	v_and_b32_e32 v1, 0xf8, v1
	v_and_or_b32 v0, v0, 7, v1
	s_and_b64 s[40:41], vcc, s[40:41]
	v_cndmask_b32_e64 v0, v0, 0, s[40:41]
	v_or_b32_e32 v7, v0, v8
.LBB6_9117:                             ;   in Loop: Header=BB6_8499 Depth=3
	s_or_b64 exec, exec, s[46:47]
                                        ; implicit-def: $vgpr8
.LBB6_9118:                             ;   in Loop: Header=BB6_8499 Depth=3
	s_andn2_saveexec_b64 s[40:41], s[44:45]
; %bb.9119:                             ;   in Loop: Header=BB6_8499 Depth=3
	v_or_b32_e32 v7, 0x7e, v8
; %bb.9120:                             ;   in Loop: Header=BB6_8499 Depth=3
	s_or_b64 exec, exec, s[40:41]
                                        ; implicit-def: $vgpr9
.LBB6_9121:                             ;   in Loop: Header=BB6_8499 Depth=3
	s_andn2_saveexec_b64 s[40:41], s[42:43]
; %bb.9122:                             ;   in Loop: Header=BB6_8499 Depth=3
	v_or_b32_sdwa v7, v9, s83 dst_sel:DWORD dst_unused:UNUSED_PAD src0_sel:BYTE_3 src1_sel:DWORD
; %bb.9123:                             ;   in Loop: Header=BB6_8499 Depth=3
	s_or_b64 exec, exec, s[40:41]
	v_bfe_u32 v8, v15, 24, 3
	v_bfe_u32 v2, v15, 24, 7
	v_cmp_eq_u32_e64 s[44:45], s83, v2
	v_cmp_gt_u32_e32 vcc, 8, v2
	v_ffbh_u32_e32 v2, v8
	v_cmp_gt_u64_e64 s[40:41], s[60:61], v[14:15]
	v_min_u32_e32 v14, 32, v2
	v_lshrrev_b32_e32 v1, 24, v15
	v_subrev_u32_e32 v2, 28, v14
	v_bfe_u32 v9, v1, 3, 4
	v_cmp_eq_u32_e64 s[42:43], s82, v1
	v_lshlrev_b64 v[1:2], v2, v[1:2]
	v_sub_u32_e32 v2, 29, v14
	v_and_b32_e32 v1, 7, v1
	v_cndmask_b32_e32 v2, v9, v2, vcc
	v_cndmask_b32_e32 v1, v8, v1, vcc
	v_bfrev_b32_e32 v9, 60
	v_lshlrev_b32_e32 v1, 20, v1
	v_and_b32_e32 v8, 0x80000000, v15
	v_lshl_add_u32 v2, v2, 23, v9
	v_cmp_lt_u64_e64 s[46:47], s[62:63], v[10:11]
	v_lshrrev_b32_e32 v0, 24, v11
	v_or3_b32 v1, v8, v2, v1
	s_mov_b64 s[54:55], -1
	s_and_b64 vcc, exec, s[52:53]
                                        ; implicit-def: $vgpr2
	s_cbranch_vccz .LBB6_9131
; %bb.9124:                             ;   in Loop: Header=BB6_8499 Depth=3
	v_mov_b32_e32 v2, 0
	s_and_saveexec_b64 s[54:55], s[46:47]
	s_cbranch_execz .LBB6_9130
; %bb.9125:                             ;   in Loop: Header=BB6_8499 Depth=3
	v_cmp_ne_u32_e32 vcc, s82, v0
	v_bfrev_b32_e32 v2, 1
	s_and_saveexec_b64 s[64:65], vcc
	s_cbranch_execz .LBB6_9129
; %bb.9126:                             ;   in Loop: Header=BB6_8499 Depth=3
	v_bfe_u32 v8, v11, 24, 7
	v_cmp_ne_u32_e32 vcc, s83, v8
	v_mov_b32_e32 v2, 0x7f800001
	s_and_saveexec_b64 s[66:67], vcc
	s_cbranch_execz .LBB6_9128
; %bb.9127:                             ;   in Loop: Header=BB6_8499 Depth=3
	v_and_b32_e32 v2, 7, v0
	v_lshrrev_b32_e32 v10, 3, v8
	v_cmp_gt_u32_e32 vcc, 8, v8
	v_ffbh_u32_e32 v8, v2
	v_min_u32_e32 v14, 32, v8
	v_subrev_u32_e32 v8, 28, v14
	v_lshlrev_b64 v[8:9], v8, v[0:1]
	v_sub_u32_e32 v9, 29, v14
	v_and_b32_e32 v8, 7, v8
	v_cndmask_b32_e32 v9, v10, v9, vcc
	v_cndmask_b32_e32 v2, v2, v8, vcc
	v_lshlrev_b32_e32 v8, 24, v0
	v_bfrev_b32_e32 v10, 60
	v_lshlrev_b32_e32 v2, 20, v2
	v_and_b32_e32 v8, 0x80000000, v8
	v_lshl_add_u32 v9, v9, 23, v10
	v_or3_b32 v2, v8, v9, v2
.LBB6_9128:                             ;   in Loop: Header=BB6_8499 Depth=3
	s_or_b64 exec, exec, s[66:67]
.LBB6_9129:                             ;   in Loop: Header=BB6_8499 Depth=3
	s_or_b64 exec, exec, s[64:65]
.LBB6_9130:                             ;   in Loop: Header=BB6_8499 Depth=3
	s_or_b64 exec, exec, s[54:55]
	v_mov_b32_e32 v8, 0x7f800001
	v_cndmask_b32_e64 v8, v1, v8, s[44:45]
	v_bfrev_b32_e32 v9, 1
	v_cndmask_b32_e64 v8, v8, v9, s[42:43]
	v_cndmask_b32_e64 v8, v8, 0, s[40:41]
	v_max_f32_e32 v8, v8, v8
	v_max_f32_e32 v2, v2, v2
	;; [unrolled: 1-line block ×3, first 2 shown]
	s_mov_b64 s[54:55], 0
.LBB6_9131:                             ;   in Loop: Header=BB6_8499 Depth=3
	s_and_b64 vcc, exec, s[54:55]
	s_cbranch_vccz .LBB6_9139
; %bb.9132:                             ;   in Loop: Header=BB6_8499 Depth=3
	v_mov_b32_e32 v2, 0
	s_and_saveexec_b64 s[54:55], s[46:47]
	s_cbranch_execz .LBB6_9138
; %bb.9133:                             ;   in Loop: Header=BB6_8499 Depth=3
	v_cmp_ne_u32_e32 vcc, s82, v0
	v_bfrev_b32_e32 v2, 1
	s_and_saveexec_b64 s[46:47], vcc
	s_cbranch_execz .LBB6_9137
; %bb.9134:                             ;   in Loop: Header=BB6_8499 Depth=3
	v_bfe_u32 v8, v11, 24, 7
	v_cmp_ne_u32_e32 vcc, s83, v8
	v_mov_b32_e32 v2, 0x7f800001
	s_and_saveexec_b64 s[64:65], vcc
	s_cbranch_execz .LBB6_9136
; %bb.9135:                             ;   in Loop: Header=BB6_8499 Depth=3
	v_and_b32_e32 v2, 7, v0
	v_lshrrev_b32_e32 v10, 3, v8
	v_cmp_gt_u32_e32 vcc, 8, v8
	v_ffbh_u32_e32 v8, v2
	v_min_u32_e32 v11, 32, v8
	v_subrev_u32_e32 v8, 28, v11
	v_lshlrev_b64 v[8:9], v8, v[0:1]
	v_sub_u32_e32 v9, 29, v11
	v_and_b32_e32 v8, 7, v8
	v_cndmask_b32_e32 v9, v10, v9, vcc
	v_cndmask_b32_e32 v2, v2, v8, vcc
	v_lshlrev_b32_e32 v0, 24, v0
	v_bfrev_b32_e32 v8, 60
	v_lshlrev_b32_e32 v2, 20, v2
	v_and_b32_e32 v0, 0x80000000, v0
	v_lshl_add_u32 v8, v9, 23, v8
	v_or3_b32 v2, v0, v8, v2
.LBB6_9136:                             ;   in Loop: Header=BB6_8499 Depth=3
	s_or_b64 exec, exec, s[64:65]
.LBB6_9137:                             ;   in Loop: Header=BB6_8499 Depth=3
	s_or_b64 exec, exec, s[46:47]
.LBB6_9138:                             ;   in Loop: Header=BB6_8499 Depth=3
	s_or_b64 exec, exec, s[54:55]
	v_mov_b32_e32 v0, 0x7f800001
	v_cndmask_b32_e64 v0, v1, v0, s[44:45]
	v_bfrev_b32_e32 v1, 1
	v_cndmask_b32_e64 v0, v0, v1, s[42:43]
	v_cndmask_b32_e64 v0, v0, 0, s[40:41]
	v_max_f32_e32 v0, v0, v0
	v_max_f32_e32 v1, v2, v2
	v_min_f32_e32 v2, v1, v0
.LBB6_9139:                             ;   in Loop: Header=BB6_8499 Depth=3
	v_and_b32_e32 v52, 0x7f800000, v2
	v_cmp_ne_u64_e32 vcc, s[76:77], v[52:53]
                                        ; implicit-def: $vgpr0
	s_and_saveexec_b64 s[40:41], vcc
	s_xor_b64 s[42:43], exec, s[40:41]
	s_cbranch_execz .LBB6_9153
; %bb.9140:                             ;   in Loop: Header=BB6_8499 Depth=3
	v_and_b32_e32 v52, 0x7fffffff, v2
	v_cmp_gt_u64_e32 vcc, s[78:79], v[52:53]
	v_and_b32_sdwa v8, v2, s82 dst_sel:DWORD dst_unused:UNUSED_PAD src0_sel:BYTE_3 src1_sel:DWORD
                                        ; implicit-def: $vgpr0
	s_and_saveexec_b64 s[40:41], vcc
	s_xor_b64 s[44:45], exec, s[40:41]
	s_cbranch_execz .LBB6_9150
; %bb.9141:                             ;   in Loop: Header=BB6_8499 Depth=3
	v_mov_b32_e32 v0, 0
	v_cmp_ne_u32_e32 vcc, 0, v2
	s_and_saveexec_b64 s[46:47], vcc
	s_cbranch_execz .LBB6_9149
; %bb.9142:                             ;   in Loop: Header=BB6_8499 Depth=3
	v_bfe_u32 v9, v2, 23, 8
	v_cmp_gt_u32_e64 s[40:41], s85, v9
	v_sub_u32_e32 v1, 0x79, v9
	v_and_b32_e32 v0, 0x7fffff, v2
	v_cmp_eq_u32_e32 vcc, 0, v9
	v_cndmask_b32_e64 v1, 0, v1, s[40:41]
	v_mov_b32_e32 v10, 0x78
	v_or_b32_e32 v2, 0x800000, v0
	v_cndmask_b32_e32 v10, v1, v10, vcc
	v_cndmask_b32_e32 v52, v2, v0, vcc
	v_add_u32_e32 v0, 20, v10
	v_lshlrev_b64 v[0:1], v0, -1
	v_add_u32_e32 v2, 19, v10
	v_lshlrev_b64 v[14:15], v2, 1
	v_bfi_b32 v1, v1, 0, 0
	v_bfi_b32 v0, v0, 0, v52
	v_cmp_eq_u64_e64 s[40:41], v[0:1], v[14:15]
	v_lshrrev_b64 v[0:1], v10, v[52:53]
	v_mov_b32_e32 v2, v1
	v_mov_b32_e32 v1, v0
	s_and_saveexec_b64 s[54:55], s[40:41]
; %bb.9143:                             ;   in Loop: Header=BB6_8499 Depth=3
	v_bfe_u32 v1, v0, 20, 1
	v_add_co_u32_e64 v1, s[40:41], v0, v1
	v_add_co_u32_e64 v1, s[40:41], -1, v1
; %bb.9144:                             ;   in Loop: Header=BB6_8499 Depth=3
	s_or_b64 exec, exec, s[54:55]
	v_add_u32_e32 v2, 0xffffff81, v9
	v_mov_b32_e32 v9, 0xffffff82
	v_cndmask_b32_e32 v2, v2, v9, vcc
	v_lshrrev_b32_e32 v9, 23, v0
	v_add3_u32 v10, v10, v2, v9
	v_add_u32_e32 v9, 6, v10
	v_and_b32_e32 v1, 0xfffff, v1
	v_add_u32_e32 v52, v1, v0
	v_cmp_ne_u32_e32 vcc, 0, v9
                                        ; implicit-def: $vgpr0_vgpr1
                                        ; implicit-def: $vgpr2
	s_and_saveexec_b64 s[40:41], vcc
	s_xor_b64 s[40:41], exec, s[40:41]
; %bb.9145:                             ;   in Loop: Header=BB6_8499 Depth=3
	v_cmp_lt_u64_e32 vcc, s[88:89], v[52:53]
	v_add_u32_e32 v0, 7, v10
	v_cndmask_b32_e32 v2, v9, v0, vcc
	v_cndmask_b32_e64 v0, 0, 1, vcc
	v_lshrrev_b64 v[0:1], v0, v[52:53]
; %bb.9146:                             ;   in Loop: Header=BB6_8499 Depth=3
	s_andn2_saveexec_b64 s[40:41], s[40:41]
; %bb.9147:                             ;   in Loop: Header=BB6_8499 Depth=3
	v_mov_b32_e32 v0, v52
	v_mov_b32_e32 v1, v53
	v_bfe_u32 v2, v52, 23, 1
; %bb.9148:                             ;   in Loop: Header=BB6_8499 Depth=3
	s_or_b64 exec, exec, s[40:41]
	v_lshrrev_b64 v[0:1], 20, v[0:1]
	v_cmp_gt_i32_e32 vcc, 16, v2
	v_cndmask_b32_e32 v1, 0, v1, vcc
	v_cndmask_b32_e32 v0, 7, v0, vcc
	v_cmp_eq_u64_e64 s[40:41], 0, v[0:1]
	v_min_i32_e32 v1, 15, v2
	v_lshlrev_b32_e32 v1, 3, v1
	v_cmp_eq_u32_e32 vcc, 0, v2
	v_and_b32_e32 v1, 0xf8, v1
	v_and_or_b32 v0, v0, 7, v1
	s_and_b64 s[40:41], vcc, s[40:41]
	v_cndmask_b32_e64 v0, v0, 0, s[40:41]
	v_or_b32_e32 v0, v0, v8
.LBB6_9149:                             ;   in Loop: Header=BB6_8499 Depth=3
	s_or_b64 exec, exec, s[46:47]
                                        ; implicit-def: $vgpr8
.LBB6_9150:                             ;   in Loop: Header=BB6_8499 Depth=3
	s_andn2_saveexec_b64 s[40:41], s[44:45]
; %bb.9151:                             ;   in Loop: Header=BB6_8499 Depth=3
	v_or_b32_e32 v0, 0x7e, v8
; %bb.9152:                             ;   in Loop: Header=BB6_8499 Depth=3
	s_or_b64 exec, exec, s[40:41]
                                        ; implicit-def: $vgpr2
.LBB6_9153:                             ;   in Loop: Header=BB6_8499 Depth=3
	s_andn2_saveexec_b64 s[40:41], s[42:43]
; %bb.9154:                             ;   in Loop: Header=BB6_8499 Depth=3
	v_or_b32_sdwa v0, v2, s83 dst_sel:DWORD dst_unused:UNUSED_PAD src0_sel:BYTE_3 src1_sel:DWORD
; %bb.9155:                             ;   in Loop: Header=BB6_8499 Depth=3
	s_or_b64 exec, exec, s[40:41]
	v_lshl_or_b32 v1, v19, 8, v18
	v_lshlrev_b32_e32 v2, 16, v34
	v_lshlrev_b32_e32 v8, 24, v12
	v_or3_b32 v9, v1, v2, v8
	v_lshl_or_b32 v1, v31, 8, v30
	v_lshlrev_b32_e32 v2, 16, v32
	v_lshlrev_b32_e32 v8, 24, v33
	v_or3_b32 v8, v1, v2, v8
	;; [unrolled: 4-line block ×3, first 2 shown]
	v_lshlrev_b32_e32 v0, 24, v0
	v_lshlrev_b32_e32 v1, 16, v7
	v_lshl_or_b32 v2, v3, 8, v6
	v_or3_b32 v11, v2, v1, v0
	s_mov_b64 s[46:47], 0
	s_mov_b64 s[44:45], -1
.LBB6_9156:                             ;   Parent Loop BB6_47 Depth=1
                                        ;     Parent Loop BB6_5595 Depth=2
                                        ;       Parent Loop BB6_8499 Depth=3
                                        ; =>      This Inner Loop Header: Depth=4
	s_cmp_eq_u32 s46, 1
	s_cselect_b64 s[40:41], -1, 0
	v_cndmask_b32_e64 v1, v27, v29, s[40:41]
	v_cndmask_b32_e64 v0, v26, v28, s[40:41]
	global_store_dwordx4 v[0:1], v[8:11], off glc slc
	v_add_co_u32_e32 v0, vcc, 0x400, v0
	s_cmp_eq_u32 s46, 0
	v_addc_co_u32_e32 v1, vcc, 0, v1, vcc
	s_cselect_b64 vcc, -1, 0
	s_and_b64 s[42:43], exec, s[44:45]
	s_mov_b64 s[46:47], 1
	v_cndmask_b32_e64 v28, v28, v0, s[40:41]
	s_mov_b64 s[44:45], 0
	v_cndmask_b32_e64 v29, v29, v1, s[40:41]
	v_cndmask_b32_e32 v27, v27, v1, vcc
	v_cndmask_b32_e32 v26, v26, v0, vcc
	s_mov_b64 vcc, s[42:43]
	s_cbranch_vccnz .LBB6_9156
; %bb.9157:                             ;   in Loop: Header=BB6_8499 Depth=3
	buffer_load_dword v0, off, s[0:3], s33 offset:268 ; 4-byte Folded Reload
	buffer_load_dword v1, off, s[0:3], s33 offset:272 ; 4-byte Folded Reload
	v_sub_u32_e32 v24, v24, v48
	s_waitcnt vmcnt(1)
	v_add_co_u32_e32 v4, vcc, v4, v0
	s_waitcnt vmcnt(0)
	v_addc_co_u32_e32 v5, vcc, v5, v1, vcc
	v_add_co_u32_e32 v16, vcc, v16, v0
	buffer_load_dword v0, off, s[0:3], s33 offset:260 ; 4-byte Folded Reload
	v_addc_co_u32_e32 v17, vcc, v17, v1, vcc
	buffer_load_dword v1, off, s[0:3], s33 offset:264 ; 4-byte Folded Reload
	s_waitcnt vmcnt(1)
	v_add_co_u32_e32 v26, vcc, v26, v0
	s_waitcnt vmcnt(0)
	v_addc_co_u32_e32 v27, vcc, v27, v1, vcc
	v_add_co_u32_e32 v28, vcc, v28, v0
	buffer_load_dword v0, off, s[0:3], s33 offset:228 ; 4-byte Folded Reload
	v_addc_co_u32_e32 v29, vcc, v29, v1, vcc
	s_waitcnt vmcnt(0)
	v_sub_u32_e32 v25, v25, v0
	v_cmp_gt_i32_e32 vcc, 16, v25
	s_or_b64 s[50:51], vcc, s[50:51]
	s_andn2_b64 exec, exec, s[50:51]
	s_cbranch_execnz .LBB6_8499
	s_branch .LBB6_9206
.LBB6_9158:                             ;   in Loop: Header=BB6_8499 Depth=3
	s_or_saveexec_b64 s[46:47], s[46:47]
	v_bfrev_b32_e32 v2, 1
	s_xor_b64 exec, exec, s[46:47]
	s_cbranch_execz .LBB6_8510
.LBB6_9159:                             ;   in Loop: Header=BB6_8499 Depth=3
	v_cmp_ne_u16_sdwa vcc, v12, v53 src0_sel:BYTE_0 src1_sel:DWORD
	s_andn2_b64 s[44:45], s[44:45], exec
	s_and_b64 vcc, vcc, exec
	v_mov_b32_e32 v2, 0
	s_or_b64 s[44:45], s[44:45], vcc
	s_or_b64 exec, exec, s[46:47]
	s_and_saveexec_b64 s[46:47], s[44:45]
	s_cbranch_execnz .LBB6_8511
	s_branch .LBB6_8512
.LBB6_9160:                             ;   in Loop: Header=BB6_8499 Depth=3
	s_or_saveexec_b64 s[44:45], s[44:45]
	v_bfrev_b32_e32 v2, 1
	s_xor_b64 exec, exec, s[44:45]
	s_cbranch_execz .LBB6_8524
.LBB6_9161:                             ;   in Loop: Header=BB6_8499 Depth=3
	v_cmp_ne_u16_sdwa s[46:47], v12, v53 src0_sel:BYTE_0 src1_sel:DWORD
	s_andn2_b64 s[42:43], s[42:43], exec
	s_and_b64 s[46:47], s[46:47], exec
	v_mov_b32_e32 v2, 0
	s_or_b64 s[42:43], s[42:43], s[46:47]
	s_or_b64 exec, exec, s[44:45]
	s_and_saveexec_b64 s[44:45], s[42:43]
	s_cbranch_execnz .LBB6_8525
	s_branch .LBB6_8526
.LBB6_9162:                             ;   in Loop: Header=BB6_8499 Depth=3
	s_or_saveexec_b64 s[46:47], s[46:47]
	v_bfrev_b32_e32 v3, 1
	s_xor_b64 exec, exec, s[46:47]
	s_cbranch_execz .LBB6_8554
.LBB6_9163:                             ;   in Loop: Header=BB6_8499 Depth=3
	v_cmp_ne_u16_e32 vcc, 0, v52
	s_andn2_b64 s[44:45], s[44:45], exec
	s_and_b64 vcc, vcc, exec
	v_mov_b32_e32 v3, 0
	s_or_b64 s[44:45], s[44:45], vcc
	s_or_b64 exec, exec, s[46:47]
	s_and_saveexec_b64 s[46:47], s[44:45]
	s_cbranch_execnz .LBB6_8555
	s_branch .LBB6_8556
.LBB6_9164:                             ;   in Loop: Header=BB6_8499 Depth=3
	s_or_saveexec_b64 s[44:45], s[44:45]
	v_bfrev_b32_e32 v2, 1
	s_xor_b64 exec, exec, s[44:45]
	s_cbranch_execz .LBB6_8568
.LBB6_9165:                             ;   in Loop: Header=BB6_8499 Depth=3
	v_cmp_ne_u16_e32 vcc, 0, v52
	s_andn2_b64 s[42:43], s[42:43], exec
	s_and_b64 s[46:47], vcc, exec
	v_mov_b32_e32 v2, 0
	s_or_b64 s[42:43], s[42:43], s[46:47]
	s_or_b64 exec, exec, s[44:45]
	s_and_saveexec_b64 s[44:45], s[42:43]
	s_cbranch_execnz .LBB6_8569
	s_branch .LBB6_8570
.LBB6_9166:                             ;   in Loop: Header=BB6_8499 Depth=3
	s_or_saveexec_b64 s[46:47], s[46:47]
	v_bfrev_b32_e32 v6, 1
	s_xor_b64 exec, exec, s[46:47]
	s_cbranch_execz .LBB6_8598
.LBB6_9167:                             ;   in Loop: Header=BB6_8499 Depth=3
	v_cmp_ne_u16_sdwa vcc, v0, v53 src0_sel:BYTE_0 src1_sel:DWORD
	s_andn2_b64 s[44:45], s[44:45], exec
	s_and_b64 vcc, vcc, exec
	v_mov_b32_e32 v6, 0
	s_or_b64 s[44:45], s[44:45], vcc
	s_or_b64 exec, exec, s[46:47]
	s_and_saveexec_b64 s[46:47], s[44:45]
	s_cbranch_execnz .LBB6_8599
	s_branch .LBB6_8600
.LBB6_9168:                             ;   in Loop: Header=BB6_8499 Depth=3
	s_or_saveexec_b64 s[44:45], s[44:45]
	v_bfrev_b32_e32 v2, 1
	s_xor_b64 exec, exec, s[44:45]
	s_cbranch_execz .LBB6_8612
.LBB6_9169:                             ;   in Loop: Header=BB6_8499 Depth=3
	v_cmp_ne_u16_sdwa s[46:47], v0, v53 src0_sel:BYTE_0 src1_sel:DWORD
	s_andn2_b64 s[42:43], s[42:43], exec
	s_and_b64 s[46:47], s[46:47], exec
	v_mov_b32_e32 v2, 0
	s_or_b64 s[42:43], s[42:43], s[46:47]
	s_or_b64 exec, exec, s[44:45]
	s_and_saveexec_b64 s[44:45], s[42:43]
	s_cbranch_execnz .LBB6_8613
	s_branch .LBB6_8614
.LBB6_9170:                             ;   in Loop: Header=BB6_8499 Depth=3
	s_or_saveexec_b64 s[46:47], s[46:47]
	v_bfrev_b32_e32 v6, 1
	s_xor_b64 exec, exec, s[46:47]
	s_cbranch_execz .LBB6_8674
.LBB6_9171:                             ;   in Loop: Header=BB6_8499 Depth=3
	v_cmp_ne_u16_sdwa vcc, v13, v53 src0_sel:BYTE_0 src1_sel:DWORD
	s_andn2_b64 s[44:45], s[44:45], exec
	s_and_b64 vcc, vcc, exec
	v_mov_b32_e32 v6, 0
	s_or_b64 s[44:45], s[44:45], vcc
	s_or_b64 exec, exec, s[46:47]
	s_and_saveexec_b64 s[46:47], s[44:45]
	s_cbranch_execnz .LBB6_8675
	s_branch .LBB6_8676
.LBB6_9172:                             ;   in Loop: Header=BB6_8499 Depth=3
	s_or_saveexec_b64 s[44:45], s[44:45]
	v_bfrev_b32_e32 v3, 1
	s_xor_b64 exec, exec, s[44:45]
	s_cbranch_execz .LBB6_8688
.LBB6_9173:                             ;   in Loop: Header=BB6_8499 Depth=3
	v_cmp_ne_u16_sdwa s[46:47], v13, v53 src0_sel:BYTE_0 src1_sel:DWORD
	s_andn2_b64 s[42:43], s[42:43], exec
	s_and_b64 s[46:47], s[46:47], exec
	v_mov_b32_e32 v3, 0
	s_or_b64 s[42:43], s[42:43], s[46:47]
	s_or_b64 exec, exec, s[44:45]
	s_and_saveexec_b64 s[44:45], s[42:43]
	s_cbranch_execnz .LBB6_8689
	s_branch .LBB6_8690
.LBB6_9174:                             ;   in Loop: Header=BB6_8499 Depth=3
	s_or_saveexec_b64 s[46:47], s[46:47]
	v_bfrev_b32_e32 v6, 1
	s_xor_b64 exec, exec, s[46:47]
	s_cbranch_execz .LBB6_8718
.LBB6_9175:                             ;   in Loop: Header=BB6_8499 Depth=3
	v_cmp_ne_u16_e32 vcc, 0, v52
	s_andn2_b64 s[44:45], s[44:45], exec
	s_and_b64 vcc, vcc, exec
	v_mov_b32_e32 v6, 0
	s_or_b64 s[44:45], s[44:45], vcc
	s_or_b64 exec, exec, s[46:47]
	s_and_saveexec_b64 s[46:47], s[44:45]
	s_cbranch_execnz .LBB6_8719
	s_branch .LBB6_8720
.LBB6_9176:                             ;   in Loop: Header=BB6_8499 Depth=3
	s_or_saveexec_b64 s[44:45], s[44:45]
	v_bfrev_b32_e32 v2, 1
	s_xor_b64 exec, exec, s[44:45]
	s_cbranch_execz .LBB6_8732
.LBB6_9177:                             ;   in Loop: Header=BB6_8499 Depth=3
	v_cmp_ne_u16_e32 vcc, 0, v52
	s_andn2_b64 s[42:43], s[42:43], exec
	s_and_b64 s[46:47], vcc, exec
	v_mov_b32_e32 v2, 0
	s_or_b64 s[42:43], s[42:43], s[46:47]
	s_or_b64 exec, exec, s[44:45]
	s_and_saveexec_b64 s[44:45], s[42:43]
	s_cbranch_execnz .LBB6_8733
	s_branch .LBB6_8734
.LBB6_9178:                             ;   in Loop: Header=BB6_8499 Depth=3
	s_or_saveexec_b64 s[46:47], s[46:47]
	v_bfrev_b32_e32 v6, 1
	s_xor_b64 exec, exec, s[46:47]
	s_cbranch_execz .LBB6_8762
.LBB6_9179:                             ;   in Loop: Header=BB6_8499 Depth=3
	v_cmp_ne_u16_sdwa vcc, v0, v53 src0_sel:BYTE_0 src1_sel:DWORD
	s_andn2_b64 s[44:45], s[44:45], exec
	s_and_b64 vcc, vcc, exec
	v_mov_b32_e32 v6, 0
	s_or_b64 s[44:45], s[44:45], vcc
	s_or_b64 exec, exec, s[46:47]
	s_and_saveexec_b64 s[46:47], s[44:45]
	s_cbranch_execnz .LBB6_8763
	s_branch .LBB6_8764
.LBB6_9180:                             ;   in Loop: Header=BB6_8499 Depth=3
	s_or_saveexec_b64 s[44:45], s[44:45]
	v_bfrev_b32_e32 v2, 1
	s_xor_b64 exec, exec, s[44:45]
	s_cbranch_execz .LBB6_8776
.LBB6_9181:                             ;   in Loop: Header=BB6_8499 Depth=3
	v_cmp_ne_u16_sdwa s[46:47], v0, v53 src0_sel:BYTE_0 src1_sel:DWORD
	s_andn2_b64 s[42:43], s[42:43], exec
	s_and_b64 s[46:47], s[46:47], exec
	v_mov_b32_e32 v2, 0
	s_or_b64 s[42:43], s[42:43], s[46:47]
	s_or_b64 exec, exec, s[44:45]
	s_and_saveexec_b64 s[44:45], s[42:43]
	s_cbranch_execnz .LBB6_8777
	s_branch .LBB6_8778
.LBB6_9182:                             ;   in Loop: Header=BB6_8499 Depth=3
	s_or_saveexec_b64 s[46:47], s[46:47]
	v_bfrev_b32_e32 v2, 1
	s_xor_b64 exec, exec, s[46:47]
	s_cbranch_execz .LBB6_8838
.LBB6_9183:                             ;   in Loop: Header=BB6_8499 Depth=3
	v_cmp_ne_u16_sdwa vcc, v14, v53 src0_sel:BYTE_0 src1_sel:DWORD
	s_andn2_b64 s[44:45], s[44:45], exec
	s_and_b64 vcc, vcc, exec
	v_mov_b32_e32 v2, 0
	s_or_b64 s[44:45], s[44:45], vcc
	s_or_b64 exec, exec, s[46:47]
	s_and_saveexec_b64 s[46:47], s[44:45]
	s_cbranch_execnz .LBB6_8839
	s_branch .LBB6_8840
.LBB6_9184:                             ;   in Loop: Header=BB6_8499 Depth=3
	s_or_saveexec_b64 s[44:45], s[44:45]
	v_bfrev_b32_e32 v2, 1
	s_xor_b64 exec, exec, s[44:45]
	s_cbranch_execz .LBB6_8852
.LBB6_9185:                             ;   in Loop: Header=BB6_8499 Depth=3
	v_cmp_ne_u16_sdwa s[46:47], v14, v53 src0_sel:BYTE_0 src1_sel:DWORD
	s_andn2_b64 s[42:43], s[42:43], exec
	s_and_b64 s[46:47], s[46:47], exec
	v_mov_b32_e32 v2, 0
	s_or_b64 s[42:43], s[42:43], s[46:47]
	s_or_b64 exec, exec, s[44:45]
	s_and_saveexec_b64 s[44:45], s[42:43]
	s_cbranch_execnz .LBB6_8853
	s_branch .LBB6_8854
.LBB6_9186:                             ;   in Loop: Header=BB6_8499 Depth=3
	s_or_saveexec_b64 s[46:47], s[46:47]
	v_bfrev_b32_e32 v3, 1
	s_xor_b64 exec, exec, s[46:47]
	s_cbranch_execz .LBB6_8882
.LBB6_9187:                             ;   in Loop: Header=BB6_8499 Depth=3
	v_cmp_ne_u16_e32 vcc, 0, v52
	s_andn2_b64 s[44:45], s[44:45], exec
	s_and_b64 vcc, vcc, exec
	v_mov_b32_e32 v3, 0
	s_or_b64 s[44:45], s[44:45], vcc
	s_or_b64 exec, exec, s[46:47]
	s_and_saveexec_b64 s[46:47], s[44:45]
	s_cbranch_execnz .LBB6_8883
	s_branch .LBB6_8884
.LBB6_9188:                             ;   in Loop: Header=BB6_8499 Depth=3
	s_or_saveexec_b64 s[44:45], s[44:45]
	v_bfrev_b32_e32 v2, 1
	s_xor_b64 exec, exec, s[44:45]
	s_cbranch_execz .LBB6_8896
.LBB6_9189:                             ;   in Loop: Header=BB6_8499 Depth=3
	v_cmp_ne_u16_e32 vcc, 0, v52
	s_andn2_b64 s[42:43], s[42:43], exec
	s_and_b64 s[46:47], vcc, exec
	v_mov_b32_e32 v2, 0
	s_or_b64 s[42:43], s[42:43], s[46:47]
	s_or_b64 exec, exec, s[44:45]
	s_and_saveexec_b64 s[44:45], s[42:43]
	s_cbranch_execnz .LBB6_8897
	s_branch .LBB6_8898
.LBB6_9190:                             ;   in Loop: Header=BB6_8499 Depth=3
	s_or_saveexec_b64 s[46:47], s[46:47]
	v_bfrev_b32_e32 v6, 1
	s_xor_b64 exec, exec, s[46:47]
	s_cbranch_execz .LBB6_8926
.LBB6_9191:                             ;   in Loop: Header=BB6_8499 Depth=3
	v_cmp_ne_u16_sdwa vcc, v0, v53 src0_sel:BYTE_0 src1_sel:DWORD
	s_andn2_b64 s[44:45], s[44:45], exec
	s_and_b64 vcc, vcc, exec
	v_mov_b32_e32 v6, 0
	s_or_b64 s[44:45], s[44:45], vcc
	s_or_b64 exec, exec, s[46:47]
	s_and_saveexec_b64 s[46:47], s[44:45]
	s_cbranch_execnz .LBB6_8927
	s_branch .LBB6_8928
.LBB6_9192:                             ;   in Loop: Header=BB6_8499 Depth=3
	s_or_saveexec_b64 s[44:45], s[44:45]
	v_bfrev_b32_e32 v2, 1
	s_xor_b64 exec, exec, s[44:45]
	s_cbranch_execz .LBB6_8940
.LBB6_9193:                             ;   in Loop: Header=BB6_8499 Depth=3
	v_cmp_ne_u16_sdwa s[46:47], v0, v53 src0_sel:BYTE_0 src1_sel:DWORD
	s_andn2_b64 s[42:43], s[42:43], exec
	s_and_b64 s[46:47], s[46:47], exec
	v_mov_b32_e32 v2, 0
	s_or_b64 s[42:43], s[42:43], s[46:47]
	s_or_b64 exec, exec, s[44:45]
	s_and_saveexec_b64 s[44:45], s[42:43]
	s_cbranch_execnz .LBB6_8941
	s_branch .LBB6_8942
.LBB6_9194:                             ;   in Loop: Header=BB6_8499 Depth=3
	s_or_saveexec_b64 s[46:47], s[46:47]
	v_bfrev_b32_e32 v3, 1
	s_xor_b64 exec, exec, s[46:47]
	s_cbranch_execz .LBB6_9002
.LBB6_9195:                             ;   in Loop: Header=BB6_8499 Depth=3
	v_cmp_ne_u16_sdwa vcc, v15, v53 src0_sel:BYTE_0 src1_sel:DWORD
	s_andn2_b64 s[44:45], s[44:45], exec
	s_and_b64 vcc, vcc, exec
	v_mov_b32_e32 v3, 0
	s_or_b64 s[44:45], s[44:45], vcc
	s_or_b64 exec, exec, s[46:47]
	s_and_saveexec_b64 s[46:47], s[44:45]
	s_cbranch_execnz .LBB6_9003
	s_branch .LBB6_9004
.LBB6_9196:                             ;   in Loop: Header=BB6_8499 Depth=3
	s_or_saveexec_b64 s[44:45], s[44:45]
	v_bfrev_b32_e32 v3, 1
	s_xor_b64 exec, exec, s[44:45]
	s_cbranch_execz .LBB6_9016
.LBB6_9197:                             ;   in Loop: Header=BB6_8499 Depth=3
	v_cmp_ne_u16_sdwa s[46:47], v15, v53 src0_sel:BYTE_0 src1_sel:DWORD
	s_andn2_b64 s[42:43], s[42:43], exec
	s_and_b64 s[46:47], s[46:47], exec
	v_mov_b32_e32 v3, 0
	s_or_b64 s[42:43], s[42:43], s[46:47]
	s_or_b64 exec, exec, s[44:45]
	s_and_saveexec_b64 s[44:45], s[42:43]
	s_cbranch_execnz .LBB6_9017
	s_branch .LBB6_9018
.LBB6_9198:                             ;   in Loop: Header=BB6_8499 Depth=3
	s_or_saveexec_b64 s[46:47], s[46:47]
	v_bfrev_b32_e32 v3, 1
	s_xor_b64 exec, exec, s[46:47]
	s_cbranch_execz .LBB6_9046
.LBB6_9199:                             ;   in Loop: Header=BB6_8499 Depth=3
	v_cmp_ne_u16_e32 vcc, 0, v2
	s_andn2_b64 s[44:45], s[44:45], exec
	s_and_b64 vcc, vcc, exec
	v_mov_b32_e32 v3, 0
	s_or_b64 s[44:45], s[44:45], vcc
	s_or_b64 exec, exec, s[46:47]
	s_and_saveexec_b64 s[46:47], s[44:45]
	s_cbranch_execnz .LBB6_9047
	s_branch .LBB6_9048
.LBB6_9200:                             ;   in Loop: Header=BB6_8499 Depth=3
	s_or_saveexec_b64 s[44:45], s[44:45]
	v_bfrev_b32_e32 v3, 1
	s_xor_b64 exec, exec, s[44:45]
	s_cbranch_execz .LBB6_9060
.LBB6_9201:                             ;   in Loop: Header=BB6_8499 Depth=3
	v_cmp_ne_u16_e32 vcc, 0, v2
	s_andn2_b64 s[42:43], s[42:43], exec
	s_and_b64 s[46:47], vcc, exec
	v_mov_b32_e32 v3, 0
	s_or_b64 s[42:43], s[42:43], s[46:47]
	s_or_b64 exec, exec, s[44:45]
	s_and_saveexec_b64 s[44:45], s[42:43]
	s_cbranch_execnz .LBB6_9061
	s_branch .LBB6_9062
.LBB6_9202:                             ;   in Loop: Header=BB6_8499 Depth=3
	s_or_saveexec_b64 s[46:47], s[46:47]
	v_bfrev_b32_e32 v8, 1
	s_xor_b64 exec, exec, s[46:47]
	s_cbranch_execz .LBB6_9090
.LBB6_9203:                             ;   in Loop: Header=BB6_8499 Depth=3
	v_cmp_ne_u16_sdwa vcc, v0, v53 src0_sel:BYTE_0 src1_sel:DWORD
	s_andn2_b64 s[44:45], s[44:45], exec
	s_and_b64 vcc, vcc, exec
	v_mov_b32_e32 v8, 0
	s_or_b64 s[44:45], s[44:45], vcc
	s_or_b64 exec, exec, s[46:47]
	s_and_saveexec_b64 s[46:47], s[44:45]
	s_cbranch_execnz .LBB6_9091
	s_branch .LBB6_9092
.LBB6_9204:                             ;   in Loop: Header=BB6_8499 Depth=3
	s_or_saveexec_b64 s[44:45], s[44:45]
	v_bfrev_b32_e32 v2, 1
	s_xor_b64 exec, exec, s[44:45]
	s_cbranch_execz .LBB6_9104
.LBB6_9205:                             ;   in Loop: Header=BB6_8499 Depth=3
	v_cmp_ne_u16_sdwa s[46:47], v0, v53 src0_sel:BYTE_0 src1_sel:DWORD
	s_andn2_b64 s[42:43], s[42:43], exec
	s_and_b64 s[46:47], s[46:47], exec
	v_mov_b32_e32 v2, 0
	s_or_b64 s[42:43], s[42:43], s[46:47]
	s_or_b64 exec, exec, s[44:45]
	s_and_saveexec_b64 s[44:45], s[42:43]
	s_cbranch_execnz .LBB6_9105
	s_branch .LBB6_9106
.LBB6_9206:                             ;   in Loop: Header=BB6_5595 Depth=2
	s_or_b64 exec, exec, s[50:51]
.LBB6_9207:                             ;   in Loop: Header=BB6_5595 Depth=2
	s_or_b64 exec, exec, s[48:49]
	buffer_load_dword v0, off, s[0:3], s33 offset:320 ; 4-byte Folded Reload
	v_cmp_lt_i32_e32 vcc, 0, v24
	s_waitcnt vmcnt(0)
	v_and_b32_e32 v0, 15, v0
	v_sub_u32_e32 v1, v23, v0
	v_cndmask_b32_e64 v3, v23, v0, s[28:29]
	v_cndmask_b32_e32 v0, 0, v48, vcc
	v_cndmask_b32_e64 v1, 0, v1, s[28:29]
	v_sub_u32_e32 v0, v0, v24
	v_cmp_ne_u32_e32 vcc, 0, v3
	v_add3_u32 v7, v22, v20, v1
	v_lshl_add_u32 v2, v0, 6, v21
	s_and_b64 s[28:29], vcc, exec
.LBB6_9208:                             ;   in Loop: Header=BB6_5595 Depth=2
	s_or_b64 exec, exec, s[38:39]
	s_and_saveexec_b64 s[44:45], s[28:29]
	s_cbranch_execz .LBB6_10803
.LBB6_9209:                             ;   in Loop: Header=BB6_5595 Depth=2
	s_waitcnt vmcnt(0)
	v_ashrrev_i32_e32 v0, 31, v2
	v_ashrrev_i32_e32 v1, 31, v3
	v_lshrrev_b32_e32 v0, 26, v0
	v_lshrrev_b32_e32 v1, 21, v1
	v_add_u32_e32 v0, v2, v0
	v_add_u32_e32 v1, v3, v1
	v_ashrrev_i32_e32 v4, 6, v0
	v_ashrrev_i32_e32 v1, 11, v1
	v_sub_u32_e32 v15, v1, v4
	v_cmp_lt_i32_e32 vcc, 0, v15
	s_and_saveexec_b64 s[42:43], vcc
	s_cbranch_execz .LBB6_10749
; %bb.9210:                             ;   in Loop: Header=BB6_5595 Depth=2
	v_and_b32_e32 v0, 0xffffffc0, v0
	buffer_store_dword v1, off, s[0:3], s33 offset:388 ; 4-byte Folded Spill
	buffer_store_dword v3, off, s[0:3], s33 offset:296 ; 4-byte Folded Spill
	;; [unrolled: 1-line block ×3, first 2 shown]
	v_sub_u32_e32 v0, v2, v0
	buffer_store_dword v4, off, s[0:3], s33 offset:312 ; 4-byte Folded Spill
	v_lshlrev_b32_e32 v1, 11, v4
	buffer_store_dword v7, off, s[0:3], s33 offset:292 ; 4-byte Folded Spill
	v_add3_u32 v2, v7, v0, v1
	buffer_load_dword v0, off, s[0:3], s33 offset:332 ; 4-byte Folded Reload
	buffer_load_dword v1, off, s[0:3], s33 offset:336 ; 4-byte Folded Reload
	v_ashrrev_i32_e32 v3, 31, v2
	s_trap 2
	s_bitcmp1_b32 s8, 0
	s_mov_b64 s[46:47], 0
	s_cselect_b64 s[38:39], -1, 0
	s_waitcnt vmcnt(1)
	v_add_co_u32_e32 v4, vcc, v2, v0
	s_waitcnt vmcnt(0)
	v_addc_co_u32_e32 v5, vcc, v3, v1, vcc
	ds_read_b64 v[0:1], v0
	buffer_load_dword v6, off, s[0:3], s33 offset:340 ; 4-byte Folded Reload
	buffer_load_dword v7, off, s[0:3], s33 offset:344 ; 4-byte Folded Reload
	v_add_co_u32_e32 v8, vcc, v2, v60
	v_addc_co_u32_e32 v9, vcc, v3, v61, vcc
	s_waitcnt vmcnt(1)
	v_add_co_u32_e32 v10, vcc, v2, v6
	s_waitcnt vmcnt(0)
	v_addc_co_u32_e32 v11, vcc, v3, v7, vcc
	s_waitcnt lgkmcnt(0)
	v_add_co_u32_e32 v12, vcc, v0, v2
	v_addc_co_u32_e32 v13, vcc, v1, v3, vcc
	s_branch .LBB6_9212
.LBB6_9211:                             ;   in Loop: Header=BB6_9212 Depth=3
	s_or_b64 exec, exec, s[28:29]
	flat_store_byte v[4:5], v39 glc slc
	flat_store_byte v[4:5], v22 offset:64 glc slc
	flat_store_byte v[4:5], v25 offset:128 glc slc
	;; [unrolled: 1-line block ×31, first 2 shown]
	flat_store_byte v[8:9], v39 glc slc
	flat_store_byte v[8:9], v22 offset:64 glc slc
	flat_store_byte v[8:9], v25 offset:128 glc slc
	;; [unrolled: 1-line block ×31, first 2 shown]
	buffer_load_dword v0, off, s[0:3], s33 offset:184 ; 4-byte Folded Reload
	buffer_load_dword v48, off, s[0:3], s33 offset:92 ; 4-byte Folded Reload
	s_waitcnt vmcnt(0)
	v_add_co_u32_e32 v10, vcc, v10, v0
	v_addc_co_u32_e32 v11, vcc, 0, v11, vcc
	v_add_co_u32_e32 v12, vcc, v12, v0
	v_addc_co_u32_e32 v13, vcc, 0, v13, vcc
	;; [unrolled: 2-line block ×3, first 2 shown]
	v_sub_u32_e32 v15, v15, v48
	v_cmp_gt_i32_e32 vcc, 1, v15
	s_or_b64 s[46:47], vcc, s[46:47]
	v_add_co_u32_e32 v8, vcc, v8, v0
	v_addc_co_u32_e32 v9, vcc, 0, v9, vcc
	s_andn2_b64 exec, exec, s[46:47]
	s_cbranch_execz .LBB6_10748
.LBB6_9212:                             ;   Parent Loop BB6_47 Depth=1
                                        ;     Parent Loop BB6_5595 Depth=2
                                        ; =>    This Inner Loop Header: Depth=3
	flat_load_ubyte v2, v[10:11] glc slc
	flat_load_ubyte v38, v[10:11] offset:64 glc slc
	flat_load_ubyte v36, v[10:11] offset:128 glc slc
	flat_load_ubyte v35, v[10:11] offset:192 glc slc
	flat_load_ubyte v33, v[10:11] offset:256 glc slc
	flat_load_ubyte v32, v[10:11] offset:320 glc slc
	flat_load_ubyte v30, v[10:11] offset:384 glc slc
	flat_load_ubyte v29, v[10:11] offset:448 glc slc
	flat_load_ubyte v27, v[10:11] offset:512 glc slc
	flat_load_ubyte v26, v[10:11] offset:576 glc slc
	flat_load_ubyte v24, v[10:11] offset:640 glc slc
	flat_load_ubyte v23, v[10:11] offset:704 glc slc
	flat_load_ubyte v21, v[10:11] offset:768 glc slc
	flat_load_ubyte v20, v[10:11] offset:832 glc slc
	flat_load_ubyte v57, v[10:11] offset:896 glc slc
	flat_load_ubyte v56, v[10:11] offset:960 glc slc
	flat_load_ubyte v58, v[10:11] offset:1024 glc slc
	flat_load_ubyte v0, v[10:11] offset:1088 glc slc
	s_mov_b64 s[40:41], -1
	s_and_b64 vcc, exec, s[38:39]
	s_waitcnt vmcnt(0) lgkmcnt(0)
	v_cmp_ne_u16_e64 s[28:29], 0, v2
	buffer_store_dword v0, off, s[0:3], s33 offset:176 ; 4-byte Folded Spill
	flat_load_ubyte v0, v[10:11] offset:1152 glc slc
	s_waitcnt vmcnt(0) lgkmcnt(0)
	buffer_store_dword v0, off, s[0:3], s33 offset:168 ; 4-byte Folded Spill
	flat_load_ubyte v0, v[10:11] offset:1216 glc slc
	s_waitcnt vmcnt(0) lgkmcnt(0)
	buffer_store_dword v0, off, s[0:3], s33 offset:160 ; 4-byte Folded Spill
	flat_load_ubyte v0, v[10:11] offset:1280 glc slc
	s_waitcnt vmcnt(0) lgkmcnt(0)
	buffer_store_dword v0, off, s[0:3], s33 offset:152 ; 4-byte Folded Spill
	flat_load_ubyte v0, v[10:11] offset:1344 glc slc
	s_waitcnt vmcnt(0) lgkmcnt(0)
	buffer_store_dword v0, off, s[0:3], s33 offset:144 ; 4-byte Folded Spill
	flat_load_ubyte v0, v[10:11] offset:1408 glc slc
	s_waitcnt vmcnt(0) lgkmcnt(0)
	buffer_store_dword v0, off, s[0:3], s33 offset:148 ; 4-byte Folded Spill
	flat_load_ubyte v0, v[10:11] offset:1472 glc slc
	s_waitcnt vmcnt(0) lgkmcnt(0)
	buffer_store_dword v0, off, s[0:3], s33 offset:156 ; 4-byte Folded Spill
	flat_load_ubyte v61, v[10:11] offset:1536 glc slc
	flat_load_ubyte v47, v[10:11] offset:1600 glc slc
	s_nop 0
	flat_load_ubyte v0, v[10:11] offset:1664 glc slc
	s_waitcnt vmcnt(0) lgkmcnt(0)
	buffer_store_dword v0, off, s[0:3], s33 offset:136 ; 4-byte Folded Spill
	flat_load_ubyte v0, v[10:11] offset:1728 glc slc
	s_waitcnt vmcnt(0) lgkmcnt(0)
	buffer_store_dword v0, off, s[0:3], s33 offset:132 ; 4-byte Folded Spill
	;; [unrolled: 3-line block ×5, first 2 shown]
	flat_load_ubyte v54, v[10:11] offset:1984 glc slc
	flat_load_ubyte v1, v[12:13] glc slc
	flat_load_ubyte v22, v[12:13] offset:64 glc slc
	flat_load_ubyte v25, v[12:13] offset:128 glc slc
	;; [unrolled: 1-line block ×17, first 2 shown]
	s_waitcnt vmcnt(0) lgkmcnt(0)
	buffer_store_dword v0, off, s[0:3], s33 offset:172 ; 4-byte Folded Spill
	flat_load_ubyte v0, v[12:13] offset:1152 glc slc
	s_waitcnt vmcnt(0) lgkmcnt(0)
	buffer_store_dword v0, off, s[0:3], s33 offset:164 ; 4-byte Folded Spill
	flat_load_ubyte v40, v[12:13] offset:1216 glc slc
	flat_load_ubyte v3, v[12:13] offset:1280 glc slc
	;; [unrolled: 1-line block ×9, first 2 shown]
	s_waitcnt vmcnt(0) lgkmcnt(0)
	buffer_store_dword v0, off, s[0:3], s33 offset:140 ; 4-byte Folded Spill
	flat_load_ubyte v0, v[12:13] offset:1728 glc slc
	s_waitcnt vmcnt(0) lgkmcnt(0)
	buffer_store_dword v0, off, s[0:3], s33 offset:128 ; 4-byte Folded Spill
	flat_load_ubyte v0, v[12:13] offset:1792 glc slc
	;; [unrolled: 3-line block ×4, first 2 shown]
	s_waitcnt vmcnt(0) lgkmcnt(0)
	buffer_store_dword v0, off, s[0:3], s33 offset:104 ; 4-byte Folded Spill
                                        ; implicit-def: $vgpr0
	s_cbranch_vccz .LBB6_9226
; %bb.9213:                             ;   in Loop: Header=BB6_9212 Depth=3
	v_mov_b32_e32 v19, 0
	v_mov_b32_e32 v39, 0
	s_and_saveexec_b64 s[40:41], s[28:29]
	s_cbranch_execz .LBB6_9219
; %bb.9214:                             ;   in Loop: Header=BB6_9212 Depth=3
	v_cmp_ne_u16_e32 vcc, s82, v2
	v_bfrev_b32_e32 v39, 1
	s_and_saveexec_b64 s[48:49], vcc
	s_cbranch_execz .LBB6_9218
; %bb.9215:                             ;   in Loop: Header=BB6_9212 Depth=3
	v_and_b32_e32 v0, 0xffff, v2
	v_and_b32_e32 v49, 0x7f, v0
	v_cmp_ne_u32_e32 vcc, s83, v49
	v_mov_b32_e32 v39, 0x7f800001
	s_and_saveexec_b64 s[50:51], vcc
	s_cbranch_execz .LBB6_9217
; %bb.9216:                             ;   in Loop: Header=BB6_9212 Depth=3
	v_and_b32_e32 v39, 7, v0
	v_lshrrev_b32_e32 v52, 3, v49
	v_cmp_gt_u32_e32 vcc, 8, v49
	v_ffbh_u32_e32 v49, v39
	v_mov_b32_e32 v43, v54
	v_min_u32_e32 v54, 32, v49
	v_subrev_u32_e32 v49, 28, v54
	v_lshlrev_b64 v[49:50], v49, v[0:1]
	v_sub_u32_e32 v0, 29, v54
	v_and_b32_e32 v49, 7, v49
	v_cndmask_b32_e32 v0, v52, v0, vcc
	v_cndmask_b32_e32 v39, v39, v49, vcc
	v_lshlrev_b32_e32 v49, 24, v2
	v_bfrev_b32_e32 v50, 60
	v_lshlrev_b32_e32 v39, 20, v39
	v_and_b32_e32 v49, 0x80000000, v49
	v_lshl_add_u32 v0, v0, 23, v50
	v_mov_b32_e32 v54, v43
	v_or3_b32 v39, v49, v0, v39
.LBB6_9217:                             ;   in Loop: Header=BB6_9212 Depth=3
	s_or_b64 exec, exec, s[50:51]
.LBB6_9218:                             ;   in Loop: Header=BB6_9212 Depth=3
	s_or_b64 exec, exec, s[48:49]
.LBB6_9219:                             ;   in Loop: Header=BB6_9212 Depth=3
	s_or_b64 exec, exec, s[40:41]
	v_and_b32_e32 v0, 0xff, v1
	v_cmp_ne_u16_e32 vcc, 0, v0
	s_and_saveexec_b64 s[40:41], vcc
	s_cbranch_execz .LBB6_9225
; %bb.9220:                             ;   in Loop: Header=BB6_9212 Depth=3
	v_cmp_ne_u16_e32 vcc, s82, v0
	v_bfrev_b32_e32 v19, 1
	s_and_saveexec_b64 s[48:49], vcc
	s_cbranch_execz .LBB6_9224
; %bb.9221:                             ;   in Loop: Header=BB6_9212 Depth=3
	v_and_b32_e32 v49, 0x7f, v1
	v_cmp_ne_u32_e32 vcc, s83, v49
	v_mov_b32_e32 v19, 0x7f800001
	s_and_saveexec_b64 s[50:51], vcc
	s_cbranch_execz .LBB6_9223
; %bb.9222:                             ;   in Loop: Header=BB6_9212 Depth=3
	v_and_b32_e32 v19, 7, v0
	v_lshrrev_b32_e32 v52, 3, v49
	v_cmp_gt_u32_e32 vcc, 8, v49
	v_ffbh_u32_e32 v49, v19
	v_mov_b32_e32 v43, v54
	v_min_u32_e32 v54, 32, v49
	v_subrev_u32_e32 v49, 28, v54
	v_lshlrev_b64 v[49:50], v49, v[0:1]
	v_sub_u32_e32 v0, 29, v54
	v_and_b32_e32 v49, 7, v49
	v_cndmask_b32_e32 v0, v52, v0, vcc
	v_cndmask_b32_e32 v19, v19, v49, vcc
	v_lshlrev_b32_e32 v49, 24, v1
	v_bfrev_b32_e32 v50, 60
	v_lshlrev_b32_e32 v19, 20, v19
	v_and_b32_e32 v49, 0x80000000, v49
	v_lshl_add_u32 v0, v0, 23, v50
	v_mov_b32_e32 v54, v43
	v_or3_b32 v19, v49, v0, v19
.LBB6_9223:                             ;   in Loop: Header=BB6_9212 Depth=3
	s_or_b64 exec, exec, s[50:51]
.LBB6_9224:                             ;   in Loop: Header=BB6_9212 Depth=3
	s_or_b64 exec, exec, s[48:49]
.LBB6_9225:                             ;   in Loop: Header=BB6_9212 Depth=3
	s_or_b64 exec, exec, s[40:41]
	v_max_f32_e32 v0, v19, v19
	v_max_f32_e32 v19, v39, v39
	;; [unrolled: 1-line block ×3, first 2 shown]
	s_mov_b64 s[40:41], 0
.LBB6_9226:                             ;   in Loop: Header=BB6_9212 Depth=3
	s_and_b64 vcc, exec, s[40:41]
	s_cbranch_vccz .LBB6_9240
; %bb.9227:                             ;   in Loop: Header=BB6_9212 Depth=3
	v_mov_b32_e32 v19, 0
	v_mov_b32_e32 v39, 0
	s_and_saveexec_b64 s[40:41], s[28:29]
	s_cbranch_execz .LBB6_9233
; %bb.9228:                             ;   in Loop: Header=BB6_9212 Depth=3
	v_cmp_ne_u16_e32 vcc, s82, v2
	v_bfrev_b32_e32 v39, 1
	s_and_saveexec_b64 s[28:29], vcc
	s_cbranch_execz .LBB6_9232
; %bb.9229:                             ;   in Loop: Header=BB6_9212 Depth=3
	v_and_b32_e32 v0, 0xffff, v2
	v_and_b32_e32 v49, 0x7f, v0
	v_cmp_ne_u32_e32 vcc, s83, v49
	v_mov_b32_e32 v39, 0x7f800001
	s_and_saveexec_b64 s[48:49], vcc
	s_cbranch_execz .LBB6_9231
; %bb.9230:                             ;   in Loop: Header=BB6_9212 Depth=3
	v_and_b32_e32 v39, 7, v0
	v_lshrrev_b32_e32 v52, 3, v49
	v_cmp_gt_u32_e32 vcc, 8, v49
	v_ffbh_u32_e32 v49, v39
	v_mov_b32_e32 v43, v54
	v_min_u32_e32 v54, 32, v49
	v_subrev_u32_e32 v49, 28, v54
	v_lshlrev_b64 v[49:50], v49, v[0:1]
	v_sub_u32_e32 v0, 29, v54
	v_and_b32_e32 v49, 7, v49
	v_cndmask_b32_e32 v0, v52, v0, vcc
	v_cndmask_b32_e32 v39, v39, v49, vcc
	v_lshlrev_b32_e32 v2, 24, v2
	v_bfrev_b32_e32 v49, 60
	v_lshlrev_b32_e32 v39, 20, v39
	v_and_b32_e32 v2, 0x80000000, v2
	v_lshl_add_u32 v0, v0, 23, v49
	v_mov_b32_e32 v54, v43
	v_or3_b32 v39, v2, v0, v39
.LBB6_9231:                             ;   in Loop: Header=BB6_9212 Depth=3
	s_or_b64 exec, exec, s[48:49]
.LBB6_9232:                             ;   in Loop: Header=BB6_9212 Depth=3
	s_or_b64 exec, exec, s[28:29]
.LBB6_9233:                             ;   in Loop: Header=BB6_9212 Depth=3
	s_or_b64 exec, exec, s[40:41]
	v_and_b32_e32 v0, 0xff, v1
	v_cmp_ne_u16_e32 vcc, 0, v0
	s_and_saveexec_b64 s[28:29], vcc
	s_cbranch_execz .LBB6_9239
; %bb.9234:                             ;   in Loop: Header=BB6_9212 Depth=3
	v_cmp_ne_u16_e32 vcc, s82, v0
	v_bfrev_b32_e32 v19, 1
	s_and_saveexec_b64 s[40:41], vcc
	s_cbranch_execz .LBB6_9238
; %bb.9235:                             ;   in Loop: Header=BB6_9212 Depth=3
	v_and_b32_e32 v2, 0x7f, v1
	v_cmp_ne_u32_e32 vcc, s83, v2
	v_mov_b32_e32 v19, 0x7f800001
	s_and_saveexec_b64 s[48:49], vcc
	s_cbranch_execz .LBB6_9237
; %bb.9236:                             ;   in Loop: Header=BB6_9212 Depth=3
	v_and_b32_e32 v19, 7, v0
	v_lshrrev_b32_e32 v52, 3, v2
	v_cmp_gt_u32_e32 vcc, 8, v2
	v_ffbh_u32_e32 v2, v19
	v_min_u32_e32 v2, 32, v2
	v_subrev_u32_e32 v49, 28, v2
	v_lshlrev_b64 v[49:50], v49, v[0:1]
	v_sub_u32_e32 v0, 29, v2
	v_and_b32_e32 v2, 7, v49
	v_cndmask_b32_e32 v0, v52, v0, vcc
	v_cndmask_b32_e32 v2, v19, v2, vcc
	v_lshlrev_b32_e32 v1, 24, v1
	v_bfrev_b32_e32 v19, 60
	v_lshlrev_b32_e32 v2, 20, v2
	v_and_b32_e32 v1, 0x80000000, v1
	v_lshl_add_u32 v0, v0, 23, v19
	v_or3_b32 v19, v1, v0, v2
.LBB6_9237:                             ;   in Loop: Header=BB6_9212 Depth=3
	s_or_b64 exec, exec, s[48:49]
.LBB6_9238:                             ;   in Loop: Header=BB6_9212 Depth=3
	s_or_b64 exec, exec, s[40:41]
.LBB6_9239:                             ;   in Loop: Header=BB6_9212 Depth=3
	s_or_b64 exec, exec, s[28:29]
	v_max_f32_e32 v0, v19, v19
	v_max_f32_e32 v1, v39, v39
	v_min_f32_e32 v0, v1, v0
.LBB6_9240:                             ;   in Loop: Header=BB6_9212 Depth=3
	v_and_b32_e32 v52, 0x7f800000, v0
	v_cmp_ne_u64_e32 vcc, s[76:77], v[52:53]
                                        ; implicit-def: $vgpr39
	s_and_saveexec_b64 s[28:29], vcc
	s_xor_b64 s[40:41], exec, s[28:29]
	s_cbranch_execz .LBB6_9258
; %bb.9241:                             ;   in Loop: Header=BB6_9212 Depth=3
	v_and_b32_e32 v52, 0x7fffffff, v0
	v_cmp_gt_u64_e32 vcc, s[78:79], v[52:53]
	v_and_b32_sdwa v19, v0, s82 dst_sel:DWORD dst_unused:UNUSED_PAD src0_sel:BYTE_3 src1_sel:DWORD
                                        ; implicit-def: $vgpr39
	s_and_saveexec_b64 s[28:29], vcc
	s_xor_b64 s[48:49], exec, s[28:29]
	s_cbranch_execz .LBB6_9255
; %bb.9242:                             ;   in Loop: Header=BB6_9212 Depth=3
	v_cmp_ne_u32_e32 vcc, 0, v0
	v_mov_b32_e32 v39, 0
	s_and_saveexec_b64 s[50:51], vcc
	s_cbranch_execz .LBB6_9254
; %bb.9243:                             ;   in Loop: Header=BB6_9212 Depth=3
	v_bfe_u32 v39, v0, 23, 8
	v_and_b32_e32 v1, 0x7fffff, v0
	v_cmp_gt_u32_e64 s[28:29], s85, v39
	v_sub_u32_e32 v0, 0x79, v39
	v_cmp_eq_u32_e32 vcc, 0, v39
	v_cndmask_b32_e64 v0, 0, v0, s[28:29]
	v_mov_b32_e32 v49, 0x78
	v_cndmask_b32_e32 v49, v0, v49, vcc
	v_or_b32_e32 v2, 0x800000, v1
	v_add_u32_e32 v0, 20, v49
	v_cndmask_b32_e32 v52, v2, v1, vcc
	v_lshlrev_b64 v[0:1], v0, -1
	v_add_u32_e32 v2, 19, v49
	v_mov_b32_e32 v43, v54
	v_mov_b32_e32 v50, v55
	v_lshlrev_b64 v[54:55], v2, 1
	v_bfi_b32 v1, v1, 0, 0
	v_bfi_b32 v0, v0, 0, v52
	v_cmp_eq_u64_e64 s[28:29], v[0:1], v[54:55]
	v_lshrrev_b64 v[0:1], v49, v[52:53]
	v_mov_b32_e32 v2, v1
	v_mov_b32_e32 v1, v0
	s_and_saveexec_b64 s[52:53], s[28:29]
; %bb.9244:                             ;   in Loop: Header=BB6_9212 Depth=3
	v_bfe_u32 v1, v0, 20, 1
	v_add_co_u32_e64 v1, s[28:29], v0, v1
	v_add_co_u32_e64 v1, s[28:29], -1, v1
; %bb.9245:                             ;   in Loop: Header=BB6_9212 Depth=3
	s_or_b64 exec, exec, s[52:53]
	v_add_u32_e32 v2, 0xffffff81, v39
	v_mov_b32_e32 v39, 0xffffff82
	v_cndmask_b32_e32 v2, v2, v39, vcc
	v_lshrrev_b32_e32 v39, 23, v0
	v_add3_u32 v49, v49, v2, v39
	v_add_u32_e32 v39, 6, v49
	v_and_b32_e32 v1, 0xfffff, v1
	v_add_u32_e32 v52, v1, v0
	v_cmp_ne_u32_e32 vcc, 0, v39
                                        ; implicit-def: $vgpr0_vgpr1
                                        ; implicit-def: $vgpr2
	s_and_saveexec_b64 s[28:29], vcc
	s_xor_b64 s[28:29], exec, s[28:29]
; %bb.9246:                             ;   in Loop: Header=BB6_9212 Depth=3
	v_cmp_lt_u64_e32 vcc, s[88:89], v[52:53]
	v_add_u32_e32 v0, 7, v49
	v_cndmask_b32_e32 v2, v39, v0, vcc
	v_cndmask_b32_e64 v0, 0, 1, vcc
	v_lshrrev_b64 v[0:1], v0, v[52:53]
; %bb.9247:                             ;   in Loop: Header=BB6_9212 Depth=3
	s_or_saveexec_b64 s[28:29], s[28:29]
	v_mov_b32_e32 v55, v50
	v_mov_b32_e32 v54, v43
	s_xor_b64 exec, exec, s[28:29]
; %bb.9248:                             ;   in Loop: Header=BB6_9212 Depth=3
	v_mov_b32_e32 v0, v52
	v_mov_b32_e32 v1, v53
	v_bfe_u32 v2, v52, 23, 1
; %bb.9249:                             ;   in Loop: Header=BB6_9212 Depth=3
	s_or_b64 exec, exec, s[28:29]
	v_lshrrev_b64 v[0:1], 20, v[0:1]
	v_cmp_gt_i32_e32 vcc, 16, v2
	v_cndmask_b32_e32 v1, 0, v1, vcc
	v_cndmask_b32_e32 v0, 7, v0, vcc
	v_cmp_ne_u64_e32 vcc, 0, v[0:1]
	v_cmp_ne_u32_e64 s[28:29], 0, v2
	s_or_b64 s[28:29], s[28:29], vcc
                                        ; implicit-def: $vgpr39
	s_and_saveexec_b64 vcc, s[28:29]
	s_xor_b64 s[28:29], exec, vcc
; %bb.9250:                             ;   in Loop: Header=BB6_9212 Depth=3
	v_min_i32_e32 v1, 15, v2
	v_lshl_or_b32 v1, v1, 3, v19
	v_and_or_b32 v39, v0, 7, v1
                                        ; implicit-def: $vgpr19
; %bb.9251:                             ;   in Loop: Header=BB6_9212 Depth=3
	s_andn2_saveexec_b64 s[28:29], s[28:29]
; %bb.9252:                             ;   in Loop: Header=BB6_9212 Depth=3
	v_mov_b32_e32 v39, v19
; %bb.9253:                             ;   in Loop: Header=BB6_9212 Depth=3
	s_or_b64 exec, exec, s[28:29]
.LBB6_9254:                             ;   in Loop: Header=BB6_9212 Depth=3
	s_or_b64 exec, exec, s[50:51]
                                        ; implicit-def: $vgpr19
.LBB6_9255:                             ;   in Loop: Header=BB6_9212 Depth=3
	s_andn2_saveexec_b64 s[28:29], s[48:49]
; %bb.9256:                             ;   in Loop: Header=BB6_9212 Depth=3
	v_or_b32_e32 v39, 0x7e, v19
; %bb.9257:                             ;   in Loop: Header=BB6_9212 Depth=3
	s_or_b64 exec, exec, s[28:29]
                                        ; implicit-def: $vgpr0
.LBB6_9258:                             ;   in Loop: Header=BB6_9212 Depth=3
	s_andn2_saveexec_b64 s[28:29], s[40:41]
; %bb.9259:                             ;   in Loop: Header=BB6_9212 Depth=3
	v_or_b32_sdwa v39, v0, s83 dst_sel:DWORD dst_unused:UNUSED_PAD src0_sel:BYTE_3 src1_sel:DWORD
; %bb.9260:                             ;   in Loop: Header=BB6_9212 Depth=3
	s_or_b64 exec, exec, s[28:29]
	v_and_b32_e32 v0, 0xff, v38
	v_cndmask_b32_e64 v1, 0, 1, s[38:39]
	v_cmp_ne_u16_e64 s[40:41], 0, v0
	v_cmp_ne_u32_e64 s[28:29], 1, v1
	s_andn2_b64 vcc, exec, s[38:39]
	s_mov_b64 s[48:49], -1
                                        ; implicit-def: $vgpr1
	s_cbranch_vccnz .LBB6_9274
; %bb.9261:                             ;   in Loop: Header=BB6_9212 Depth=3
	v_mov_b32_e32 v19, 0
	v_mov_b32_e32 v2, 0
	s_and_saveexec_b64 s[48:49], s[40:41]
	s_cbranch_execz .LBB6_9267
; %bb.9262:                             ;   in Loop: Header=BB6_9212 Depth=3
	v_cmp_ne_u16_e32 vcc, s82, v0
	v_bfrev_b32_e32 v2, 1
	s_and_saveexec_b64 s[50:51], vcc
	s_cbranch_execz .LBB6_9266
; %bb.9263:                             ;   in Loop: Header=BB6_9212 Depth=3
	v_and_b32_e32 v1, 0x7f, v38
	v_cmp_ne_u32_e32 vcc, s83, v1
	v_mov_b32_e32 v2, 0x7f800001
	s_and_saveexec_b64 s[52:53], vcc
	s_cbranch_execz .LBB6_9265
; %bb.9264:                             ;   in Loop: Header=BB6_9212 Depth=3
	v_and_b32_e32 v49, 7, v0
	v_lshrrev_b32_e32 v50, 3, v1
	v_cmp_gt_u32_e32 vcc, 8, v1
	v_ffbh_u32_e32 v1, v49
	v_min_u32_e32 v52, 32, v1
	v_subrev_u32_e32 v1, 28, v52
	v_lshlrev_b64 v[1:2], v1, v[0:1]
	v_sub_u32_e32 v2, 29, v52
	v_and_b32_e32 v1, 7, v1
	v_cndmask_b32_e32 v2, v50, v2, vcc
	v_cndmask_b32_e32 v1, v49, v1, vcc
	v_lshlrev_b32_e32 v49, 24, v38
	v_bfrev_b32_e32 v50, 60
	v_lshlrev_b32_e32 v1, 20, v1
	v_and_b32_e32 v49, 0x80000000, v49
	v_lshl_add_u32 v2, v2, 23, v50
	v_or3_b32 v2, v49, v2, v1
.LBB6_9265:                             ;   in Loop: Header=BB6_9212 Depth=3
	s_or_b64 exec, exec, s[52:53]
.LBB6_9266:                             ;   in Loop: Header=BB6_9212 Depth=3
	s_or_b64 exec, exec, s[50:51]
.LBB6_9267:                             ;   in Loop: Header=BB6_9212 Depth=3
	s_or_b64 exec, exec, s[48:49]
	v_and_b32_e32 v1, 0xff, v22
	v_cmp_ne_u16_e32 vcc, 0, v1
	s_and_saveexec_b64 s[48:49], vcc
	s_cbranch_execz .LBB6_9273
; %bb.9268:                             ;   in Loop: Header=BB6_9212 Depth=3
	v_cmp_ne_u16_e32 vcc, s82, v1
	v_bfrev_b32_e32 v19, 1
	s_and_saveexec_b64 s[50:51], vcc
	s_cbranch_execz .LBB6_9272
; %bb.9269:                             ;   in Loop: Header=BB6_9212 Depth=3
	v_and_b32_e32 v49, 0x7f, v22
	v_cmp_ne_u32_e32 vcc, s83, v49
	v_mov_b32_e32 v19, 0x7f800001
	s_and_saveexec_b64 s[52:53], vcc
	s_cbranch_execz .LBB6_9271
; %bb.9270:                             ;   in Loop: Header=BB6_9212 Depth=3
	v_and_b32_e32 v19, 7, v1
	v_lshrrev_b32_e32 v52, 3, v49
	v_cmp_gt_u32_e32 vcc, 8, v49
	v_ffbh_u32_e32 v49, v19
	v_mov_b32_e32 v43, v54
	v_min_u32_e32 v54, 32, v49
	v_subrev_u32_e32 v49, 28, v54
	v_lshlrev_b64 v[49:50], v49, v[1:2]
	v_sub_u32_e32 v1, 29, v54
	v_and_b32_e32 v49, 7, v49
	v_cndmask_b32_e32 v1, v52, v1, vcc
	v_cndmask_b32_e32 v19, v19, v49, vcc
	v_lshlrev_b32_e32 v49, 24, v22
	v_bfrev_b32_e32 v50, 60
	v_lshlrev_b32_e32 v19, 20, v19
	v_and_b32_e32 v49, 0x80000000, v49
	v_lshl_add_u32 v1, v1, 23, v50
	v_mov_b32_e32 v54, v43
	v_or3_b32 v19, v49, v1, v19
.LBB6_9271:                             ;   in Loop: Header=BB6_9212 Depth=3
	s_or_b64 exec, exec, s[52:53]
.LBB6_9272:                             ;   in Loop: Header=BB6_9212 Depth=3
	s_or_b64 exec, exec, s[50:51]
.LBB6_9273:                             ;   in Loop: Header=BB6_9212 Depth=3
	s_or_b64 exec, exec, s[48:49]
	v_max_f32_e32 v1, v19, v19
	v_max_f32_e32 v2, v2, v2
	;; [unrolled: 1-line block ×3, first 2 shown]
	s_mov_b64 s[48:49], 0
.LBB6_9274:                             ;   in Loop: Header=BB6_9212 Depth=3
	s_and_b64 vcc, exec, s[48:49]
	s_cbranch_vccz .LBB6_9288
; %bb.9275:                             ;   in Loop: Header=BB6_9212 Depth=3
	v_mov_b32_e32 v2, 0
	v_mov_b32_e32 v1, 0
	s_and_saveexec_b64 s[48:49], s[40:41]
	s_cbranch_execz .LBB6_9281
; %bb.9276:                             ;   in Loop: Header=BB6_9212 Depth=3
	v_cmp_ne_u16_e32 vcc, s82, v0
	v_bfrev_b32_e32 v1, 1
	s_and_saveexec_b64 s[40:41], vcc
	s_cbranch_execz .LBB6_9280
; %bb.9277:                             ;   in Loop: Header=BB6_9212 Depth=3
	v_and_b32_e32 v19, 0x7f, v38
	v_cmp_ne_u32_e32 vcc, s83, v19
	v_mov_b32_e32 v1, 0x7f800001
	s_and_saveexec_b64 s[50:51], vcc
	s_cbranch_execz .LBB6_9279
; %bb.9278:                             ;   in Loop: Header=BB6_9212 Depth=3
	v_and_b32_e32 v49, 7, v0
	v_ffbh_u32_e32 v1, v49
	v_lshrrev_b32_e32 v50, 3, v19
	v_cmp_gt_u32_e32 vcc, 8, v19
	v_min_u32_e32 v19, 32, v1
	v_subrev_u32_e32 v1, 28, v19
	v_lshlrev_b64 v[0:1], v1, v[0:1]
	v_sub_u32_e32 v1, 29, v19
	v_and_b32_e32 v0, 7, v0
	v_cndmask_b32_e32 v1, v50, v1, vcc
	v_cndmask_b32_e32 v0, v49, v0, vcc
	v_lshlrev_b32_e32 v19, 24, v38
	v_bfrev_b32_e32 v38, 60
	v_lshlrev_b32_e32 v0, 20, v0
	v_and_b32_e32 v19, 0x80000000, v19
	v_lshl_add_u32 v1, v1, 23, v38
	v_or3_b32 v1, v19, v1, v0
.LBB6_9279:                             ;   in Loop: Header=BB6_9212 Depth=3
	s_or_b64 exec, exec, s[50:51]
.LBB6_9280:                             ;   in Loop: Header=BB6_9212 Depth=3
	s_or_b64 exec, exec, s[40:41]
.LBB6_9281:                             ;   in Loop: Header=BB6_9212 Depth=3
	s_or_b64 exec, exec, s[48:49]
	v_and_b32_e32 v0, 0xff, v22
	v_cmp_ne_u16_e32 vcc, 0, v0
	s_and_saveexec_b64 s[40:41], vcc
	s_cbranch_execz .LBB6_9287
; %bb.9282:                             ;   in Loop: Header=BB6_9212 Depth=3
	v_cmp_ne_u16_e32 vcc, s82, v0
	v_bfrev_b32_e32 v2, 1
	s_and_saveexec_b64 s[48:49], vcc
	s_cbranch_execz .LBB6_9286
; %bb.9283:                             ;   in Loop: Header=BB6_9212 Depth=3
	v_and_b32_e32 v19, 0x7f, v22
	v_cmp_ne_u32_e32 vcc, s83, v19
	v_mov_b32_e32 v2, 0x7f800001
	s_and_saveexec_b64 s[50:51], vcc
	s_cbranch_execz .LBB6_9285
; %bb.9284:                             ;   in Loop: Header=BB6_9212 Depth=3
	v_and_b32_e32 v2, 7, v0
	v_lshrrev_b32_e32 v38, 3, v19
	v_cmp_gt_u32_e32 vcc, 8, v19
	v_ffbh_u32_e32 v19, v2
	v_min_u32_e32 v19, 32, v19
	v_subrev_u32_e32 v49, 28, v19
	v_lshlrev_b64 v[49:50], v49, v[0:1]
	v_sub_u32_e32 v0, 29, v19
	v_and_b32_e32 v19, 7, v49
	v_cndmask_b32_e32 v0, v38, v0, vcc
	v_cndmask_b32_e32 v2, v2, v19, vcc
	v_lshlrev_b32_e32 v19, 24, v22
	v_bfrev_b32_e32 v22, 60
	v_lshlrev_b32_e32 v2, 20, v2
	v_and_b32_e32 v19, 0x80000000, v19
	v_lshl_add_u32 v0, v0, 23, v22
	v_or3_b32 v2, v19, v0, v2
.LBB6_9285:                             ;   in Loop: Header=BB6_9212 Depth=3
	s_or_b64 exec, exec, s[50:51]
.LBB6_9286:                             ;   in Loop: Header=BB6_9212 Depth=3
	s_or_b64 exec, exec, s[48:49]
.LBB6_9287:                             ;   in Loop: Header=BB6_9212 Depth=3
	s_or_b64 exec, exec, s[40:41]
	v_max_f32_e32 v0, v2, v2
	v_max_f32_e32 v1, v1, v1
	v_min_f32_e32 v1, v1, v0
.LBB6_9288:                             ;   in Loop: Header=BB6_9212 Depth=3
	v_and_b32_e32 v52, 0x7f800000, v1
	v_cmp_ne_u64_e32 vcc, s[76:77], v[52:53]
                                        ; implicit-def: $vgpr22
	s_and_saveexec_b64 s[40:41], vcc
	s_xor_b64 s[48:49], exec, s[40:41]
	s_cbranch_execz .LBB6_9306
; %bb.9289:                             ;   in Loop: Header=BB6_9212 Depth=3
	v_and_b32_e32 v52, 0x7fffffff, v1
	v_cmp_gt_u64_e32 vcc, s[78:79], v[52:53]
	v_and_b32_sdwa v19, v1, s82 dst_sel:DWORD dst_unused:UNUSED_PAD src0_sel:BYTE_3 src1_sel:DWORD
                                        ; implicit-def: $vgpr22
	s_and_saveexec_b64 s[40:41], vcc
	s_xor_b64 s[50:51], exec, s[40:41]
	s_cbranch_execz .LBB6_9303
; %bb.9290:                             ;   in Loop: Header=BB6_9212 Depth=3
	v_cmp_ne_u32_e32 vcc, 0, v1
	v_mov_b32_e32 v22, 0
	s_and_saveexec_b64 s[52:53], vcc
	s_cbranch_execz .LBB6_9302
; %bb.9291:                             ;   in Loop: Header=BB6_9212 Depth=3
	v_bfe_u32 v22, v1, 23, 8
	v_and_b32_e32 v0, 0x7fffff, v1
	v_cmp_gt_u32_e64 s[40:41], s85, v22
	v_sub_u32_e32 v1, 0x79, v22
	v_cmp_eq_u32_e32 vcc, 0, v22
	v_cndmask_b32_e64 v1, 0, v1, s[40:41]
	v_mov_b32_e32 v38, 0x78
	v_or_b32_e32 v2, 0x800000, v0
	v_cndmask_b32_e32 v38, v1, v38, vcc
	v_cndmask_b32_e32 v52, v2, v0, vcc
	v_add_u32_e32 v0, 20, v38
	v_lshlrev_b64 v[0:1], v0, -1
	v_add_u32_e32 v2, 19, v38
	v_lshlrev_b64 v[49:50], v2, 1
	v_bfi_b32 v1, v1, 0, 0
	v_bfi_b32 v0, v0, 0, v52
	v_cmp_eq_u64_e64 s[40:41], v[0:1], v[49:50]
	v_lshrrev_b64 v[0:1], v38, v[52:53]
	v_mov_b32_e32 v2, v1
	v_mov_b32_e32 v1, v0
	s_and_saveexec_b64 s[54:55], s[40:41]
; %bb.9292:                             ;   in Loop: Header=BB6_9212 Depth=3
	v_bfe_u32 v1, v0, 20, 1
	v_add_co_u32_e64 v1, s[40:41], v0, v1
	v_add_co_u32_e64 v1, s[40:41], -1, v1
; %bb.9293:                             ;   in Loop: Header=BB6_9212 Depth=3
	s_or_b64 exec, exec, s[54:55]
	v_add_u32_e32 v2, 0xffffff81, v22
	v_mov_b32_e32 v22, 0xffffff82
	v_cndmask_b32_e32 v2, v2, v22, vcc
	v_lshrrev_b32_e32 v22, 23, v0
	v_add3_u32 v38, v38, v2, v22
	v_add_u32_e32 v22, 6, v38
	v_and_b32_e32 v1, 0xfffff, v1
	v_add_u32_e32 v52, v1, v0
	v_cmp_ne_u32_e32 vcc, 0, v22
                                        ; implicit-def: $vgpr0_vgpr1
                                        ; implicit-def: $vgpr2
	s_and_saveexec_b64 s[40:41], vcc
	s_xor_b64 s[40:41], exec, s[40:41]
; %bb.9294:                             ;   in Loop: Header=BB6_9212 Depth=3
	v_cmp_lt_u64_e32 vcc, s[88:89], v[52:53]
	v_add_u32_e32 v0, 7, v38
	v_cndmask_b32_e32 v2, v22, v0, vcc
	v_cndmask_b32_e64 v0, 0, 1, vcc
	v_lshrrev_b64 v[0:1], v0, v[52:53]
; %bb.9295:                             ;   in Loop: Header=BB6_9212 Depth=3
	s_andn2_saveexec_b64 s[40:41], s[40:41]
; %bb.9296:                             ;   in Loop: Header=BB6_9212 Depth=3
	v_mov_b32_e32 v0, v52
	v_mov_b32_e32 v1, v53
	v_bfe_u32 v2, v52, 23, 1
; %bb.9297:                             ;   in Loop: Header=BB6_9212 Depth=3
	s_or_b64 exec, exec, s[40:41]
	v_lshrrev_b64 v[0:1], 20, v[0:1]
	v_cmp_gt_i32_e32 vcc, 16, v2
	v_cndmask_b32_e32 v1, 0, v1, vcc
	v_cndmask_b32_e32 v0, 7, v0, vcc
	v_cmp_ne_u64_e32 vcc, 0, v[0:1]
	v_cmp_ne_u32_e64 s[40:41], 0, v2
	s_or_b64 s[40:41], s[40:41], vcc
                                        ; implicit-def: $vgpr22
	s_and_saveexec_b64 vcc, s[40:41]
	s_xor_b64 s[40:41], exec, vcc
; %bb.9298:                             ;   in Loop: Header=BB6_9212 Depth=3
	v_min_i32_e32 v1, 15, v2
	v_lshl_or_b32 v1, v1, 3, v19
	v_and_or_b32 v22, v0, 7, v1
                                        ; implicit-def: $vgpr19
; %bb.9299:                             ;   in Loop: Header=BB6_9212 Depth=3
	s_andn2_saveexec_b64 s[40:41], s[40:41]
; %bb.9300:                             ;   in Loop: Header=BB6_9212 Depth=3
	v_mov_b32_e32 v22, v19
; %bb.9301:                             ;   in Loop: Header=BB6_9212 Depth=3
	s_or_b64 exec, exec, s[40:41]
.LBB6_9302:                             ;   in Loop: Header=BB6_9212 Depth=3
	s_or_b64 exec, exec, s[52:53]
                                        ; implicit-def: $vgpr19
.LBB6_9303:                             ;   in Loop: Header=BB6_9212 Depth=3
	s_andn2_saveexec_b64 s[40:41], s[50:51]
; %bb.9304:                             ;   in Loop: Header=BB6_9212 Depth=3
	v_or_b32_e32 v22, 0x7e, v19
; %bb.9305:                             ;   in Loop: Header=BB6_9212 Depth=3
	s_or_b64 exec, exec, s[40:41]
                                        ; implicit-def: $vgpr1
.LBB6_9306:                             ;   in Loop: Header=BB6_9212 Depth=3
	s_andn2_saveexec_b64 s[40:41], s[48:49]
; %bb.9307:                             ;   in Loop: Header=BB6_9212 Depth=3
	v_or_b32_sdwa v22, v1, s83 dst_sel:DWORD dst_unused:UNUSED_PAD src0_sel:BYTE_3 src1_sel:DWORD
; %bb.9308:                             ;   in Loop: Header=BB6_9212 Depth=3
	s_or_b64 exec, exec, s[40:41]
	v_and_b32_e32 v0, 0xff, v36
	v_cmp_ne_u16_e64 s[40:41], 0, v0
	s_and_b64 vcc, exec, s[28:29]
	s_mov_b64 s[48:49], -1
                                        ; implicit-def: $vgpr1
	s_cbranch_vccnz .LBB6_9322
; %bb.9309:                             ;   in Loop: Header=BB6_9212 Depth=3
	v_mov_b32_e32 v19, 0
	v_mov_b32_e32 v2, 0
	s_and_saveexec_b64 s[48:49], s[40:41]
	s_cbranch_execz .LBB6_9315
; %bb.9310:                             ;   in Loop: Header=BB6_9212 Depth=3
	v_cmp_ne_u16_e32 vcc, s82, v0
	v_bfrev_b32_e32 v2, 1
	s_and_saveexec_b64 s[50:51], vcc
	s_cbranch_execz .LBB6_9314
; %bb.9311:                             ;   in Loop: Header=BB6_9212 Depth=3
	v_and_b32_e32 v1, 0x7f, v36
	v_cmp_ne_u32_e32 vcc, s83, v1
	v_mov_b32_e32 v2, 0x7f800001
	s_and_saveexec_b64 s[52:53], vcc
	s_cbranch_execz .LBB6_9313
; %bb.9312:                             ;   in Loop: Header=BB6_9212 Depth=3
	v_and_b32_e32 v38, 7, v0
	v_lshrrev_b32_e32 v49, 3, v1
	v_cmp_gt_u32_e32 vcc, 8, v1
	v_ffbh_u32_e32 v1, v38
	v_min_u32_e32 v50, 32, v1
	v_subrev_u32_e32 v1, 28, v50
	v_lshlrev_b64 v[1:2], v1, v[0:1]
	v_sub_u32_e32 v2, 29, v50
	v_and_b32_e32 v1, 7, v1
	v_cndmask_b32_e32 v2, v49, v2, vcc
	v_cndmask_b32_e32 v1, v38, v1, vcc
	v_lshlrev_b32_e32 v38, 24, v36
	v_bfrev_b32_e32 v49, 60
	v_lshlrev_b32_e32 v1, 20, v1
	v_and_b32_e32 v38, 0x80000000, v38
	v_lshl_add_u32 v2, v2, 23, v49
	v_or3_b32 v2, v38, v2, v1
.LBB6_9313:                             ;   in Loop: Header=BB6_9212 Depth=3
	s_or_b64 exec, exec, s[52:53]
.LBB6_9314:                             ;   in Loop: Header=BB6_9212 Depth=3
	s_or_b64 exec, exec, s[50:51]
.LBB6_9315:                             ;   in Loop: Header=BB6_9212 Depth=3
	s_or_b64 exec, exec, s[48:49]
	v_and_b32_e32 v1, 0xff, v25
	v_cmp_ne_u16_e32 vcc, 0, v1
	s_and_saveexec_b64 s[48:49], vcc
	s_cbranch_execz .LBB6_9321
; %bb.9316:                             ;   in Loop: Header=BB6_9212 Depth=3
	v_cmp_ne_u16_e32 vcc, s82, v1
	v_bfrev_b32_e32 v19, 1
	s_and_saveexec_b64 s[50:51], vcc
	s_cbranch_execz .LBB6_9320
; %bb.9317:                             ;   in Loop: Header=BB6_9212 Depth=3
	v_and_b32_e32 v38, 0x7f, v25
	v_cmp_ne_u32_e32 vcc, s83, v38
	v_mov_b32_e32 v19, 0x7f800001
	s_and_saveexec_b64 s[52:53], vcc
	s_cbranch_execz .LBB6_9319
; %bb.9318:                             ;   in Loop: Header=BB6_9212 Depth=3
	v_and_b32_e32 v19, 7, v1
	v_lshrrev_b32_e32 v52, 3, v38
	v_cmp_gt_u32_e32 vcc, 8, v38
	v_ffbh_u32_e32 v38, v19
	v_min_u32_e32 v38, 32, v38
	v_subrev_u32_e32 v49, 28, v38
	v_lshlrev_b64 v[49:50], v49, v[1:2]
	v_sub_u32_e32 v1, 29, v38
	v_and_b32_e32 v38, 7, v49
	v_cndmask_b32_e32 v1, v52, v1, vcc
	v_cndmask_b32_e32 v19, v19, v38, vcc
	v_lshlrev_b32_e32 v38, 24, v25
	v_bfrev_b32_e32 v49, 60
	v_lshlrev_b32_e32 v19, 20, v19
	v_and_b32_e32 v38, 0x80000000, v38
	v_lshl_add_u32 v1, v1, 23, v49
	v_or3_b32 v19, v38, v1, v19
.LBB6_9319:                             ;   in Loop: Header=BB6_9212 Depth=3
	s_or_b64 exec, exec, s[52:53]
.LBB6_9320:                             ;   in Loop: Header=BB6_9212 Depth=3
	s_or_b64 exec, exec, s[50:51]
.LBB6_9321:                             ;   in Loop: Header=BB6_9212 Depth=3
	s_or_b64 exec, exec, s[48:49]
	v_max_f32_e32 v1, v19, v19
	v_max_f32_e32 v2, v2, v2
	;; [unrolled: 1-line block ×3, first 2 shown]
	s_mov_b64 s[48:49], 0
.LBB6_9322:                             ;   in Loop: Header=BB6_9212 Depth=3
	s_and_b64 vcc, exec, s[48:49]
	s_cbranch_vccz .LBB6_9336
; %bb.9323:                             ;   in Loop: Header=BB6_9212 Depth=3
	v_mov_b32_e32 v2, 0
	v_mov_b32_e32 v1, 0
	s_and_saveexec_b64 s[48:49], s[40:41]
	s_cbranch_execz .LBB6_9329
; %bb.9324:                             ;   in Loop: Header=BB6_9212 Depth=3
	v_cmp_ne_u16_e32 vcc, s82, v0
	v_bfrev_b32_e32 v1, 1
	s_and_saveexec_b64 s[40:41], vcc
	s_cbranch_execz .LBB6_9328
; %bb.9325:                             ;   in Loop: Header=BB6_9212 Depth=3
	v_and_b32_e32 v19, 0x7f, v36
	v_cmp_ne_u32_e32 vcc, s83, v19
	v_mov_b32_e32 v1, 0x7f800001
	s_and_saveexec_b64 s[50:51], vcc
	s_cbranch_execz .LBB6_9327
; %bb.9326:                             ;   in Loop: Header=BB6_9212 Depth=3
	v_and_b32_e32 v38, 7, v0
	v_ffbh_u32_e32 v1, v38
	v_lshrrev_b32_e32 v49, 3, v19
	v_cmp_gt_u32_e32 vcc, 8, v19
	v_min_u32_e32 v19, 32, v1
	v_subrev_u32_e32 v1, 28, v19
	v_lshlrev_b64 v[0:1], v1, v[0:1]
	v_sub_u32_e32 v1, 29, v19
	v_and_b32_e32 v0, 7, v0
	v_cndmask_b32_e32 v1, v49, v1, vcc
	v_cndmask_b32_e32 v0, v38, v0, vcc
	v_lshlrev_b32_e32 v19, 24, v36
	v_bfrev_b32_e32 v36, 60
	v_lshlrev_b32_e32 v0, 20, v0
	v_and_b32_e32 v19, 0x80000000, v19
	v_lshl_add_u32 v1, v1, 23, v36
	v_or3_b32 v1, v19, v1, v0
.LBB6_9327:                             ;   in Loop: Header=BB6_9212 Depth=3
	s_or_b64 exec, exec, s[50:51]
.LBB6_9328:                             ;   in Loop: Header=BB6_9212 Depth=3
	s_or_b64 exec, exec, s[40:41]
.LBB6_9329:                             ;   in Loop: Header=BB6_9212 Depth=3
	s_or_b64 exec, exec, s[48:49]
	v_and_b32_e32 v0, 0xff, v25
	v_cmp_ne_u16_e32 vcc, 0, v0
	s_and_saveexec_b64 s[40:41], vcc
	s_cbranch_execz .LBB6_9335
; %bb.9330:                             ;   in Loop: Header=BB6_9212 Depth=3
	v_cmp_ne_u16_e32 vcc, s82, v0
	v_bfrev_b32_e32 v2, 1
	s_and_saveexec_b64 s[48:49], vcc
	s_cbranch_execz .LBB6_9334
; %bb.9331:                             ;   in Loop: Header=BB6_9212 Depth=3
	v_and_b32_e32 v19, 0x7f, v25
	v_cmp_ne_u32_e32 vcc, s83, v19
	v_mov_b32_e32 v2, 0x7f800001
	s_and_saveexec_b64 s[50:51], vcc
	s_cbranch_execz .LBB6_9333
; %bb.9332:                             ;   in Loop: Header=BB6_9212 Depth=3
	v_and_b32_e32 v2, 7, v0
	v_lshrrev_b32_e32 v36, 3, v19
	v_cmp_gt_u32_e32 vcc, 8, v19
	v_ffbh_u32_e32 v19, v2
	v_min_u32_e32 v19, 32, v19
	v_subrev_u32_e32 v38, 28, v19
	v_lshlrev_b64 v[49:50], v38, v[0:1]
	v_sub_u32_e32 v0, 29, v19
	v_and_b32_e32 v19, 7, v49
	v_cndmask_b32_e32 v0, v36, v0, vcc
	v_cndmask_b32_e32 v2, v2, v19, vcc
	v_lshlrev_b32_e32 v19, 24, v25
	v_bfrev_b32_e32 v25, 60
	v_lshlrev_b32_e32 v2, 20, v2
	v_and_b32_e32 v19, 0x80000000, v19
	v_lshl_add_u32 v0, v0, 23, v25
	v_or3_b32 v2, v19, v0, v2
.LBB6_9333:                             ;   in Loop: Header=BB6_9212 Depth=3
	s_or_b64 exec, exec, s[50:51]
.LBB6_9334:                             ;   in Loop: Header=BB6_9212 Depth=3
	s_or_b64 exec, exec, s[48:49]
.LBB6_9335:                             ;   in Loop: Header=BB6_9212 Depth=3
	s_or_b64 exec, exec, s[40:41]
	v_max_f32_e32 v0, v2, v2
	v_max_f32_e32 v1, v1, v1
	v_min_f32_e32 v1, v1, v0
.LBB6_9336:                             ;   in Loop: Header=BB6_9212 Depth=3
	v_and_b32_e32 v52, 0x7f800000, v1
	v_cmp_ne_u64_e32 vcc, s[76:77], v[52:53]
                                        ; implicit-def: $vgpr25
	s_and_saveexec_b64 s[40:41], vcc
	s_xor_b64 s[48:49], exec, s[40:41]
	s_cbranch_execz .LBB6_9354
; %bb.9337:                             ;   in Loop: Header=BB6_9212 Depth=3
	v_and_b32_e32 v52, 0x7fffffff, v1
	v_cmp_gt_u64_e32 vcc, s[78:79], v[52:53]
	v_and_b32_sdwa v19, v1, s82 dst_sel:DWORD dst_unused:UNUSED_PAD src0_sel:BYTE_3 src1_sel:DWORD
                                        ; implicit-def: $vgpr25
	s_and_saveexec_b64 s[40:41], vcc
	s_xor_b64 s[50:51], exec, s[40:41]
	s_cbranch_execz .LBB6_9351
; %bb.9338:                             ;   in Loop: Header=BB6_9212 Depth=3
	v_cmp_ne_u32_e32 vcc, 0, v1
	v_mov_b32_e32 v25, 0
	s_and_saveexec_b64 s[52:53], vcc
	s_cbranch_execz .LBB6_9350
; %bb.9339:                             ;   in Loop: Header=BB6_9212 Depth=3
	v_bfe_u32 v25, v1, 23, 8
	v_and_b32_e32 v0, 0x7fffff, v1
	v_cmp_gt_u32_e64 s[40:41], s85, v25
	v_sub_u32_e32 v1, 0x79, v25
	v_cmp_eq_u32_e32 vcc, 0, v25
	v_cndmask_b32_e64 v1, 0, v1, s[40:41]
	v_mov_b32_e32 v36, 0x78
	v_or_b32_e32 v2, 0x800000, v0
	v_cndmask_b32_e32 v36, v1, v36, vcc
	v_cndmask_b32_e32 v52, v2, v0, vcc
	v_add_u32_e32 v0, 20, v36
	v_lshlrev_b64 v[0:1], v0, -1
	v_add_u32_e32 v2, 19, v36
	v_lshlrev_b64 v[49:50], v2, 1
	v_bfi_b32 v1, v1, 0, 0
	v_bfi_b32 v0, v0, 0, v52
	v_cmp_eq_u64_e64 s[40:41], v[0:1], v[49:50]
	v_lshrrev_b64 v[0:1], v36, v[52:53]
	v_mov_b32_e32 v2, v1
	v_mov_b32_e32 v1, v0
	s_and_saveexec_b64 s[54:55], s[40:41]
; %bb.9340:                             ;   in Loop: Header=BB6_9212 Depth=3
	v_bfe_u32 v1, v0, 20, 1
	v_add_co_u32_e64 v1, s[40:41], v0, v1
	v_add_co_u32_e64 v1, s[40:41], -1, v1
; %bb.9341:                             ;   in Loop: Header=BB6_9212 Depth=3
	s_or_b64 exec, exec, s[54:55]
	v_add_u32_e32 v2, 0xffffff81, v25
	v_mov_b32_e32 v25, 0xffffff82
	v_cndmask_b32_e32 v2, v2, v25, vcc
	v_lshrrev_b32_e32 v25, 23, v0
	v_add3_u32 v36, v36, v2, v25
	v_add_u32_e32 v25, 6, v36
	v_and_b32_e32 v1, 0xfffff, v1
	v_add_u32_e32 v52, v1, v0
	v_cmp_ne_u32_e32 vcc, 0, v25
                                        ; implicit-def: $vgpr0_vgpr1
                                        ; implicit-def: $vgpr2
	s_and_saveexec_b64 s[40:41], vcc
	s_xor_b64 s[40:41], exec, s[40:41]
; %bb.9342:                             ;   in Loop: Header=BB6_9212 Depth=3
	v_cmp_lt_u64_e32 vcc, s[88:89], v[52:53]
	v_add_u32_e32 v0, 7, v36
	v_cndmask_b32_e32 v2, v25, v0, vcc
	v_cndmask_b32_e64 v0, 0, 1, vcc
	v_lshrrev_b64 v[0:1], v0, v[52:53]
; %bb.9343:                             ;   in Loop: Header=BB6_9212 Depth=3
	s_andn2_saveexec_b64 s[40:41], s[40:41]
; %bb.9344:                             ;   in Loop: Header=BB6_9212 Depth=3
	v_mov_b32_e32 v0, v52
	v_mov_b32_e32 v1, v53
	v_bfe_u32 v2, v52, 23, 1
; %bb.9345:                             ;   in Loop: Header=BB6_9212 Depth=3
	s_or_b64 exec, exec, s[40:41]
	v_lshrrev_b64 v[0:1], 20, v[0:1]
	v_cmp_gt_i32_e32 vcc, 16, v2
	v_cndmask_b32_e32 v1, 0, v1, vcc
	v_cndmask_b32_e32 v0, 7, v0, vcc
	v_cmp_ne_u64_e32 vcc, 0, v[0:1]
	v_cmp_ne_u32_e64 s[40:41], 0, v2
	s_or_b64 s[40:41], s[40:41], vcc
                                        ; implicit-def: $vgpr25
	s_and_saveexec_b64 vcc, s[40:41]
	s_xor_b64 s[40:41], exec, vcc
; %bb.9346:                             ;   in Loop: Header=BB6_9212 Depth=3
	v_min_i32_e32 v1, 15, v2
	v_lshl_or_b32 v1, v1, 3, v19
	v_and_or_b32 v25, v0, 7, v1
                                        ; implicit-def: $vgpr19
; %bb.9347:                             ;   in Loop: Header=BB6_9212 Depth=3
	s_andn2_saveexec_b64 s[40:41], s[40:41]
; %bb.9348:                             ;   in Loop: Header=BB6_9212 Depth=3
	v_mov_b32_e32 v25, v19
; %bb.9349:                             ;   in Loop: Header=BB6_9212 Depth=3
	s_or_b64 exec, exec, s[40:41]
.LBB6_9350:                             ;   in Loop: Header=BB6_9212 Depth=3
	s_or_b64 exec, exec, s[52:53]
                                        ; implicit-def: $vgpr19
.LBB6_9351:                             ;   in Loop: Header=BB6_9212 Depth=3
	s_andn2_saveexec_b64 s[40:41], s[50:51]
; %bb.9352:                             ;   in Loop: Header=BB6_9212 Depth=3
	v_or_b32_e32 v25, 0x7e, v19
; %bb.9353:                             ;   in Loop: Header=BB6_9212 Depth=3
	s_or_b64 exec, exec, s[40:41]
                                        ; implicit-def: $vgpr1
.LBB6_9354:                             ;   in Loop: Header=BB6_9212 Depth=3
	s_andn2_saveexec_b64 s[40:41], s[48:49]
; %bb.9355:                             ;   in Loop: Header=BB6_9212 Depth=3
	v_or_b32_sdwa v25, v1, s83 dst_sel:DWORD dst_unused:UNUSED_PAD src0_sel:BYTE_3 src1_sel:DWORD
; %bb.9356:                             ;   in Loop: Header=BB6_9212 Depth=3
	s_or_b64 exec, exec, s[40:41]
	v_and_b32_e32 v0, 0xff, v35
	v_cmp_ne_u16_e64 s[40:41], 0, v0
	s_and_b64 vcc, exec, s[28:29]
	s_mov_b64 s[48:49], -1
                                        ; implicit-def: $vgpr1
	s_cbranch_vccnz .LBB6_9370
; %bb.9357:                             ;   in Loop: Header=BB6_9212 Depth=3
	v_mov_b32_e32 v19, 0
	v_mov_b32_e32 v2, 0
	s_and_saveexec_b64 s[48:49], s[40:41]
	s_cbranch_execz .LBB6_9363
; %bb.9358:                             ;   in Loop: Header=BB6_9212 Depth=3
	v_cmp_ne_u16_e32 vcc, s82, v0
	v_bfrev_b32_e32 v2, 1
	s_and_saveexec_b64 s[50:51], vcc
	s_cbranch_execz .LBB6_9362
; %bb.9359:                             ;   in Loop: Header=BB6_9212 Depth=3
	v_and_b32_e32 v1, 0x7f, v35
	v_cmp_ne_u32_e32 vcc, s83, v1
	v_mov_b32_e32 v2, 0x7f800001
	s_and_saveexec_b64 s[52:53], vcc
	s_cbranch_execz .LBB6_9361
; %bb.9360:                             ;   in Loop: Header=BB6_9212 Depth=3
	v_and_b32_e32 v36, 7, v0
	v_lshrrev_b32_e32 v38, 3, v1
	v_cmp_gt_u32_e32 vcc, 8, v1
	v_ffbh_u32_e32 v1, v36
	v_min_u32_e32 v49, 32, v1
	v_subrev_u32_e32 v1, 28, v49
	v_lshlrev_b64 v[1:2], v1, v[0:1]
	v_sub_u32_e32 v2, 29, v49
	v_and_b32_e32 v1, 7, v1
	v_cndmask_b32_e32 v2, v38, v2, vcc
	v_cndmask_b32_e32 v1, v36, v1, vcc
	v_lshlrev_b32_e32 v36, 24, v35
	v_bfrev_b32_e32 v38, 60
	v_lshlrev_b32_e32 v1, 20, v1
	v_and_b32_e32 v36, 0x80000000, v36
	v_lshl_add_u32 v2, v2, 23, v38
	v_or3_b32 v2, v36, v2, v1
.LBB6_9361:                             ;   in Loop: Header=BB6_9212 Depth=3
	s_or_b64 exec, exec, s[52:53]
.LBB6_9362:                             ;   in Loop: Header=BB6_9212 Depth=3
	s_or_b64 exec, exec, s[50:51]
.LBB6_9363:                             ;   in Loop: Header=BB6_9212 Depth=3
	s_or_b64 exec, exec, s[48:49]
	v_and_b32_e32 v1, 0xff, v28
	v_cmp_ne_u16_e32 vcc, 0, v1
	s_and_saveexec_b64 s[48:49], vcc
	s_cbranch_execz .LBB6_9369
; %bb.9364:                             ;   in Loop: Header=BB6_9212 Depth=3
	v_cmp_ne_u16_e32 vcc, s82, v1
	v_bfrev_b32_e32 v19, 1
	s_and_saveexec_b64 s[50:51], vcc
	s_cbranch_execz .LBB6_9368
; %bb.9365:                             ;   in Loop: Header=BB6_9212 Depth=3
	v_and_b32_e32 v36, 0x7f, v28
	v_cmp_ne_u32_e32 vcc, s83, v36
	v_mov_b32_e32 v19, 0x7f800001
	s_and_saveexec_b64 s[52:53], vcc
	s_cbranch_execz .LBB6_9367
; %bb.9366:                             ;   in Loop: Header=BB6_9212 Depth=3
	v_and_b32_e32 v19, 7, v1
	v_lshrrev_b32_e32 v38, 3, v36
	v_cmp_gt_u32_e32 vcc, 8, v36
	v_ffbh_u32_e32 v36, v19
	v_min_u32_e32 v36, 32, v36
	v_subrev_u32_e32 v49, 28, v36
	v_lshlrev_b64 v[49:50], v49, v[1:2]
	v_sub_u32_e32 v1, 29, v36
	v_and_b32_e32 v36, 7, v49
	v_cndmask_b32_e32 v1, v38, v1, vcc
	v_cndmask_b32_e32 v19, v19, v36, vcc
	v_lshlrev_b32_e32 v36, 24, v28
	v_bfrev_b32_e32 v38, 60
	v_lshlrev_b32_e32 v19, 20, v19
	v_and_b32_e32 v36, 0x80000000, v36
	v_lshl_add_u32 v1, v1, 23, v38
	v_or3_b32 v19, v36, v1, v19
.LBB6_9367:                             ;   in Loop: Header=BB6_9212 Depth=3
	s_or_b64 exec, exec, s[52:53]
.LBB6_9368:                             ;   in Loop: Header=BB6_9212 Depth=3
	s_or_b64 exec, exec, s[50:51]
.LBB6_9369:                             ;   in Loop: Header=BB6_9212 Depth=3
	s_or_b64 exec, exec, s[48:49]
	v_max_f32_e32 v1, v19, v19
	v_max_f32_e32 v2, v2, v2
	v_max_f32_e32 v1, v2, v1
	s_mov_b64 s[48:49], 0
.LBB6_9370:                             ;   in Loop: Header=BB6_9212 Depth=3
	s_and_b64 vcc, exec, s[48:49]
	s_cbranch_vccz .LBB6_9384
; %bb.9371:                             ;   in Loop: Header=BB6_9212 Depth=3
	v_mov_b32_e32 v2, 0
	v_mov_b32_e32 v1, 0
	s_and_saveexec_b64 s[48:49], s[40:41]
	s_cbranch_execz .LBB6_9377
; %bb.9372:                             ;   in Loop: Header=BB6_9212 Depth=3
	v_cmp_ne_u16_e32 vcc, s82, v0
	v_bfrev_b32_e32 v1, 1
	s_and_saveexec_b64 s[40:41], vcc
	s_cbranch_execz .LBB6_9376
; %bb.9373:                             ;   in Loop: Header=BB6_9212 Depth=3
	v_and_b32_e32 v19, 0x7f, v35
	v_cmp_ne_u32_e32 vcc, s83, v19
	v_mov_b32_e32 v1, 0x7f800001
	s_and_saveexec_b64 s[50:51], vcc
	s_cbranch_execz .LBB6_9375
; %bb.9374:                             ;   in Loop: Header=BB6_9212 Depth=3
	v_and_b32_e32 v36, 7, v0
	v_ffbh_u32_e32 v1, v36
	v_lshrrev_b32_e32 v38, 3, v19
	v_cmp_gt_u32_e32 vcc, 8, v19
	v_min_u32_e32 v19, 32, v1
	v_subrev_u32_e32 v1, 28, v19
	v_lshlrev_b64 v[0:1], v1, v[0:1]
	v_sub_u32_e32 v1, 29, v19
	v_and_b32_e32 v0, 7, v0
	v_cndmask_b32_e32 v1, v38, v1, vcc
	v_cndmask_b32_e32 v0, v36, v0, vcc
	v_lshlrev_b32_e32 v19, 24, v35
	v_bfrev_b32_e32 v35, 60
	v_lshlrev_b32_e32 v0, 20, v0
	v_and_b32_e32 v19, 0x80000000, v19
	v_lshl_add_u32 v1, v1, 23, v35
	v_or3_b32 v1, v19, v1, v0
.LBB6_9375:                             ;   in Loop: Header=BB6_9212 Depth=3
	s_or_b64 exec, exec, s[50:51]
.LBB6_9376:                             ;   in Loop: Header=BB6_9212 Depth=3
	s_or_b64 exec, exec, s[40:41]
.LBB6_9377:                             ;   in Loop: Header=BB6_9212 Depth=3
	s_or_b64 exec, exec, s[48:49]
	v_and_b32_e32 v0, 0xff, v28
	v_cmp_ne_u16_e32 vcc, 0, v0
	s_and_saveexec_b64 s[40:41], vcc
	s_cbranch_execz .LBB6_9383
; %bb.9378:                             ;   in Loop: Header=BB6_9212 Depth=3
	v_cmp_ne_u16_e32 vcc, s82, v0
	v_bfrev_b32_e32 v2, 1
	s_and_saveexec_b64 s[48:49], vcc
	s_cbranch_execz .LBB6_9382
; %bb.9379:                             ;   in Loop: Header=BB6_9212 Depth=3
	v_and_b32_e32 v19, 0x7f, v28
	v_cmp_ne_u32_e32 vcc, s83, v19
	v_mov_b32_e32 v2, 0x7f800001
	s_and_saveexec_b64 s[50:51], vcc
	s_cbranch_execz .LBB6_9381
; %bb.9380:                             ;   in Loop: Header=BB6_9212 Depth=3
	v_and_b32_e32 v2, 7, v0
	v_lshrrev_b32_e32 v38, 3, v19
	v_cmp_gt_u32_e32 vcc, 8, v19
	v_ffbh_u32_e32 v19, v2
	v_min_u32_e32 v19, 32, v19
	v_subrev_u32_e32 v35, 28, v19
	v_lshlrev_b64 v[35:36], v35, v[0:1]
	v_sub_u32_e32 v0, 29, v19
	v_and_b32_e32 v19, 7, v35
	v_cndmask_b32_e32 v0, v38, v0, vcc
	v_cndmask_b32_e32 v2, v2, v19, vcc
	v_lshlrev_b32_e32 v19, 24, v28
	v_bfrev_b32_e32 v28, 60
	v_lshlrev_b32_e32 v2, 20, v2
	v_and_b32_e32 v19, 0x80000000, v19
	v_lshl_add_u32 v0, v0, 23, v28
	v_or3_b32 v2, v19, v0, v2
.LBB6_9381:                             ;   in Loop: Header=BB6_9212 Depth=3
	s_or_b64 exec, exec, s[50:51]
.LBB6_9382:                             ;   in Loop: Header=BB6_9212 Depth=3
	s_or_b64 exec, exec, s[48:49]
.LBB6_9383:                             ;   in Loop: Header=BB6_9212 Depth=3
	s_or_b64 exec, exec, s[40:41]
	v_max_f32_e32 v0, v2, v2
	v_max_f32_e32 v1, v1, v1
	v_min_f32_e32 v1, v1, v0
.LBB6_9384:                             ;   in Loop: Header=BB6_9212 Depth=3
	v_and_b32_e32 v52, 0x7f800000, v1
	v_cmp_ne_u64_e32 vcc, s[76:77], v[52:53]
                                        ; implicit-def: $vgpr28
	s_and_saveexec_b64 s[40:41], vcc
	s_xor_b64 s[48:49], exec, s[40:41]
	s_cbranch_execz .LBB6_9402
; %bb.9385:                             ;   in Loop: Header=BB6_9212 Depth=3
	v_and_b32_e32 v52, 0x7fffffff, v1
	v_cmp_gt_u64_e32 vcc, s[78:79], v[52:53]
	v_and_b32_sdwa v19, v1, s82 dst_sel:DWORD dst_unused:UNUSED_PAD src0_sel:BYTE_3 src1_sel:DWORD
                                        ; implicit-def: $vgpr28
	s_and_saveexec_b64 s[40:41], vcc
	s_xor_b64 s[50:51], exec, s[40:41]
	s_cbranch_execz .LBB6_9399
; %bb.9386:                             ;   in Loop: Header=BB6_9212 Depth=3
	v_cmp_ne_u32_e32 vcc, 0, v1
	v_mov_b32_e32 v28, 0
	s_and_saveexec_b64 s[52:53], vcc
	s_cbranch_execz .LBB6_9398
; %bb.9387:                             ;   in Loop: Header=BB6_9212 Depth=3
	v_bfe_u32 v28, v1, 23, 8
	v_and_b32_e32 v0, 0x7fffff, v1
	v_cmp_gt_u32_e64 s[40:41], s85, v28
	v_sub_u32_e32 v1, 0x79, v28
	v_cmp_eq_u32_e32 vcc, 0, v28
	v_cndmask_b32_e64 v1, 0, v1, s[40:41]
	v_mov_b32_e32 v35, 0x78
	v_or_b32_e32 v2, 0x800000, v0
	v_cndmask_b32_e32 v35, v1, v35, vcc
	v_cndmask_b32_e32 v52, v2, v0, vcc
	v_add_u32_e32 v0, 20, v35
	v_lshlrev_b64 v[0:1], v0, -1
	v_add_u32_e32 v2, 19, v35
	v_lshlrev_b64 v[49:50], v2, 1
	v_bfi_b32 v1, v1, 0, 0
	v_bfi_b32 v0, v0, 0, v52
	v_cmp_eq_u64_e64 s[40:41], v[0:1], v[49:50]
	v_lshrrev_b64 v[0:1], v35, v[52:53]
	v_mov_b32_e32 v2, v1
	v_mov_b32_e32 v1, v0
	s_and_saveexec_b64 s[54:55], s[40:41]
; %bb.9388:                             ;   in Loop: Header=BB6_9212 Depth=3
	v_bfe_u32 v1, v0, 20, 1
	v_add_co_u32_e64 v1, s[40:41], v0, v1
	v_add_co_u32_e64 v1, s[40:41], -1, v1
; %bb.9389:                             ;   in Loop: Header=BB6_9212 Depth=3
	s_or_b64 exec, exec, s[54:55]
	v_add_u32_e32 v2, 0xffffff81, v28
	v_mov_b32_e32 v28, 0xffffff82
	v_cndmask_b32_e32 v2, v2, v28, vcc
	v_lshrrev_b32_e32 v28, 23, v0
	v_add3_u32 v35, v35, v2, v28
	v_add_u32_e32 v28, 6, v35
	v_and_b32_e32 v1, 0xfffff, v1
	v_add_u32_e32 v52, v1, v0
	v_cmp_ne_u32_e32 vcc, 0, v28
                                        ; implicit-def: $vgpr0_vgpr1
                                        ; implicit-def: $vgpr2
	s_and_saveexec_b64 s[40:41], vcc
	s_xor_b64 s[40:41], exec, s[40:41]
; %bb.9390:                             ;   in Loop: Header=BB6_9212 Depth=3
	v_cmp_lt_u64_e32 vcc, s[88:89], v[52:53]
	v_add_u32_e32 v0, 7, v35
	v_cndmask_b32_e32 v2, v28, v0, vcc
	v_cndmask_b32_e64 v0, 0, 1, vcc
	v_lshrrev_b64 v[0:1], v0, v[52:53]
; %bb.9391:                             ;   in Loop: Header=BB6_9212 Depth=3
	s_andn2_saveexec_b64 s[40:41], s[40:41]
; %bb.9392:                             ;   in Loop: Header=BB6_9212 Depth=3
	v_mov_b32_e32 v0, v52
	v_mov_b32_e32 v1, v53
	v_bfe_u32 v2, v52, 23, 1
; %bb.9393:                             ;   in Loop: Header=BB6_9212 Depth=3
	s_or_b64 exec, exec, s[40:41]
	v_lshrrev_b64 v[0:1], 20, v[0:1]
	v_cmp_gt_i32_e32 vcc, 16, v2
	v_cndmask_b32_e32 v1, 0, v1, vcc
	v_cndmask_b32_e32 v0, 7, v0, vcc
	v_cmp_ne_u64_e32 vcc, 0, v[0:1]
	v_cmp_ne_u32_e64 s[40:41], 0, v2
	s_or_b64 s[40:41], s[40:41], vcc
                                        ; implicit-def: $vgpr28
	s_and_saveexec_b64 vcc, s[40:41]
	s_xor_b64 s[40:41], exec, vcc
; %bb.9394:                             ;   in Loop: Header=BB6_9212 Depth=3
	v_min_i32_e32 v1, 15, v2
	v_lshl_or_b32 v1, v1, 3, v19
	v_and_or_b32 v28, v0, 7, v1
                                        ; implicit-def: $vgpr19
; %bb.9395:                             ;   in Loop: Header=BB6_9212 Depth=3
	s_andn2_saveexec_b64 s[40:41], s[40:41]
; %bb.9396:                             ;   in Loop: Header=BB6_9212 Depth=3
	v_mov_b32_e32 v28, v19
; %bb.9397:                             ;   in Loop: Header=BB6_9212 Depth=3
	s_or_b64 exec, exec, s[40:41]
.LBB6_9398:                             ;   in Loop: Header=BB6_9212 Depth=3
	s_or_b64 exec, exec, s[52:53]
                                        ; implicit-def: $vgpr19
.LBB6_9399:                             ;   in Loop: Header=BB6_9212 Depth=3
	s_andn2_saveexec_b64 s[40:41], s[50:51]
; %bb.9400:                             ;   in Loop: Header=BB6_9212 Depth=3
	v_or_b32_e32 v28, 0x7e, v19
; %bb.9401:                             ;   in Loop: Header=BB6_9212 Depth=3
	s_or_b64 exec, exec, s[40:41]
                                        ; implicit-def: $vgpr1
.LBB6_9402:                             ;   in Loop: Header=BB6_9212 Depth=3
	s_andn2_saveexec_b64 s[40:41], s[48:49]
; %bb.9403:                             ;   in Loop: Header=BB6_9212 Depth=3
	v_or_b32_sdwa v28, v1, s83 dst_sel:DWORD dst_unused:UNUSED_PAD src0_sel:BYTE_3 src1_sel:DWORD
; %bb.9404:                             ;   in Loop: Header=BB6_9212 Depth=3
	s_or_b64 exec, exec, s[40:41]
	v_and_b32_e32 v0, 0xff, v33
	v_cmp_ne_u16_e64 s[40:41], 0, v0
	s_and_b64 vcc, exec, s[28:29]
	s_mov_b64 s[48:49], -1
                                        ; implicit-def: $vgpr1
	s_cbranch_vccnz .LBB6_9418
; %bb.9405:                             ;   in Loop: Header=BB6_9212 Depth=3
	v_mov_b32_e32 v19, 0
	v_mov_b32_e32 v2, 0
	s_and_saveexec_b64 s[48:49], s[40:41]
	s_cbranch_execz .LBB6_9411
; %bb.9406:                             ;   in Loop: Header=BB6_9212 Depth=3
	v_cmp_ne_u16_e32 vcc, s82, v0
	v_bfrev_b32_e32 v2, 1
	s_and_saveexec_b64 s[50:51], vcc
	s_cbranch_execz .LBB6_9410
; %bb.9407:                             ;   in Loop: Header=BB6_9212 Depth=3
	v_and_b32_e32 v1, 0x7f, v33
	v_cmp_ne_u32_e32 vcc, s83, v1
	v_mov_b32_e32 v2, 0x7f800001
	s_and_saveexec_b64 s[52:53], vcc
	s_cbranch_execz .LBB6_9409
; %bb.9408:                             ;   in Loop: Header=BB6_9212 Depth=3
	v_and_b32_e32 v35, 7, v0
	v_lshrrev_b32_e32 v36, 3, v1
	v_cmp_gt_u32_e32 vcc, 8, v1
	v_ffbh_u32_e32 v1, v35
	v_min_u32_e32 v38, 32, v1
	v_subrev_u32_e32 v1, 28, v38
	v_lshlrev_b64 v[1:2], v1, v[0:1]
	v_sub_u32_e32 v2, 29, v38
	v_and_b32_e32 v1, 7, v1
	v_cndmask_b32_e32 v2, v36, v2, vcc
	v_cndmask_b32_e32 v1, v35, v1, vcc
	v_lshlrev_b32_e32 v35, 24, v33
	v_bfrev_b32_e32 v36, 60
	v_lshlrev_b32_e32 v1, 20, v1
	v_and_b32_e32 v35, 0x80000000, v35
	v_lshl_add_u32 v2, v2, 23, v36
	v_or3_b32 v2, v35, v2, v1
.LBB6_9409:                             ;   in Loop: Header=BB6_9212 Depth=3
	s_or_b64 exec, exec, s[52:53]
.LBB6_9410:                             ;   in Loop: Header=BB6_9212 Depth=3
	s_or_b64 exec, exec, s[50:51]
.LBB6_9411:                             ;   in Loop: Header=BB6_9212 Depth=3
	s_or_b64 exec, exec, s[48:49]
	v_and_b32_e32 v1, 0xff, v31
	v_cmp_ne_u16_e32 vcc, 0, v1
	s_and_saveexec_b64 s[48:49], vcc
	s_cbranch_execz .LBB6_9417
; %bb.9412:                             ;   in Loop: Header=BB6_9212 Depth=3
	v_cmp_ne_u16_e32 vcc, s82, v1
	v_bfrev_b32_e32 v19, 1
	s_and_saveexec_b64 s[50:51], vcc
	s_cbranch_execz .LBB6_9416
; %bb.9413:                             ;   in Loop: Header=BB6_9212 Depth=3
	v_and_b32_e32 v35, 0x7f, v31
	v_cmp_ne_u32_e32 vcc, s83, v35
	v_mov_b32_e32 v19, 0x7f800001
	s_and_saveexec_b64 s[52:53], vcc
	s_cbranch_execz .LBB6_9415
; %bb.9414:                             ;   in Loop: Header=BB6_9212 Depth=3
	v_and_b32_e32 v19, 7, v1
	v_lshrrev_b32_e32 v38, 3, v35
	v_cmp_gt_u32_e32 vcc, 8, v35
	v_ffbh_u32_e32 v35, v19
	v_min_u32_e32 v49, 32, v35
	v_subrev_u32_e32 v35, 28, v49
	v_lshlrev_b64 v[35:36], v35, v[1:2]
	v_sub_u32_e32 v1, 29, v49
	v_and_b32_e32 v35, 7, v35
	v_cndmask_b32_e32 v1, v38, v1, vcc
	v_cndmask_b32_e32 v19, v19, v35, vcc
	v_lshlrev_b32_e32 v35, 24, v31
	v_bfrev_b32_e32 v36, 60
	v_lshlrev_b32_e32 v19, 20, v19
	v_and_b32_e32 v35, 0x80000000, v35
	v_lshl_add_u32 v1, v1, 23, v36
	v_or3_b32 v19, v35, v1, v19
.LBB6_9415:                             ;   in Loop: Header=BB6_9212 Depth=3
	s_or_b64 exec, exec, s[52:53]
.LBB6_9416:                             ;   in Loop: Header=BB6_9212 Depth=3
	s_or_b64 exec, exec, s[50:51]
.LBB6_9417:                             ;   in Loop: Header=BB6_9212 Depth=3
	s_or_b64 exec, exec, s[48:49]
	v_max_f32_e32 v1, v19, v19
	v_max_f32_e32 v2, v2, v2
	;; [unrolled: 1-line block ×3, first 2 shown]
	s_mov_b64 s[48:49], 0
.LBB6_9418:                             ;   in Loop: Header=BB6_9212 Depth=3
	s_and_b64 vcc, exec, s[48:49]
	s_cbranch_vccz .LBB6_9432
; %bb.9419:                             ;   in Loop: Header=BB6_9212 Depth=3
	v_mov_b32_e32 v2, 0
	v_mov_b32_e32 v1, 0
	s_and_saveexec_b64 s[48:49], s[40:41]
	s_cbranch_execz .LBB6_9425
; %bb.9420:                             ;   in Loop: Header=BB6_9212 Depth=3
	v_cmp_ne_u16_e32 vcc, s82, v0
	v_bfrev_b32_e32 v1, 1
	s_and_saveexec_b64 s[40:41], vcc
	s_cbranch_execz .LBB6_9424
; %bb.9421:                             ;   in Loop: Header=BB6_9212 Depth=3
	v_and_b32_e32 v19, 0x7f, v33
	v_cmp_ne_u32_e32 vcc, s83, v19
	v_mov_b32_e32 v1, 0x7f800001
	s_and_saveexec_b64 s[50:51], vcc
	s_cbranch_execz .LBB6_9423
; %bb.9422:                             ;   in Loop: Header=BB6_9212 Depth=3
	v_and_b32_e32 v35, 7, v0
	v_ffbh_u32_e32 v1, v35
	v_lshrrev_b32_e32 v36, 3, v19
	v_cmp_gt_u32_e32 vcc, 8, v19
	v_min_u32_e32 v19, 32, v1
	v_subrev_u32_e32 v1, 28, v19
	v_lshlrev_b64 v[0:1], v1, v[0:1]
	v_sub_u32_e32 v1, 29, v19
	v_and_b32_e32 v0, 7, v0
	v_cndmask_b32_e32 v1, v36, v1, vcc
	v_cndmask_b32_e32 v0, v35, v0, vcc
	v_lshlrev_b32_e32 v19, 24, v33
	v_bfrev_b32_e32 v33, 60
	v_lshlrev_b32_e32 v0, 20, v0
	v_and_b32_e32 v19, 0x80000000, v19
	v_lshl_add_u32 v1, v1, 23, v33
	v_or3_b32 v1, v19, v1, v0
.LBB6_9423:                             ;   in Loop: Header=BB6_9212 Depth=3
	s_or_b64 exec, exec, s[50:51]
.LBB6_9424:                             ;   in Loop: Header=BB6_9212 Depth=3
	s_or_b64 exec, exec, s[40:41]
.LBB6_9425:                             ;   in Loop: Header=BB6_9212 Depth=3
	s_or_b64 exec, exec, s[48:49]
	v_and_b32_e32 v0, 0xff, v31
	v_cmp_ne_u16_e32 vcc, 0, v0
	s_and_saveexec_b64 s[40:41], vcc
	s_cbranch_execz .LBB6_9431
; %bb.9426:                             ;   in Loop: Header=BB6_9212 Depth=3
	v_cmp_ne_u16_e32 vcc, s82, v0
	v_bfrev_b32_e32 v2, 1
	s_and_saveexec_b64 s[48:49], vcc
	s_cbranch_execz .LBB6_9430
; %bb.9427:                             ;   in Loop: Header=BB6_9212 Depth=3
	v_and_b32_e32 v19, 0x7f, v31
	v_cmp_ne_u32_e32 vcc, s83, v19
	v_mov_b32_e32 v2, 0x7f800001
	s_and_saveexec_b64 s[50:51], vcc
	s_cbranch_execz .LBB6_9429
; %bb.9428:                             ;   in Loop: Header=BB6_9212 Depth=3
	v_and_b32_e32 v2, 7, v0
	v_lshrrev_b32_e32 v33, 3, v19
	v_cmp_gt_u32_e32 vcc, 8, v19
	v_ffbh_u32_e32 v19, v2
	v_min_u32_e32 v19, 32, v19
	v_subrev_u32_e32 v35, 28, v19
	v_lshlrev_b64 v[35:36], v35, v[0:1]
	v_sub_u32_e32 v0, 29, v19
	v_and_b32_e32 v19, 7, v35
	v_cndmask_b32_e32 v0, v33, v0, vcc
	v_cndmask_b32_e32 v2, v2, v19, vcc
	v_lshlrev_b32_e32 v19, 24, v31
	v_bfrev_b32_e32 v31, 60
	v_lshlrev_b32_e32 v2, 20, v2
	v_and_b32_e32 v19, 0x80000000, v19
	v_lshl_add_u32 v0, v0, 23, v31
	v_or3_b32 v2, v19, v0, v2
.LBB6_9429:                             ;   in Loop: Header=BB6_9212 Depth=3
	s_or_b64 exec, exec, s[50:51]
.LBB6_9430:                             ;   in Loop: Header=BB6_9212 Depth=3
	s_or_b64 exec, exec, s[48:49]
.LBB6_9431:                             ;   in Loop: Header=BB6_9212 Depth=3
	s_or_b64 exec, exec, s[40:41]
	v_max_f32_e32 v0, v2, v2
	v_max_f32_e32 v1, v1, v1
	v_min_f32_e32 v1, v1, v0
.LBB6_9432:                             ;   in Loop: Header=BB6_9212 Depth=3
	v_and_b32_e32 v52, 0x7f800000, v1
	v_cmp_ne_u64_e32 vcc, s[76:77], v[52:53]
                                        ; implicit-def: $vgpr31
	s_and_saveexec_b64 s[40:41], vcc
	s_xor_b64 s[48:49], exec, s[40:41]
	s_cbranch_execz .LBB6_9450
; %bb.9433:                             ;   in Loop: Header=BB6_9212 Depth=3
	v_and_b32_e32 v52, 0x7fffffff, v1
	v_cmp_gt_u64_e32 vcc, s[78:79], v[52:53]
	v_and_b32_sdwa v19, v1, s82 dst_sel:DWORD dst_unused:UNUSED_PAD src0_sel:BYTE_3 src1_sel:DWORD
                                        ; implicit-def: $vgpr31
	s_and_saveexec_b64 s[40:41], vcc
	s_xor_b64 s[50:51], exec, s[40:41]
	s_cbranch_execz .LBB6_9447
; %bb.9434:                             ;   in Loop: Header=BB6_9212 Depth=3
	v_cmp_ne_u32_e32 vcc, 0, v1
	v_mov_b32_e32 v31, 0
	s_and_saveexec_b64 s[52:53], vcc
	s_cbranch_execz .LBB6_9446
; %bb.9435:                             ;   in Loop: Header=BB6_9212 Depth=3
	v_bfe_u32 v31, v1, 23, 8
	v_and_b32_e32 v0, 0x7fffff, v1
	v_cmp_gt_u32_e64 s[40:41], s85, v31
	v_sub_u32_e32 v1, 0x79, v31
	v_cmp_eq_u32_e32 vcc, 0, v31
	v_cndmask_b32_e64 v1, 0, v1, s[40:41]
	v_mov_b32_e32 v33, 0x78
	v_or_b32_e32 v2, 0x800000, v0
	v_cndmask_b32_e32 v33, v1, v33, vcc
	v_cndmask_b32_e32 v52, v2, v0, vcc
	v_add_u32_e32 v0, 20, v33
	v_lshlrev_b64 v[0:1], v0, -1
	v_add_u32_e32 v2, 19, v33
	v_lshlrev_b64 v[35:36], v2, 1
	v_bfi_b32 v1, v1, 0, 0
	v_bfi_b32 v0, v0, 0, v52
	v_cmp_eq_u64_e64 s[40:41], v[0:1], v[35:36]
	v_lshrrev_b64 v[0:1], v33, v[52:53]
	v_mov_b32_e32 v2, v1
	v_mov_b32_e32 v1, v0
	s_and_saveexec_b64 s[54:55], s[40:41]
; %bb.9436:                             ;   in Loop: Header=BB6_9212 Depth=3
	v_bfe_u32 v1, v0, 20, 1
	v_add_co_u32_e64 v1, s[40:41], v0, v1
	v_add_co_u32_e64 v1, s[40:41], -1, v1
; %bb.9437:                             ;   in Loop: Header=BB6_9212 Depth=3
	s_or_b64 exec, exec, s[54:55]
	v_add_u32_e32 v2, 0xffffff81, v31
	v_mov_b32_e32 v31, 0xffffff82
	v_cndmask_b32_e32 v2, v2, v31, vcc
	v_lshrrev_b32_e32 v31, 23, v0
	v_add3_u32 v33, v33, v2, v31
	v_add_u32_e32 v31, 6, v33
	v_and_b32_e32 v1, 0xfffff, v1
	v_add_u32_e32 v52, v1, v0
	v_cmp_ne_u32_e32 vcc, 0, v31
                                        ; implicit-def: $vgpr0_vgpr1
                                        ; implicit-def: $vgpr2
	s_and_saveexec_b64 s[40:41], vcc
	s_xor_b64 s[40:41], exec, s[40:41]
; %bb.9438:                             ;   in Loop: Header=BB6_9212 Depth=3
	v_cmp_lt_u64_e32 vcc, s[88:89], v[52:53]
	v_add_u32_e32 v0, 7, v33
	v_cndmask_b32_e32 v2, v31, v0, vcc
	v_cndmask_b32_e64 v0, 0, 1, vcc
	v_lshrrev_b64 v[0:1], v0, v[52:53]
; %bb.9439:                             ;   in Loop: Header=BB6_9212 Depth=3
	s_andn2_saveexec_b64 s[40:41], s[40:41]
; %bb.9440:                             ;   in Loop: Header=BB6_9212 Depth=3
	v_mov_b32_e32 v0, v52
	v_mov_b32_e32 v1, v53
	v_bfe_u32 v2, v52, 23, 1
; %bb.9441:                             ;   in Loop: Header=BB6_9212 Depth=3
	s_or_b64 exec, exec, s[40:41]
	v_lshrrev_b64 v[0:1], 20, v[0:1]
	v_cmp_gt_i32_e32 vcc, 16, v2
	v_cndmask_b32_e32 v1, 0, v1, vcc
	v_cndmask_b32_e32 v0, 7, v0, vcc
	v_cmp_ne_u64_e32 vcc, 0, v[0:1]
	v_cmp_ne_u32_e64 s[40:41], 0, v2
	s_or_b64 s[40:41], s[40:41], vcc
                                        ; implicit-def: $vgpr31
	s_and_saveexec_b64 vcc, s[40:41]
	s_xor_b64 s[40:41], exec, vcc
; %bb.9442:                             ;   in Loop: Header=BB6_9212 Depth=3
	v_min_i32_e32 v1, 15, v2
	v_lshl_or_b32 v1, v1, 3, v19
	v_and_or_b32 v31, v0, 7, v1
                                        ; implicit-def: $vgpr19
; %bb.9443:                             ;   in Loop: Header=BB6_9212 Depth=3
	s_andn2_saveexec_b64 s[40:41], s[40:41]
; %bb.9444:                             ;   in Loop: Header=BB6_9212 Depth=3
	v_mov_b32_e32 v31, v19
; %bb.9445:                             ;   in Loop: Header=BB6_9212 Depth=3
	s_or_b64 exec, exec, s[40:41]
.LBB6_9446:                             ;   in Loop: Header=BB6_9212 Depth=3
	s_or_b64 exec, exec, s[52:53]
                                        ; implicit-def: $vgpr19
.LBB6_9447:                             ;   in Loop: Header=BB6_9212 Depth=3
	s_andn2_saveexec_b64 s[40:41], s[50:51]
; %bb.9448:                             ;   in Loop: Header=BB6_9212 Depth=3
	v_or_b32_e32 v31, 0x7e, v19
; %bb.9449:                             ;   in Loop: Header=BB6_9212 Depth=3
	s_or_b64 exec, exec, s[40:41]
                                        ; implicit-def: $vgpr1
.LBB6_9450:                             ;   in Loop: Header=BB6_9212 Depth=3
	s_andn2_saveexec_b64 s[40:41], s[48:49]
; %bb.9451:                             ;   in Loop: Header=BB6_9212 Depth=3
	v_or_b32_sdwa v31, v1, s83 dst_sel:DWORD dst_unused:UNUSED_PAD src0_sel:BYTE_3 src1_sel:DWORD
; %bb.9452:                             ;   in Loop: Header=BB6_9212 Depth=3
	s_or_b64 exec, exec, s[40:41]
	v_and_b32_e32 v0, 0xff, v32
	v_cmp_ne_u16_e64 s[40:41], 0, v0
	s_and_b64 vcc, exec, s[28:29]
	s_mov_b64 s[48:49], -1
                                        ; implicit-def: $vgpr1
	s_cbranch_vccnz .LBB6_9466
; %bb.9453:                             ;   in Loop: Header=BB6_9212 Depth=3
	v_mov_b32_e32 v19, 0
	v_mov_b32_e32 v2, 0
	s_and_saveexec_b64 s[48:49], s[40:41]
	s_cbranch_execz .LBB6_9459
; %bb.9454:                             ;   in Loop: Header=BB6_9212 Depth=3
	v_cmp_ne_u16_e32 vcc, s82, v0
	v_bfrev_b32_e32 v2, 1
	s_and_saveexec_b64 s[50:51], vcc
	s_cbranch_execz .LBB6_9458
; %bb.9455:                             ;   in Loop: Header=BB6_9212 Depth=3
	v_and_b32_e32 v1, 0x7f, v32
	v_cmp_ne_u32_e32 vcc, s83, v1
	v_mov_b32_e32 v2, 0x7f800001
	s_and_saveexec_b64 s[52:53], vcc
	s_cbranch_execz .LBB6_9457
; %bb.9456:                             ;   in Loop: Header=BB6_9212 Depth=3
	v_and_b32_e32 v33, 7, v0
	v_lshrrev_b32_e32 v35, 3, v1
	v_cmp_gt_u32_e32 vcc, 8, v1
	v_ffbh_u32_e32 v1, v33
	v_min_u32_e32 v36, 32, v1
	v_subrev_u32_e32 v1, 28, v36
	v_lshlrev_b64 v[1:2], v1, v[0:1]
	v_sub_u32_e32 v2, 29, v36
	v_and_b32_e32 v1, 7, v1
	v_cndmask_b32_e32 v2, v35, v2, vcc
	v_cndmask_b32_e32 v1, v33, v1, vcc
	v_lshlrev_b32_e32 v33, 24, v32
	v_bfrev_b32_e32 v35, 60
	v_lshlrev_b32_e32 v1, 20, v1
	v_and_b32_e32 v33, 0x80000000, v33
	v_lshl_add_u32 v2, v2, 23, v35
	v_or3_b32 v2, v33, v2, v1
.LBB6_9457:                             ;   in Loop: Header=BB6_9212 Depth=3
	s_or_b64 exec, exec, s[52:53]
.LBB6_9458:                             ;   in Loop: Header=BB6_9212 Depth=3
	s_or_b64 exec, exec, s[50:51]
.LBB6_9459:                             ;   in Loop: Header=BB6_9212 Depth=3
	s_or_b64 exec, exec, s[48:49]
	v_and_b32_e32 v1, 0xff, v34
	v_cmp_ne_u16_e32 vcc, 0, v1
	s_and_saveexec_b64 s[48:49], vcc
	s_cbranch_execz .LBB6_9465
; %bb.9460:                             ;   in Loop: Header=BB6_9212 Depth=3
	v_cmp_ne_u16_e32 vcc, s82, v1
	v_bfrev_b32_e32 v19, 1
	s_and_saveexec_b64 s[50:51], vcc
	s_cbranch_execz .LBB6_9464
; %bb.9461:                             ;   in Loop: Header=BB6_9212 Depth=3
	v_and_b32_e32 v33, 0x7f, v34
	v_cmp_ne_u32_e32 vcc, s83, v33
	v_mov_b32_e32 v19, 0x7f800001
	s_and_saveexec_b64 s[52:53], vcc
	s_cbranch_execz .LBB6_9463
; %bb.9462:                             ;   in Loop: Header=BB6_9212 Depth=3
	v_and_b32_e32 v19, 7, v1
	v_lshrrev_b32_e32 v38, 3, v33
	v_cmp_gt_u32_e32 vcc, 8, v33
	v_ffbh_u32_e32 v33, v19
	v_min_u32_e32 v33, 32, v33
	v_subrev_u32_e32 v35, 28, v33
	v_lshlrev_b64 v[35:36], v35, v[1:2]
	v_sub_u32_e32 v1, 29, v33
	v_and_b32_e32 v33, 7, v35
	v_cndmask_b32_e32 v1, v38, v1, vcc
	v_cndmask_b32_e32 v19, v19, v33, vcc
	v_lshlrev_b32_e32 v33, 24, v34
	v_bfrev_b32_e32 v35, 60
	v_lshlrev_b32_e32 v19, 20, v19
	v_and_b32_e32 v33, 0x80000000, v33
	v_lshl_add_u32 v1, v1, 23, v35
	v_or3_b32 v19, v33, v1, v19
.LBB6_9463:                             ;   in Loop: Header=BB6_9212 Depth=3
	s_or_b64 exec, exec, s[52:53]
.LBB6_9464:                             ;   in Loop: Header=BB6_9212 Depth=3
	s_or_b64 exec, exec, s[50:51]
.LBB6_9465:                             ;   in Loop: Header=BB6_9212 Depth=3
	s_or_b64 exec, exec, s[48:49]
	v_max_f32_e32 v1, v19, v19
	v_max_f32_e32 v2, v2, v2
	;; [unrolled: 1-line block ×3, first 2 shown]
	s_mov_b64 s[48:49], 0
.LBB6_9466:                             ;   in Loop: Header=BB6_9212 Depth=3
	s_and_b64 vcc, exec, s[48:49]
	s_cbranch_vccz .LBB6_9480
; %bb.9467:                             ;   in Loop: Header=BB6_9212 Depth=3
	v_mov_b32_e32 v2, 0
	v_mov_b32_e32 v1, 0
	s_and_saveexec_b64 s[48:49], s[40:41]
	s_cbranch_execz .LBB6_9473
; %bb.9468:                             ;   in Loop: Header=BB6_9212 Depth=3
	v_cmp_ne_u16_e32 vcc, s82, v0
	v_bfrev_b32_e32 v1, 1
	s_and_saveexec_b64 s[40:41], vcc
	s_cbranch_execz .LBB6_9472
; %bb.9469:                             ;   in Loop: Header=BB6_9212 Depth=3
	v_and_b32_e32 v19, 0x7f, v32
	v_cmp_ne_u32_e32 vcc, s83, v19
	v_mov_b32_e32 v1, 0x7f800001
	s_and_saveexec_b64 s[50:51], vcc
	s_cbranch_execz .LBB6_9471
; %bb.9470:                             ;   in Loop: Header=BB6_9212 Depth=3
	v_and_b32_e32 v33, 7, v0
	v_ffbh_u32_e32 v1, v33
	v_lshrrev_b32_e32 v35, 3, v19
	v_cmp_gt_u32_e32 vcc, 8, v19
	v_min_u32_e32 v19, 32, v1
	v_subrev_u32_e32 v1, 28, v19
	v_lshlrev_b64 v[0:1], v1, v[0:1]
	v_sub_u32_e32 v1, 29, v19
	v_and_b32_e32 v0, 7, v0
	v_cndmask_b32_e32 v1, v35, v1, vcc
	v_cndmask_b32_e32 v0, v33, v0, vcc
	v_lshlrev_b32_e32 v19, 24, v32
	v_bfrev_b32_e32 v32, 60
	v_lshlrev_b32_e32 v0, 20, v0
	v_and_b32_e32 v19, 0x80000000, v19
	v_lshl_add_u32 v1, v1, 23, v32
	v_or3_b32 v1, v19, v1, v0
.LBB6_9471:                             ;   in Loop: Header=BB6_9212 Depth=3
	s_or_b64 exec, exec, s[50:51]
.LBB6_9472:                             ;   in Loop: Header=BB6_9212 Depth=3
	s_or_b64 exec, exec, s[40:41]
.LBB6_9473:                             ;   in Loop: Header=BB6_9212 Depth=3
	s_or_b64 exec, exec, s[48:49]
	v_and_b32_e32 v0, 0xff, v34
	v_cmp_ne_u16_e32 vcc, 0, v0
	s_and_saveexec_b64 s[40:41], vcc
	s_cbranch_execz .LBB6_9479
; %bb.9474:                             ;   in Loop: Header=BB6_9212 Depth=3
	v_cmp_ne_u16_e32 vcc, s82, v0
	v_bfrev_b32_e32 v2, 1
	s_and_saveexec_b64 s[48:49], vcc
	s_cbranch_execz .LBB6_9478
; %bb.9475:                             ;   in Loop: Header=BB6_9212 Depth=3
	v_and_b32_e32 v19, 0x7f, v34
	v_cmp_ne_u32_e32 vcc, s83, v19
	v_mov_b32_e32 v2, 0x7f800001
	s_and_saveexec_b64 s[50:51], vcc
	s_cbranch_execz .LBB6_9477
; %bb.9476:                             ;   in Loop: Header=BB6_9212 Depth=3
	v_and_b32_e32 v2, 7, v0
	v_lshrrev_b32_e32 v35, 3, v19
	v_cmp_gt_u32_e32 vcc, 8, v19
	v_ffbh_u32_e32 v19, v2
	v_min_u32_e32 v19, 32, v19
	v_subrev_u32_e32 v32, 28, v19
	v_lshlrev_b64 v[32:33], v32, v[0:1]
	v_sub_u32_e32 v0, 29, v19
	v_and_b32_e32 v19, 7, v32
	v_cndmask_b32_e32 v0, v35, v0, vcc
	v_cndmask_b32_e32 v2, v2, v19, vcc
	v_lshlrev_b32_e32 v19, 24, v34
	v_bfrev_b32_e32 v32, 60
	v_lshlrev_b32_e32 v2, 20, v2
	v_and_b32_e32 v19, 0x80000000, v19
	v_lshl_add_u32 v0, v0, 23, v32
	v_or3_b32 v2, v19, v0, v2
.LBB6_9477:                             ;   in Loop: Header=BB6_9212 Depth=3
	s_or_b64 exec, exec, s[50:51]
.LBB6_9478:                             ;   in Loop: Header=BB6_9212 Depth=3
	s_or_b64 exec, exec, s[48:49]
.LBB6_9479:                             ;   in Loop: Header=BB6_9212 Depth=3
	s_or_b64 exec, exec, s[40:41]
	v_max_f32_e32 v0, v2, v2
	v_max_f32_e32 v1, v1, v1
	v_min_f32_e32 v1, v1, v0
.LBB6_9480:                             ;   in Loop: Header=BB6_9212 Depth=3
	v_and_b32_e32 v52, 0x7f800000, v1
	v_cmp_ne_u64_e32 vcc, s[76:77], v[52:53]
                                        ; implicit-def: $vgpr34
	s_and_saveexec_b64 s[40:41], vcc
	s_xor_b64 s[48:49], exec, s[40:41]
	s_cbranch_execz .LBB6_9498
; %bb.9481:                             ;   in Loop: Header=BB6_9212 Depth=3
	v_and_b32_e32 v52, 0x7fffffff, v1
	v_cmp_gt_u64_e32 vcc, s[78:79], v[52:53]
	v_and_b32_sdwa v19, v1, s82 dst_sel:DWORD dst_unused:UNUSED_PAD src0_sel:BYTE_3 src1_sel:DWORD
                                        ; implicit-def: $vgpr34
	s_and_saveexec_b64 s[40:41], vcc
	s_xor_b64 s[50:51], exec, s[40:41]
	s_cbranch_execz .LBB6_9495
; %bb.9482:                             ;   in Loop: Header=BB6_9212 Depth=3
	v_cmp_ne_u32_e32 vcc, 0, v1
	v_mov_b32_e32 v34, 0
	s_and_saveexec_b64 s[52:53], vcc
	s_cbranch_execz .LBB6_9494
; %bb.9483:                             ;   in Loop: Header=BB6_9212 Depth=3
	v_bfe_u32 v32, v1, 23, 8
	v_and_b32_e32 v0, 0x7fffff, v1
	v_cmp_gt_u32_e64 s[40:41], s85, v32
	v_sub_u32_e32 v1, 0x79, v32
	v_cmp_eq_u32_e32 vcc, 0, v32
	v_cndmask_b32_e64 v1, 0, v1, s[40:41]
	v_mov_b32_e32 v33, 0x78
	v_or_b32_e32 v2, 0x800000, v0
	v_cndmask_b32_e32 v33, v1, v33, vcc
	v_cndmask_b32_e32 v52, v2, v0, vcc
	v_add_u32_e32 v0, 20, v33
	v_lshlrev_b64 v[0:1], v0, -1
	v_add_u32_e32 v2, 19, v33
	v_lshlrev_b64 v[34:35], v2, 1
	v_bfi_b32 v1, v1, 0, 0
	v_bfi_b32 v0, v0, 0, v52
	v_cmp_eq_u64_e64 s[40:41], v[0:1], v[34:35]
	v_lshrrev_b64 v[0:1], v33, v[52:53]
	v_mov_b32_e32 v2, v1
	v_mov_b32_e32 v1, v0
	s_and_saveexec_b64 s[54:55], s[40:41]
; %bb.9484:                             ;   in Loop: Header=BB6_9212 Depth=3
	v_bfe_u32 v1, v0, 20, 1
	v_add_co_u32_e64 v1, s[40:41], v0, v1
	v_add_co_u32_e64 v1, s[40:41], -1, v1
; %bb.9485:                             ;   in Loop: Header=BB6_9212 Depth=3
	s_or_b64 exec, exec, s[54:55]
	v_add_u32_e32 v2, 0xffffff81, v32
	v_mov_b32_e32 v32, 0xffffff82
	v_cndmask_b32_e32 v2, v2, v32, vcc
	v_lshrrev_b32_e32 v32, 23, v0
	v_add3_u32 v33, v33, v2, v32
	v_add_u32_e32 v32, 6, v33
	v_and_b32_e32 v1, 0xfffff, v1
	v_add_u32_e32 v52, v1, v0
	v_cmp_ne_u32_e32 vcc, 0, v32
                                        ; implicit-def: $vgpr0_vgpr1
                                        ; implicit-def: $vgpr2
	s_and_saveexec_b64 s[40:41], vcc
	s_xor_b64 s[40:41], exec, s[40:41]
; %bb.9486:                             ;   in Loop: Header=BB6_9212 Depth=3
	v_cmp_lt_u64_e32 vcc, s[88:89], v[52:53]
	v_add_u32_e32 v0, 7, v33
	v_cndmask_b32_e32 v2, v32, v0, vcc
	v_cndmask_b32_e64 v0, 0, 1, vcc
	v_lshrrev_b64 v[0:1], v0, v[52:53]
; %bb.9487:                             ;   in Loop: Header=BB6_9212 Depth=3
	s_andn2_saveexec_b64 s[40:41], s[40:41]
; %bb.9488:                             ;   in Loop: Header=BB6_9212 Depth=3
	v_mov_b32_e32 v0, v52
	v_mov_b32_e32 v1, v53
	v_bfe_u32 v2, v52, 23, 1
; %bb.9489:                             ;   in Loop: Header=BB6_9212 Depth=3
	s_or_b64 exec, exec, s[40:41]
	v_lshrrev_b64 v[0:1], 20, v[0:1]
	v_cmp_gt_i32_e32 vcc, 16, v2
	v_cndmask_b32_e32 v1, 0, v1, vcc
	v_cndmask_b32_e32 v0, 7, v0, vcc
	v_cmp_ne_u64_e32 vcc, 0, v[0:1]
	v_cmp_ne_u32_e64 s[40:41], 0, v2
	s_or_b64 s[40:41], s[40:41], vcc
                                        ; implicit-def: $vgpr34
	s_and_saveexec_b64 vcc, s[40:41]
	s_xor_b64 s[40:41], exec, vcc
; %bb.9490:                             ;   in Loop: Header=BB6_9212 Depth=3
	v_min_i32_e32 v1, 15, v2
	v_lshl_or_b32 v1, v1, 3, v19
	v_and_or_b32 v34, v0, 7, v1
                                        ; implicit-def: $vgpr19
; %bb.9491:                             ;   in Loop: Header=BB6_9212 Depth=3
	s_andn2_saveexec_b64 s[40:41], s[40:41]
; %bb.9492:                             ;   in Loop: Header=BB6_9212 Depth=3
	v_mov_b32_e32 v34, v19
; %bb.9493:                             ;   in Loop: Header=BB6_9212 Depth=3
	s_or_b64 exec, exec, s[40:41]
.LBB6_9494:                             ;   in Loop: Header=BB6_9212 Depth=3
	s_or_b64 exec, exec, s[52:53]
                                        ; implicit-def: $vgpr19
.LBB6_9495:                             ;   in Loop: Header=BB6_9212 Depth=3
	s_andn2_saveexec_b64 s[40:41], s[50:51]
; %bb.9496:                             ;   in Loop: Header=BB6_9212 Depth=3
	v_or_b32_e32 v34, 0x7e, v19
; %bb.9497:                             ;   in Loop: Header=BB6_9212 Depth=3
	s_or_b64 exec, exec, s[40:41]
                                        ; implicit-def: $vgpr1
.LBB6_9498:                             ;   in Loop: Header=BB6_9212 Depth=3
	s_andn2_saveexec_b64 s[40:41], s[48:49]
; %bb.9499:                             ;   in Loop: Header=BB6_9212 Depth=3
	v_or_b32_sdwa v34, v1, s83 dst_sel:DWORD dst_unused:UNUSED_PAD src0_sel:BYTE_3 src1_sel:DWORD
; %bb.9500:                             ;   in Loop: Header=BB6_9212 Depth=3
	s_or_b64 exec, exec, s[40:41]
	v_and_b32_e32 v0, 0xff, v30
	v_cmp_ne_u16_e64 s[40:41], 0, v0
	s_and_b64 vcc, exec, s[28:29]
	s_mov_b64 s[48:49], -1
                                        ; implicit-def: $vgpr1
	s_cbranch_vccnz .LBB6_9514
; %bb.9501:                             ;   in Loop: Header=BB6_9212 Depth=3
	v_mov_b32_e32 v19, 0
	v_mov_b32_e32 v2, 0
	s_and_saveexec_b64 s[48:49], s[40:41]
	s_cbranch_execz .LBB6_9507
; %bb.9502:                             ;   in Loop: Header=BB6_9212 Depth=3
	v_cmp_ne_u16_e32 vcc, s82, v0
	v_bfrev_b32_e32 v2, 1
	s_and_saveexec_b64 s[50:51], vcc
	s_cbranch_execz .LBB6_9506
; %bb.9503:                             ;   in Loop: Header=BB6_9212 Depth=3
	v_and_b32_e32 v1, 0x7f, v30
	v_cmp_ne_u32_e32 vcc, s83, v1
	v_mov_b32_e32 v2, 0x7f800001
	s_and_saveexec_b64 s[52:53], vcc
	s_cbranch_execz .LBB6_9505
; %bb.9504:                             ;   in Loop: Header=BB6_9212 Depth=3
	v_and_b32_e32 v32, 7, v0
	v_lshrrev_b32_e32 v33, 3, v1
	v_cmp_gt_u32_e32 vcc, 8, v1
	v_ffbh_u32_e32 v1, v32
	v_min_u32_e32 v35, 32, v1
	v_subrev_u32_e32 v1, 28, v35
	v_lshlrev_b64 v[1:2], v1, v[0:1]
	v_sub_u32_e32 v2, 29, v35
	v_and_b32_e32 v1, 7, v1
	v_cndmask_b32_e32 v2, v33, v2, vcc
	v_cndmask_b32_e32 v1, v32, v1, vcc
	v_lshlrev_b32_e32 v32, 24, v30
	v_bfrev_b32_e32 v33, 60
	v_lshlrev_b32_e32 v1, 20, v1
	v_and_b32_e32 v32, 0x80000000, v32
	v_lshl_add_u32 v2, v2, 23, v33
	v_or3_b32 v2, v32, v2, v1
.LBB6_9505:                             ;   in Loop: Header=BB6_9212 Depth=3
	s_or_b64 exec, exec, s[52:53]
.LBB6_9506:                             ;   in Loop: Header=BB6_9212 Depth=3
	s_or_b64 exec, exec, s[50:51]
.LBB6_9507:                             ;   in Loop: Header=BB6_9212 Depth=3
	s_or_b64 exec, exec, s[48:49]
	v_and_b32_e32 v1, 0xff, v37
	v_cmp_ne_u16_e32 vcc, 0, v1
	s_and_saveexec_b64 s[48:49], vcc
	s_cbranch_execz .LBB6_9513
; %bb.9508:                             ;   in Loop: Header=BB6_9212 Depth=3
	v_cmp_ne_u16_e32 vcc, s82, v1
	v_bfrev_b32_e32 v19, 1
	s_and_saveexec_b64 s[50:51], vcc
	s_cbranch_execz .LBB6_9512
; %bb.9509:                             ;   in Loop: Header=BB6_9212 Depth=3
	v_and_b32_e32 v32, 0x7f, v37
	v_cmp_ne_u32_e32 vcc, s83, v32
	v_mov_b32_e32 v19, 0x7f800001
	s_and_saveexec_b64 s[52:53], vcc
	s_cbranch_execz .LBB6_9511
; %bb.9510:                             ;   in Loop: Header=BB6_9212 Depth=3
	v_and_b32_e32 v19, 7, v1
	v_lshrrev_b32_e32 v35, 3, v32
	v_cmp_gt_u32_e32 vcc, 8, v32
	v_ffbh_u32_e32 v32, v19
	v_min_u32_e32 v36, 32, v32
	v_subrev_u32_e32 v32, 28, v36
	v_lshlrev_b64 v[32:33], v32, v[1:2]
	v_sub_u32_e32 v1, 29, v36
	v_and_b32_e32 v32, 7, v32
	v_cndmask_b32_e32 v1, v35, v1, vcc
	v_cndmask_b32_e32 v19, v19, v32, vcc
	v_lshlrev_b32_e32 v32, 24, v37
	v_bfrev_b32_e32 v33, 60
	v_lshlrev_b32_e32 v19, 20, v19
	v_and_b32_e32 v32, 0x80000000, v32
	v_lshl_add_u32 v1, v1, 23, v33
	v_or3_b32 v19, v32, v1, v19
.LBB6_9511:                             ;   in Loop: Header=BB6_9212 Depth=3
	s_or_b64 exec, exec, s[52:53]
.LBB6_9512:                             ;   in Loop: Header=BB6_9212 Depth=3
	s_or_b64 exec, exec, s[50:51]
.LBB6_9513:                             ;   in Loop: Header=BB6_9212 Depth=3
	s_or_b64 exec, exec, s[48:49]
	v_max_f32_e32 v1, v19, v19
	v_max_f32_e32 v2, v2, v2
	;; [unrolled: 1-line block ×3, first 2 shown]
	s_mov_b64 s[48:49], 0
.LBB6_9514:                             ;   in Loop: Header=BB6_9212 Depth=3
	s_and_b64 vcc, exec, s[48:49]
	s_cbranch_vccz .LBB6_9528
; %bb.9515:                             ;   in Loop: Header=BB6_9212 Depth=3
	v_mov_b32_e32 v2, 0
	v_mov_b32_e32 v1, 0
	s_and_saveexec_b64 s[48:49], s[40:41]
	s_cbranch_execz .LBB6_9521
; %bb.9516:                             ;   in Loop: Header=BB6_9212 Depth=3
	v_cmp_ne_u16_e32 vcc, s82, v0
	v_bfrev_b32_e32 v1, 1
	s_and_saveexec_b64 s[40:41], vcc
	s_cbranch_execz .LBB6_9520
; %bb.9517:                             ;   in Loop: Header=BB6_9212 Depth=3
	v_and_b32_e32 v19, 0x7f, v30
	v_cmp_ne_u32_e32 vcc, s83, v19
	v_mov_b32_e32 v1, 0x7f800001
	s_and_saveexec_b64 s[50:51], vcc
	s_cbranch_execz .LBB6_9519
; %bb.9518:                             ;   in Loop: Header=BB6_9212 Depth=3
	v_and_b32_e32 v32, 7, v0
	v_ffbh_u32_e32 v1, v32
	v_lshrrev_b32_e32 v33, 3, v19
	v_cmp_gt_u32_e32 vcc, 8, v19
	v_min_u32_e32 v19, 32, v1
	v_subrev_u32_e32 v1, 28, v19
	v_lshlrev_b64 v[0:1], v1, v[0:1]
	v_sub_u32_e32 v1, 29, v19
	v_and_b32_e32 v0, 7, v0
	v_cndmask_b32_e32 v1, v33, v1, vcc
	v_cndmask_b32_e32 v0, v32, v0, vcc
	v_lshlrev_b32_e32 v19, 24, v30
	v_bfrev_b32_e32 v30, 60
	v_lshlrev_b32_e32 v0, 20, v0
	v_and_b32_e32 v19, 0x80000000, v19
	v_lshl_add_u32 v1, v1, 23, v30
	v_or3_b32 v1, v19, v1, v0
.LBB6_9519:                             ;   in Loop: Header=BB6_9212 Depth=3
	s_or_b64 exec, exec, s[50:51]
.LBB6_9520:                             ;   in Loop: Header=BB6_9212 Depth=3
	s_or_b64 exec, exec, s[40:41]
.LBB6_9521:                             ;   in Loop: Header=BB6_9212 Depth=3
	s_or_b64 exec, exec, s[48:49]
	v_and_b32_e32 v0, 0xff, v37
	v_cmp_ne_u16_e32 vcc, 0, v0
	s_and_saveexec_b64 s[40:41], vcc
	s_cbranch_execz .LBB6_9527
; %bb.9522:                             ;   in Loop: Header=BB6_9212 Depth=3
	v_cmp_ne_u16_e32 vcc, s82, v0
	v_bfrev_b32_e32 v2, 1
	s_and_saveexec_b64 s[48:49], vcc
	s_cbranch_execz .LBB6_9526
; %bb.9523:                             ;   in Loop: Header=BB6_9212 Depth=3
	v_and_b32_e32 v19, 0x7f, v37
	v_cmp_ne_u32_e32 vcc, s83, v19
	v_mov_b32_e32 v2, 0x7f800001
	s_and_saveexec_b64 s[50:51], vcc
	s_cbranch_execz .LBB6_9525
; %bb.9524:                             ;   in Loop: Header=BB6_9212 Depth=3
	v_and_b32_e32 v2, 7, v0
	v_lshrrev_b32_e32 v30, 3, v19
	v_cmp_gt_u32_e32 vcc, 8, v19
	v_ffbh_u32_e32 v19, v2
	v_min_u32_e32 v19, 32, v19
	v_subrev_u32_e32 v32, 28, v19
	v_lshlrev_b64 v[32:33], v32, v[0:1]
	v_sub_u32_e32 v0, 29, v19
	v_and_b32_e32 v19, 7, v32
	v_cndmask_b32_e32 v0, v30, v0, vcc
	v_cndmask_b32_e32 v2, v2, v19, vcc
	v_lshlrev_b32_e32 v19, 24, v37
	v_bfrev_b32_e32 v30, 60
	v_lshlrev_b32_e32 v2, 20, v2
	v_and_b32_e32 v19, 0x80000000, v19
	v_lshl_add_u32 v0, v0, 23, v30
	v_or3_b32 v2, v19, v0, v2
.LBB6_9525:                             ;   in Loop: Header=BB6_9212 Depth=3
	s_or_b64 exec, exec, s[50:51]
.LBB6_9526:                             ;   in Loop: Header=BB6_9212 Depth=3
	s_or_b64 exec, exec, s[48:49]
.LBB6_9527:                             ;   in Loop: Header=BB6_9212 Depth=3
	s_or_b64 exec, exec, s[40:41]
	v_max_f32_e32 v0, v2, v2
	v_max_f32_e32 v1, v1, v1
	v_min_f32_e32 v1, v1, v0
.LBB6_9528:                             ;   in Loop: Header=BB6_9212 Depth=3
	v_and_b32_e32 v52, 0x7f800000, v1
	v_cmp_ne_u64_e32 vcc, s[76:77], v[52:53]
                                        ; implicit-def: $vgpr37
	s_and_saveexec_b64 s[40:41], vcc
	s_xor_b64 s[48:49], exec, s[40:41]
	s_cbranch_execz .LBB6_9546
; %bb.9529:                             ;   in Loop: Header=BB6_9212 Depth=3
	v_and_b32_e32 v52, 0x7fffffff, v1
	v_cmp_gt_u64_e32 vcc, s[78:79], v[52:53]
	v_and_b32_sdwa v19, v1, s82 dst_sel:DWORD dst_unused:UNUSED_PAD src0_sel:BYTE_3 src1_sel:DWORD
                                        ; implicit-def: $vgpr37
	s_and_saveexec_b64 s[40:41], vcc
	s_xor_b64 s[50:51], exec, s[40:41]
	s_cbranch_execz .LBB6_9543
; %bb.9530:                             ;   in Loop: Header=BB6_9212 Depth=3
	v_cmp_ne_u32_e32 vcc, 0, v1
	v_mov_b32_e32 v37, 0
	s_and_saveexec_b64 s[52:53], vcc
	s_cbranch_execz .LBB6_9542
; %bb.9531:                             ;   in Loop: Header=BB6_9212 Depth=3
	v_bfe_u32 v30, v1, 23, 8
	v_and_b32_e32 v0, 0x7fffff, v1
	v_cmp_gt_u32_e64 s[40:41], s85, v30
	v_sub_u32_e32 v1, 0x79, v30
	v_cmp_eq_u32_e32 vcc, 0, v30
	v_cndmask_b32_e64 v1, 0, v1, s[40:41]
	v_mov_b32_e32 v32, 0x78
	v_or_b32_e32 v2, 0x800000, v0
	v_cndmask_b32_e32 v32, v1, v32, vcc
	v_cndmask_b32_e32 v52, v2, v0, vcc
	v_add_u32_e32 v0, 20, v32
	v_lshlrev_b64 v[0:1], v0, -1
	v_add_u32_e32 v2, 19, v32
	v_lshlrev_b64 v[35:36], v2, 1
	v_bfi_b32 v1, v1, 0, 0
	v_bfi_b32 v0, v0, 0, v52
	v_cmp_eq_u64_e64 s[40:41], v[0:1], v[35:36]
	v_lshrrev_b64 v[0:1], v32, v[52:53]
	v_mov_b32_e32 v2, v1
	v_mov_b32_e32 v1, v0
	s_and_saveexec_b64 s[54:55], s[40:41]
; %bb.9532:                             ;   in Loop: Header=BB6_9212 Depth=3
	v_bfe_u32 v1, v0, 20, 1
	v_add_co_u32_e64 v1, s[40:41], v0, v1
	v_add_co_u32_e64 v1, s[40:41], -1, v1
; %bb.9533:                             ;   in Loop: Header=BB6_9212 Depth=3
	s_or_b64 exec, exec, s[54:55]
	v_add_u32_e32 v2, 0xffffff81, v30
	v_mov_b32_e32 v30, 0xffffff82
	v_cndmask_b32_e32 v2, v2, v30, vcc
	v_lshrrev_b32_e32 v30, 23, v0
	v_add3_u32 v32, v32, v2, v30
	v_add_u32_e32 v30, 6, v32
	v_and_b32_e32 v1, 0xfffff, v1
	v_add_u32_e32 v52, v1, v0
	v_cmp_ne_u32_e32 vcc, 0, v30
                                        ; implicit-def: $vgpr0_vgpr1
                                        ; implicit-def: $vgpr2
	s_and_saveexec_b64 s[40:41], vcc
	s_xor_b64 s[40:41], exec, s[40:41]
; %bb.9534:                             ;   in Loop: Header=BB6_9212 Depth=3
	v_cmp_lt_u64_e32 vcc, s[88:89], v[52:53]
	v_add_u32_e32 v0, 7, v32
	v_cndmask_b32_e32 v2, v30, v0, vcc
	v_cndmask_b32_e64 v0, 0, 1, vcc
	v_lshrrev_b64 v[0:1], v0, v[52:53]
; %bb.9535:                             ;   in Loop: Header=BB6_9212 Depth=3
	s_andn2_saveexec_b64 s[40:41], s[40:41]
; %bb.9536:                             ;   in Loop: Header=BB6_9212 Depth=3
	v_mov_b32_e32 v0, v52
	v_mov_b32_e32 v1, v53
	v_bfe_u32 v2, v52, 23, 1
; %bb.9537:                             ;   in Loop: Header=BB6_9212 Depth=3
	s_or_b64 exec, exec, s[40:41]
	v_lshrrev_b64 v[0:1], 20, v[0:1]
	v_cmp_gt_i32_e32 vcc, 16, v2
	v_cndmask_b32_e32 v1, 0, v1, vcc
	v_cndmask_b32_e32 v0, 7, v0, vcc
	v_cmp_ne_u64_e32 vcc, 0, v[0:1]
	v_cmp_ne_u32_e64 s[40:41], 0, v2
	s_or_b64 s[40:41], s[40:41], vcc
                                        ; implicit-def: $vgpr37
	s_and_saveexec_b64 vcc, s[40:41]
	s_xor_b64 s[40:41], exec, vcc
; %bb.9538:                             ;   in Loop: Header=BB6_9212 Depth=3
	v_min_i32_e32 v1, 15, v2
	v_lshl_or_b32 v1, v1, 3, v19
	v_and_or_b32 v37, v0, 7, v1
                                        ; implicit-def: $vgpr19
; %bb.9539:                             ;   in Loop: Header=BB6_9212 Depth=3
	s_andn2_saveexec_b64 s[40:41], s[40:41]
; %bb.9540:                             ;   in Loop: Header=BB6_9212 Depth=3
	v_mov_b32_e32 v37, v19
; %bb.9541:                             ;   in Loop: Header=BB6_9212 Depth=3
	s_or_b64 exec, exec, s[40:41]
.LBB6_9542:                             ;   in Loop: Header=BB6_9212 Depth=3
	s_or_b64 exec, exec, s[52:53]
                                        ; implicit-def: $vgpr19
.LBB6_9543:                             ;   in Loop: Header=BB6_9212 Depth=3
	s_andn2_saveexec_b64 s[40:41], s[50:51]
; %bb.9544:                             ;   in Loop: Header=BB6_9212 Depth=3
	v_or_b32_e32 v37, 0x7e, v19
; %bb.9545:                             ;   in Loop: Header=BB6_9212 Depth=3
	s_or_b64 exec, exec, s[40:41]
                                        ; implicit-def: $vgpr1
.LBB6_9546:                             ;   in Loop: Header=BB6_9212 Depth=3
	s_andn2_saveexec_b64 s[40:41], s[48:49]
; %bb.9547:                             ;   in Loop: Header=BB6_9212 Depth=3
	v_or_b32_sdwa v37, v1, s83 dst_sel:DWORD dst_unused:UNUSED_PAD src0_sel:BYTE_3 src1_sel:DWORD
; %bb.9548:                             ;   in Loop: Header=BB6_9212 Depth=3
	s_or_b64 exec, exec, s[40:41]
	v_and_b32_e32 v0, 0xff, v29
	v_cmp_ne_u16_e64 s[40:41], 0, v0
	s_and_b64 vcc, exec, s[28:29]
	s_mov_b64 s[48:49], -1
                                        ; implicit-def: $vgpr1
	s_cbranch_vccnz .LBB6_9562
; %bb.9549:                             ;   in Loop: Header=BB6_9212 Depth=3
	v_mov_b32_e32 v19, 0
	v_mov_b32_e32 v2, 0
	s_and_saveexec_b64 s[48:49], s[40:41]
	s_cbranch_execz .LBB6_9555
; %bb.9550:                             ;   in Loop: Header=BB6_9212 Depth=3
	v_cmp_ne_u16_e32 vcc, s82, v0
	v_bfrev_b32_e32 v2, 1
	s_and_saveexec_b64 s[50:51], vcc
	s_cbranch_execz .LBB6_9554
; %bb.9551:                             ;   in Loop: Header=BB6_9212 Depth=3
	v_and_b32_e32 v1, 0x7f, v29
	v_cmp_ne_u32_e32 vcc, s83, v1
	v_mov_b32_e32 v2, 0x7f800001
	s_and_saveexec_b64 s[52:53], vcc
	s_cbranch_execz .LBB6_9553
; %bb.9552:                             ;   in Loop: Header=BB6_9212 Depth=3
	v_and_b32_e32 v30, 7, v0
	v_lshrrev_b32_e32 v32, 3, v1
	v_cmp_gt_u32_e32 vcc, 8, v1
	v_ffbh_u32_e32 v1, v30
	v_min_u32_e32 v33, 32, v1
	v_subrev_u32_e32 v1, 28, v33
	v_lshlrev_b64 v[1:2], v1, v[0:1]
	v_sub_u32_e32 v2, 29, v33
	v_and_b32_e32 v1, 7, v1
	v_cndmask_b32_e32 v2, v32, v2, vcc
	v_cndmask_b32_e32 v1, v30, v1, vcc
	v_lshlrev_b32_e32 v30, 24, v29
	v_bfrev_b32_e32 v32, 60
	v_lshlrev_b32_e32 v1, 20, v1
	v_and_b32_e32 v30, 0x80000000, v30
	v_lshl_add_u32 v2, v2, 23, v32
	v_or3_b32 v2, v30, v2, v1
.LBB6_9553:                             ;   in Loop: Header=BB6_9212 Depth=3
	s_or_b64 exec, exec, s[52:53]
.LBB6_9554:                             ;   in Loop: Header=BB6_9212 Depth=3
	s_or_b64 exec, exec, s[50:51]
.LBB6_9555:                             ;   in Loop: Header=BB6_9212 Depth=3
	s_or_b64 exec, exec, s[48:49]
	v_and_b32_e32 v1, 0xff, v48
	v_cmp_ne_u16_e32 vcc, 0, v1
	s_and_saveexec_b64 s[48:49], vcc
	s_cbranch_execz .LBB6_9561
; %bb.9556:                             ;   in Loop: Header=BB6_9212 Depth=3
	v_cmp_ne_u16_e32 vcc, s82, v1
	v_bfrev_b32_e32 v19, 1
	s_and_saveexec_b64 s[50:51], vcc
	s_cbranch_execz .LBB6_9560
; %bb.9557:                             ;   in Loop: Header=BB6_9212 Depth=3
	v_and_b32_e32 v30, 0x7f, v48
	v_cmp_ne_u32_e32 vcc, s83, v30
	v_mov_b32_e32 v19, 0x7f800001
	s_and_saveexec_b64 s[52:53], vcc
	s_cbranch_execz .LBB6_9559
; %bb.9558:                             ;   in Loop: Header=BB6_9212 Depth=3
	v_and_b32_e32 v19, 7, v1
	v_lshrrev_b32_e32 v35, 3, v30
	v_cmp_gt_u32_e32 vcc, 8, v30
	v_ffbh_u32_e32 v30, v19
	v_min_u32_e32 v30, 32, v30
	v_subrev_u32_e32 v32, 28, v30
	v_lshlrev_b64 v[32:33], v32, v[1:2]
	v_sub_u32_e32 v1, 29, v30
	v_and_b32_e32 v30, 7, v32
	v_cndmask_b32_e32 v1, v35, v1, vcc
	v_cndmask_b32_e32 v19, v19, v30, vcc
	v_lshlrev_b32_e32 v30, 24, v48
	v_bfrev_b32_e32 v32, 60
	v_lshlrev_b32_e32 v19, 20, v19
	v_and_b32_e32 v30, 0x80000000, v30
	v_lshl_add_u32 v1, v1, 23, v32
	v_or3_b32 v19, v30, v1, v19
.LBB6_9559:                             ;   in Loop: Header=BB6_9212 Depth=3
	s_or_b64 exec, exec, s[52:53]
.LBB6_9560:                             ;   in Loop: Header=BB6_9212 Depth=3
	s_or_b64 exec, exec, s[50:51]
.LBB6_9561:                             ;   in Loop: Header=BB6_9212 Depth=3
	s_or_b64 exec, exec, s[48:49]
	v_max_f32_e32 v1, v19, v19
	v_max_f32_e32 v2, v2, v2
	;; [unrolled: 1-line block ×3, first 2 shown]
	s_mov_b64 s[48:49], 0
.LBB6_9562:                             ;   in Loop: Header=BB6_9212 Depth=3
	s_and_b64 vcc, exec, s[48:49]
	s_cbranch_vccz .LBB6_9576
; %bb.9563:                             ;   in Loop: Header=BB6_9212 Depth=3
	v_mov_b32_e32 v2, 0
	v_mov_b32_e32 v1, 0
	s_and_saveexec_b64 s[48:49], s[40:41]
	s_cbranch_execz .LBB6_9569
; %bb.9564:                             ;   in Loop: Header=BB6_9212 Depth=3
	v_cmp_ne_u16_e32 vcc, s82, v0
	v_bfrev_b32_e32 v1, 1
	s_and_saveexec_b64 s[40:41], vcc
	s_cbranch_execz .LBB6_9568
; %bb.9565:                             ;   in Loop: Header=BB6_9212 Depth=3
	v_and_b32_e32 v19, 0x7f, v29
	v_cmp_ne_u32_e32 vcc, s83, v19
	v_mov_b32_e32 v1, 0x7f800001
	s_and_saveexec_b64 s[50:51], vcc
	s_cbranch_execz .LBB6_9567
; %bb.9566:                             ;   in Loop: Header=BB6_9212 Depth=3
	v_and_b32_e32 v30, 7, v0
	v_ffbh_u32_e32 v1, v30
	v_lshrrev_b32_e32 v32, 3, v19
	v_cmp_gt_u32_e32 vcc, 8, v19
	v_min_u32_e32 v19, 32, v1
	v_subrev_u32_e32 v1, 28, v19
	v_lshlrev_b64 v[0:1], v1, v[0:1]
	v_sub_u32_e32 v1, 29, v19
	v_and_b32_e32 v0, 7, v0
	v_cndmask_b32_e32 v1, v32, v1, vcc
	v_cndmask_b32_e32 v0, v30, v0, vcc
	v_lshlrev_b32_e32 v19, 24, v29
	v_bfrev_b32_e32 v29, 60
	v_lshlrev_b32_e32 v0, 20, v0
	v_and_b32_e32 v19, 0x80000000, v19
	v_lshl_add_u32 v1, v1, 23, v29
	v_or3_b32 v1, v19, v1, v0
.LBB6_9567:                             ;   in Loop: Header=BB6_9212 Depth=3
	s_or_b64 exec, exec, s[50:51]
.LBB6_9568:                             ;   in Loop: Header=BB6_9212 Depth=3
	s_or_b64 exec, exec, s[40:41]
.LBB6_9569:                             ;   in Loop: Header=BB6_9212 Depth=3
	s_or_b64 exec, exec, s[48:49]
	v_and_b32_e32 v0, 0xff, v48
	v_cmp_ne_u16_e32 vcc, 0, v0
	s_and_saveexec_b64 s[40:41], vcc
	s_cbranch_execz .LBB6_9575
; %bb.9570:                             ;   in Loop: Header=BB6_9212 Depth=3
	v_cmp_ne_u16_e32 vcc, s82, v0
	v_bfrev_b32_e32 v2, 1
	s_and_saveexec_b64 s[48:49], vcc
	s_cbranch_execz .LBB6_9574
; %bb.9571:                             ;   in Loop: Header=BB6_9212 Depth=3
	v_and_b32_e32 v19, 0x7f, v48
	v_cmp_ne_u32_e32 vcc, s83, v19
	v_mov_b32_e32 v2, 0x7f800001
	s_and_saveexec_b64 s[50:51], vcc
	s_cbranch_execz .LBB6_9573
; %bb.9572:                             ;   in Loop: Header=BB6_9212 Depth=3
	v_and_b32_e32 v2, 7, v0
	v_lshrrev_b32_e32 v32, 3, v19
	v_cmp_gt_u32_e32 vcc, 8, v19
	v_ffbh_u32_e32 v19, v2
	v_min_u32_e32 v19, 32, v19
	v_subrev_u32_e32 v29, 28, v19
	v_lshlrev_b64 v[29:30], v29, v[0:1]
	v_sub_u32_e32 v0, 29, v19
	v_and_b32_e32 v19, 7, v29
	v_cndmask_b32_e32 v0, v32, v0, vcc
	v_cndmask_b32_e32 v2, v2, v19, vcc
	v_lshlrev_b32_e32 v19, 24, v48
	v_bfrev_b32_e32 v29, 60
	v_lshlrev_b32_e32 v2, 20, v2
	v_and_b32_e32 v19, 0x80000000, v19
	v_lshl_add_u32 v0, v0, 23, v29
	v_or3_b32 v2, v19, v0, v2
.LBB6_9573:                             ;   in Loop: Header=BB6_9212 Depth=3
	s_or_b64 exec, exec, s[50:51]
.LBB6_9574:                             ;   in Loop: Header=BB6_9212 Depth=3
	s_or_b64 exec, exec, s[48:49]
.LBB6_9575:                             ;   in Loop: Header=BB6_9212 Depth=3
	s_or_b64 exec, exec, s[40:41]
	v_max_f32_e32 v0, v2, v2
	v_max_f32_e32 v1, v1, v1
	v_min_f32_e32 v1, v1, v0
.LBB6_9576:                             ;   in Loop: Header=BB6_9212 Depth=3
	v_and_b32_e32 v52, 0x7f800000, v1
	v_cmp_ne_u64_e32 vcc, s[76:77], v[52:53]
                                        ; implicit-def: $vgpr48
	s_and_saveexec_b64 s[40:41], vcc
	s_xor_b64 s[48:49], exec, s[40:41]
	s_cbranch_execz .LBB6_9594
; %bb.9577:                             ;   in Loop: Header=BB6_9212 Depth=3
	v_and_b32_e32 v52, 0x7fffffff, v1
	v_cmp_gt_u64_e32 vcc, s[78:79], v[52:53]
	v_and_b32_sdwa v19, v1, s82 dst_sel:DWORD dst_unused:UNUSED_PAD src0_sel:BYTE_3 src1_sel:DWORD
                                        ; implicit-def: $vgpr48
	s_and_saveexec_b64 s[40:41], vcc
	s_xor_b64 s[50:51], exec, s[40:41]
	s_cbranch_execz .LBB6_9591
; %bb.9578:                             ;   in Loop: Header=BB6_9212 Depth=3
	v_cmp_ne_u32_e32 vcc, 0, v1
	v_mov_b32_e32 v48, 0
	s_and_saveexec_b64 s[52:53], vcc
	s_cbranch_execz .LBB6_9590
; %bb.9579:                             ;   in Loop: Header=BB6_9212 Depth=3
	v_bfe_u32 v29, v1, 23, 8
	v_and_b32_e32 v0, 0x7fffff, v1
	v_cmp_gt_u32_e64 s[40:41], s85, v29
	v_sub_u32_e32 v1, 0x79, v29
	v_cmp_eq_u32_e32 vcc, 0, v29
	v_cndmask_b32_e64 v1, 0, v1, s[40:41]
	v_mov_b32_e32 v30, 0x78
	v_or_b32_e32 v2, 0x800000, v0
	v_cndmask_b32_e32 v30, v1, v30, vcc
	v_cndmask_b32_e32 v52, v2, v0, vcc
	v_add_u32_e32 v0, 20, v30
	v_lshlrev_b64 v[0:1], v0, -1
	v_add_u32_e32 v2, 19, v30
	v_lshlrev_b64 v[32:33], v2, 1
	v_bfi_b32 v1, v1, 0, 0
	v_bfi_b32 v0, v0, 0, v52
	v_cmp_eq_u64_e64 s[40:41], v[0:1], v[32:33]
	v_lshrrev_b64 v[0:1], v30, v[52:53]
	v_mov_b32_e32 v2, v1
	v_mov_b32_e32 v1, v0
	s_and_saveexec_b64 s[54:55], s[40:41]
; %bb.9580:                             ;   in Loop: Header=BB6_9212 Depth=3
	v_bfe_u32 v1, v0, 20, 1
	v_add_co_u32_e64 v1, s[40:41], v0, v1
	v_add_co_u32_e64 v1, s[40:41], -1, v1
; %bb.9581:                             ;   in Loop: Header=BB6_9212 Depth=3
	s_or_b64 exec, exec, s[54:55]
	v_add_u32_e32 v2, 0xffffff81, v29
	v_mov_b32_e32 v29, 0xffffff82
	v_cndmask_b32_e32 v2, v2, v29, vcc
	v_lshrrev_b32_e32 v29, 23, v0
	v_add3_u32 v30, v30, v2, v29
	v_add_u32_e32 v29, 6, v30
	v_and_b32_e32 v1, 0xfffff, v1
	v_add_u32_e32 v52, v1, v0
	v_cmp_ne_u32_e32 vcc, 0, v29
                                        ; implicit-def: $vgpr0_vgpr1
                                        ; implicit-def: $vgpr2
	s_and_saveexec_b64 s[40:41], vcc
	s_xor_b64 s[40:41], exec, s[40:41]
; %bb.9582:                             ;   in Loop: Header=BB6_9212 Depth=3
	v_cmp_lt_u64_e32 vcc, s[88:89], v[52:53]
	v_add_u32_e32 v0, 7, v30
	v_cndmask_b32_e32 v2, v29, v0, vcc
	v_cndmask_b32_e64 v0, 0, 1, vcc
	v_lshrrev_b64 v[0:1], v0, v[52:53]
; %bb.9583:                             ;   in Loop: Header=BB6_9212 Depth=3
	s_andn2_saveexec_b64 s[40:41], s[40:41]
; %bb.9584:                             ;   in Loop: Header=BB6_9212 Depth=3
	v_mov_b32_e32 v0, v52
	v_mov_b32_e32 v1, v53
	v_bfe_u32 v2, v52, 23, 1
; %bb.9585:                             ;   in Loop: Header=BB6_9212 Depth=3
	s_or_b64 exec, exec, s[40:41]
	v_lshrrev_b64 v[0:1], 20, v[0:1]
	v_cmp_gt_i32_e32 vcc, 16, v2
	v_cndmask_b32_e32 v1, 0, v1, vcc
	v_cndmask_b32_e32 v0, 7, v0, vcc
	v_cmp_ne_u64_e32 vcc, 0, v[0:1]
	v_cmp_ne_u32_e64 s[40:41], 0, v2
	s_or_b64 s[40:41], s[40:41], vcc
                                        ; implicit-def: $vgpr48
	s_and_saveexec_b64 vcc, s[40:41]
	s_xor_b64 s[40:41], exec, vcc
; %bb.9586:                             ;   in Loop: Header=BB6_9212 Depth=3
	v_min_i32_e32 v1, 15, v2
	v_lshl_or_b32 v1, v1, 3, v19
	v_and_or_b32 v48, v0, 7, v1
                                        ; implicit-def: $vgpr19
; %bb.9587:                             ;   in Loop: Header=BB6_9212 Depth=3
	s_andn2_saveexec_b64 s[40:41], s[40:41]
; %bb.9588:                             ;   in Loop: Header=BB6_9212 Depth=3
	v_mov_b32_e32 v48, v19
; %bb.9589:                             ;   in Loop: Header=BB6_9212 Depth=3
	s_or_b64 exec, exec, s[40:41]
.LBB6_9590:                             ;   in Loop: Header=BB6_9212 Depth=3
	s_or_b64 exec, exec, s[52:53]
                                        ; implicit-def: $vgpr19
.LBB6_9591:                             ;   in Loop: Header=BB6_9212 Depth=3
	s_andn2_saveexec_b64 s[40:41], s[50:51]
; %bb.9592:                             ;   in Loop: Header=BB6_9212 Depth=3
	v_or_b32_e32 v48, 0x7e, v19
; %bb.9593:                             ;   in Loop: Header=BB6_9212 Depth=3
	s_or_b64 exec, exec, s[40:41]
                                        ; implicit-def: $vgpr1
.LBB6_9594:                             ;   in Loop: Header=BB6_9212 Depth=3
	s_andn2_saveexec_b64 s[40:41], s[48:49]
; %bb.9595:                             ;   in Loop: Header=BB6_9212 Depth=3
	v_or_b32_sdwa v48, v1, s83 dst_sel:DWORD dst_unused:UNUSED_PAD src0_sel:BYTE_3 src1_sel:DWORD
; %bb.9596:                             ;   in Loop: Header=BB6_9212 Depth=3
	s_or_b64 exec, exec, s[40:41]
	v_and_b32_e32 v0, 0xff, v27
	v_cmp_ne_u16_e64 s[40:41], 0, v0
	s_and_b64 vcc, exec, s[28:29]
	s_mov_b64 s[48:49], -1
                                        ; implicit-def: $vgpr1
	s_cbranch_vccnz .LBB6_9610
; %bb.9597:                             ;   in Loop: Header=BB6_9212 Depth=3
	v_mov_b32_e32 v19, 0
	v_mov_b32_e32 v2, 0
	s_and_saveexec_b64 s[48:49], s[40:41]
	s_cbranch_execz .LBB6_9603
; %bb.9598:                             ;   in Loop: Header=BB6_9212 Depth=3
	v_cmp_ne_u16_e32 vcc, s82, v0
	v_bfrev_b32_e32 v2, 1
	s_and_saveexec_b64 s[50:51], vcc
	s_cbranch_execz .LBB6_9602
; %bb.9599:                             ;   in Loop: Header=BB6_9212 Depth=3
	v_and_b32_e32 v1, 0x7f, v27
	v_cmp_ne_u32_e32 vcc, s83, v1
	v_mov_b32_e32 v2, 0x7f800001
	s_and_saveexec_b64 s[52:53], vcc
	s_cbranch_execz .LBB6_9601
; %bb.9600:                             ;   in Loop: Header=BB6_9212 Depth=3
	v_and_b32_e32 v29, 7, v0
	v_lshrrev_b32_e32 v30, 3, v1
	v_cmp_gt_u32_e32 vcc, 8, v1
	v_ffbh_u32_e32 v1, v29
	v_min_u32_e32 v32, 32, v1
	v_subrev_u32_e32 v1, 28, v32
	v_lshlrev_b64 v[1:2], v1, v[0:1]
	v_sub_u32_e32 v2, 29, v32
	v_and_b32_e32 v1, 7, v1
	v_cndmask_b32_e32 v2, v30, v2, vcc
	v_cndmask_b32_e32 v1, v29, v1, vcc
	v_lshlrev_b32_e32 v29, 24, v27
	v_bfrev_b32_e32 v30, 60
	v_lshlrev_b32_e32 v1, 20, v1
	v_and_b32_e32 v29, 0x80000000, v29
	v_lshl_add_u32 v2, v2, 23, v30
	v_or3_b32 v2, v29, v2, v1
.LBB6_9601:                             ;   in Loop: Header=BB6_9212 Depth=3
	s_or_b64 exec, exec, s[52:53]
.LBB6_9602:                             ;   in Loop: Header=BB6_9212 Depth=3
	s_or_b64 exec, exec, s[50:51]
.LBB6_9603:                             ;   in Loop: Header=BB6_9212 Depth=3
	s_or_b64 exec, exec, s[48:49]
	v_and_b32_e32 v1, 0xff, v51
	v_cmp_ne_u16_e32 vcc, 0, v1
	s_and_saveexec_b64 s[48:49], vcc
	s_cbranch_execz .LBB6_9609
; %bb.9604:                             ;   in Loop: Header=BB6_9212 Depth=3
	v_cmp_ne_u16_e32 vcc, s82, v1
	v_bfrev_b32_e32 v19, 1
	s_and_saveexec_b64 s[50:51], vcc
	s_cbranch_execz .LBB6_9608
; %bb.9605:                             ;   in Loop: Header=BB6_9212 Depth=3
	v_and_b32_e32 v29, 0x7f, v51
	v_cmp_ne_u32_e32 vcc, s83, v29
	v_mov_b32_e32 v19, 0x7f800001
	s_and_saveexec_b64 s[52:53], vcc
	s_cbranch_execz .LBB6_9607
; %bb.9606:                             ;   in Loop: Header=BB6_9212 Depth=3
	v_and_b32_e32 v19, 7, v1
	v_lshrrev_b32_e32 v32, 3, v29
	v_cmp_gt_u32_e32 vcc, 8, v29
	v_ffbh_u32_e32 v29, v19
	v_min_u32_e32 v33, 32, v29
	v_subrev_u32_e32 v29, 28, v33
	v_lshlrev_b64 v[29:30], v29, v[1:2]
	v_sub_u32_e32 v1, 29, v33
	v_and_b32_e32 v29, 7, v29
	v_cndmask_b32_e32 v1, v32, v1, vcc
	v_cndmask_b32_e32 v19, v19, v29, vcc
	v_lshlrev_b32_e32 v29, 24, v51
	v_bfrev_b32_e32 v30, 60
	v_lshlrev_b32_e32 v19, 20, v19
	v_and_b32_e32 v29, 0x80000000, v29
	v_lshl_add_u32 v1, v1, 23, v30
	v_or3_b32 v19, v29, v1, v19
.LBB6_9607:                             ;   in Loop: Header=BB6_9212 Depth=3
	s_or_b64 exec, exec, s[52:53]
.LBB6_9608:                             ;   in Loop: Header=BB6_9212 Depth=3
	s_or_b64 exec, exec, s[50:51]
.LBB6_9609:                             ;   in Loop: Header=BB6_9212 Depth=3
	s_or_b64 exec, exec, s[48:49]
	v_max_f32_e32 v1, v19, v19
	v_max_f32_e32 v2, v2, v2
	;; [unrolled: 1-line block ×3, first 2 shown]
	s_mov_b64 s[48:49], 0
.LBB6_9610:                             ;   in Loop: Header=BB6_9212 Depth=3
	s_and_b64 vcc, exec, s[48:49]
	s_cbranch_vccz .LBB6_9624
; %bb.9611:                             ;   in Loop: Header=BB6_9212 Depth=3
	v_mov_b32_e32 v2, 0
	v_mov_b32_e32 v1, 0
	s_and_saveexec_b64 s[48:49], s[40:41]
	s_cbranch_execz .LBB6_9617
; %bb.9612:                             ;   in Loop: Header=BB6_9212 Depth=3
	v_cmp_ne_u16_e32 vcc, s82, v0
	v_bfrev_b32_e32 v1, 1
	s_and_saveexec_b64 s[40:41], vcc
	s_cbranch_execz .LBB6_9616
; %bb.9613:                             ;   in Loop: Header=BB6_9212 Depth=3
	v_and_b32_e32 v19, 0x7f, v27
	v_cmp_ne_u32_e32 vcc, s83, v19
	v_mov_b32_e32 v1, 0x7f800001
	s_and_saveexec_b64 s[50:51], vcc
	s_cbranch_execz .LBB6_9615
; %bb.9614:                             ;   in Loop: Header=BB6_9212 Depth=3
	v_and_b32_e32 v29, 7, v0
	v_ffbh_u32_e32 v1, v29
	v_lshrrev_b32_e32 v30, 3, v19
	v_cmp_gt_u32_e32 vcc, 8, v19
	v_min_u32_e32 v19, 32, v1
	v_subrev_u32_e32 v1, 28, v19
	v_lshlrev_b64 v[0:1], v1, v[0:1]
	v_sub_u32_e32 v1, 29, v19
	v_and_b32_e32 v0, 7, v0
	v_cndmask_b32_e32 v1, v30, v1, vcc
	v_cndmask_b32_e32 v0, v29, v0, vcc
	v_lshlrev_b32_e32 v19, 24, v27
	v_bfrev_b32_e32 v27, 60
	v_lshlrev_b32_e32 v0, 20, v0
	v_and_b32_e32 v19, 0x80000000, v19
	v_lshl_add_u32 v1, v1, 23, v27
	v_or3_b32 v1, v19, v1, v0
.LBB6_9615:                             ;   in Loop: Header=BB6_9212 Depth=3
	s_or_b64 exec, exec, s[50:51]
.LBB6_9616:                             ;   in Loop: Header=BB6_9212 Depth=3
	s_or_b64 exec, exec, s[40:41]
.LBB6_9617:                             ;   in Loop: Header=BB6_9212 Depth=3
	s_or_b64 exec, exec, s[48:49]
	v_and_b32_e32 v0, 0xff, v51
	v_cmp_ne_u16_e32 vcc, 0, v0
	s_and_saveexec_b64 s[40:41], vcc
	s_cbranch_execz .LBB6_9623
; %bb.9618:                             ;   in Loop: Header=BB6_9212 Depth=3
	v_cmp_ne_u16_e32 vcc, s82, v0
	v_bfrev_b32_e32 v2, 1
	s_and_saveexec_b64 s[48:49], vcc
	s_cbranch_execz .LBB6_9622
; %bb.9619:                             ;   in Loop: Header=BB6_9212 Depth=3
	v_and_b32_e32 v19, 0x7f, v51
	v_cmp_ne_u32_e32 vcc, s83, v19
	v_mov_b32_e32 v2, 0x7f800001
	s_and_saveexec_b64 s[50:51], vcc
	s_cbranch_execz .LBB6_9621
; %bb.9620:                             ;   in Loop: Header=BB6_9212 Depth=3
	v_and_b32_e32 v2, 7, v0
	v_lshrrev_b32_e32 v27, 3, v19
	v_cmp_gt_u32_e32 vcc, 8, v19
	v_ffbh_u32_e32 v19, v2
	v_min_u32_e32 v19, 32, v19
	v_subrev_u32_e32 v29, 28, v19
	v_lshlrev_b64 v[29:30], v29, v[0:1]
	v_sub_u32_e32 v0, 29, v19
	v_and_b32_e32 v19, 7, v29
	v_cndmask_b32_e32 v0, v27, v0, vcc
	v_cndmask_b32_e32 v2, v2, v19, vcc
	v_lshlrev_b32_e32 v19, 24, v51
	v_bfrev_b32_e32 v27, 60
	v_lshlrev_b32_e32 v2, 20, v2
	v_and_b32_e32 v19, 0x80000000, v19
	v_lshl_add_u32 v0, v0, 23, v27
	v_or3_b32 v2, v19, v0, v2
.LBB6_9621:                             ;   in Loop: Header=BB6_9212 Depth=3
	s_or_b64 exec, exec, s[50:51]
.LBB6_9622:                             ;   in Loop: Header=BB6_9212 Depth=3
	s_or_b64 exec, exec, s[48:49]
.LBB6_9623:                             ;   in Loop: Header=BB6_9212 Depth=3
	s_or_b64 exec, exec, s[40:41]
	v_max_f32_e32 v0, v2, v2
	v_max_f32_e32 v1, v1, v1
	v_min_f32_e32 v1, v1, v0
.LBB6_9624:                             ;   in Loop: Header=BB6_9212 Depth=3
	v_and_b32_e32 v52, 0x7f800000, v1
	v_cmp_ne_u64_e32 vcc, s[76:77], v[52:53]
                                        ; implicit-def: $vgpr51
	s_and_saveexec_b64 s[40:41], vcc
	s_xor_b64 s[48:49], exec, s[40:41]
	s_cbranch_execz .LBB6_9642
; %bb.9625:                             ;   in Loop: Header=BB6_9212 Depth=3
	v_and_b32_e32 v52, 0x7fffffff, v1
	v_cmp_gt_u64_e32 vcc, s[78:79], v[52:53]
	v_and_b32_sdwa v19, v1, s82 dst_sel:DWORD dst_unused:UNUSED_PAD src0_sel:BYTE_3 src1_sel:DWORD
                                        ; implicit-def: $vgpr51
	s_and_saveexec_b64 s[40:41], vcc
	s_xor_b64 s[50:51], exec, s[40:41]
	s_cbranch_execz .LBB6_9639
; %bb.9626:                             ;   in Loop: Header=BB6_9212 Depth=3
	v_cmp_ne_u32_e32 vcc, 0, v1
	v_mov_b32_e32 v51, 0
	s_and_saveexec_b64 s[52:53], vcc
	s_cbranch_execz .LBB6_9638
; %bb.9627:                             ;   in Loop: Header=BB6_9212 Depth=3
	v_bfe_u32 v27, v1, 23, 8
	v_and_b32_e32 v0, 0x7fffff, v1
	v_cmp_gt_u32_e64 s[40:41], s85, v27
	v_sub_u32_e32 v1, 0x79, v27
	v_cmp_eq_u32_e32 vcc, 0, v27
	v_cndmask_b32_e64 v1, 0, v1, s[40:41]
	v_mov_b32_e32 v29, 0x78
	v_or_b32_e32 v2, 0x800000, v0
	v_cndmask_b32_e32 v29, v1, v29, vcc
	v_cndmask_b32_e32 v52, v2, v0, vcc
	v_add_u32_e32 v0, 20, v29
	v_lshlrev_b64 v[0:1], v0, -1
	v_add_u32_e32 v2, 19, v29
	v_lshlrev_b64 v[32:33], v2, 1
	v_bfi_b32 v1, v1, 0, 0
	v_bfi_b32 v0, v0, 0, v52
	v_cmp_eq_u64_e64 s[40:41], v[0:1], v[32:33]
	v_lshrrev_b64 v[0:1], v29, v[52:53]
	v_mov_b32_e32 v2, v1
	v_mov_b32_e32 v1, v0
	s_and_saveexec_b64 s[54:55], s[40:41]
; %bb.9628:                             ;   in Loop: Header=BB6_9212 Depth=3
	v_bfe_u32 v1, v0, 20, 1
	v_add_co_u32_e64 v1, s[40:41], v0, v1
	v_add_co_u32_e64 v1, s[40:41], -1, v1
; %bb.9629:                             ;   in Loop: Header=BB6_9212 Depth=3
	s_or_b64 exec, exec, s[54:55]
	v_add_u32_e32 v2, 0xffffff81, v27
	v_mov_b32_e32 v27, 0xffffff82
	v_cndmask_b32_e32 v2, v2, v27, vcc
	v_lshrrev_b32_e32 v27, 23, v0
	v_add3_u32 v29, v29, v2, v27
	v_add_u32_e32 v27, 6, v29
	v_and_b32_e32 v1, 0xfffff, v1
	v_add_u32_e32 v52, v1, v0
	v_cmp_ne_u32_e32 vcc, 0, v27
                                        ; implicit-def: $vgpr0_vgpr1
                                        ; implicit-def: $vgpr2
	s_and_saveexec_b64 s[40:41], vcc
	s_xor_b64 s[40:41], exec, s[40:41]
; %bb.9630:                             ;   in Loop: Header=BB6_9212 Depth=3
	v_cmp_lt_u64_e32 vcc, s[88:89], v[52:53]
	v_add_u32_e32 v0, 7, v29
	v_cndmask_b32_e32 v2, v27, v0, vcc
	v_cndmask_b32_e64 v0, 0, 1, vcc
	v_lshrrev_b64 v[0:1], v0, v[52:53]
; %bb.9631:                             ;   in Loop: Header=BB6_9212 Depth=3
	s_andn2_saveexec_b64 s[40:41], s[40:41]
; %bb.9632:                             ;   in Loop: Header=BB6_9212 Depth=3
	v_mov_b32_e32 v0, v52
	v_mov_b32_e32 v1, v53
	v_bfe_u32 v2, v52, 23, 1
; %bb.9633:                             ;   in Loop: Header=BB6_9212 Depth=3
	s_or_b64 exec, exec, s[40:41]
	v_lshrrev_b64 v[0:1], 20, v[0:1]
	v_cmp_gt_i32_e32 vcc, 16, v2
	v_cndmask_b32_e32 v1, 0, v1, vcc
	v_cndmask_b32_e32 v0, 7, v0, vcc
	v_cmp_ne_u64_e32 vcc, 0, v[0:1]
	v_cmp_ne_u32_e64 s[40:41], 0, v2
	s_or_b64 s[40:41], s[40:41], vcc
                                        ; implicit-def: $vgpr51
	s_and_saveexec_b64 vcc, s[40:41]
	s_xor_b64 s[40:41], exec, vcc
; %bb.9634:                             ;   in Loop: Header=BB6_9212 Depth=3
	v_min_i32_e32 v1, 15, v2
	v_lshl_or_b32 v1, v1, 3, v19
	v_and_or_b32 v51, v0, 7, v1
                                        ; implicit-def: $vgpr19
; %bb.9635:                             ;   in Loop: Header=BB6_9212 Depth=3
	s_andn2_saveexec_b64 s[40:41], s[40:41]
; %bb.9636:                             ;   in Loop: Header=BB6_9212 Depth=3
	v_mov_b32_e32 v51, v19
; %bb.9637:                             ;   in Loop: Header=BB6_9212 Depth=3
	s_or_b64 exec, exec, s[40:41]
.LBB6_9638:                             ;   in Loop: Header=BB6_9212 Depth=3
	s_or_b64 exec, exec, s[52:53]
                                        ; implicit-def: $vgpr19
.LBB6_9639:                             ;   in Loop: Header=BB6_9212 Depth=3
	s_andn2_saveexec_b64 s[40:41], s[50:51]
; %bb.9640:                             ;   in Loop: Header=BB6_9212 Depth=3
	v_or_b32_e32 v51, 0x7e, v19
; %bb.9641:                             ;   in Loop: Header=BB6_9212 Depth=3
	s_or_b64 exec, exec, s[40:41]
                                        ; implicit-def: $vgpr1
.LBB6_9642:                             ;   in Loop: Header=BB6_9212 Depth=3
	s_andn2_saveexec_b64 s[40:41], s[48:49]
; %bb.9643:                             ;   in Loop: Header=BB6_9212 Depth=3
	v_or_b32_sdwa v51, v1, s83 dst_sel:DWORD dst_unused:UNUSED_PAD src0_sel:BYTE_3 src1_sel:DWORD
; %bb.9644:                             ;   in Loop: Header=BB6_9212 Depth=3
	s_or_b64 exec, exec, s[40:41]
	v_and_b32_e32 v0, 0xff, v26
	v_cmp_ne_u16_e64 s[40:41], 0, v0
	s_and_b64 vcc, exec, s[28:29]
	s_mov_b64 s[48:49], -1
                                        ; implicit-def: $vgpr1
	s_cbranch_vccnz .LBB6_9658
; %bb.9645:                             ;   in Loop: Header=BB6_9212 Depth=3
	v_mov_b32_e32 v19, 0
	v_mov_b32_e32 v2, 0
	s_and_saveexec_b64 s[48:49], s[40:41]
	s_cbranch_execz .LBB6_9651
; %bb.9646:                             ;   in Loop: Header=BB6_9212 Depth=3
	v_cmp_ne_u16_e32 vcc, s82, v0
	v_bfrev_b32_e32 v2, 1
	s_and_saveexec_b64 s[50:51], vcc
	s_cbranch_execz .LBB6_9650
; %bb.9647:                             ;   in Loop: Header=BB6_9212 Depth=3
	v_and_b32_e32 v1, 0x7f, v26
	v_cmp_ne_u32_e32 vcc, s83, v1
	v_mov_b32_e32 v2, 0x7f800001
	s_and_saveexec_b64 s[52:53], vcc
	s_cbranch_execz .LBB6_9649
; %bb.9648:                             ;   in Loop: Header=BB6_9212 Depth=3
	v_and_b32_e32 v27, 7, v0
	v_lshrrev_b32_e32 v29, 3, v1
	v_cmp_gt_u32_e32 vcc, 8, v1
	v_ffbh_u32_e32 v1, v27
	v_min_u32_e32 v30, 32, v1
	v_subrev_u32_e32 v1, 28, v30
	v_lshlrev_b64 v[1:2], v1, v[0:1]
	v_sub_u32_e32 v2, 29, v30
	v_and_b32_e32 v1, 7, v1
	v_cndmask_b32_e32 v2, v29, v2, vcc
	v_cndmask_b32_e32 v1, v27, v1, vcc
	v_lshlrev_b32_e32 v27, 24, v26
	v_bfrev_b32_e32 v29, 60
	v_lshlrev_b32_e32 v1, 20, v1
	v_and_b32_e32 v27, 0x80000000, v27
	v_lshl_add_u32 v2, v2, 23, v29
	v_or3_b32 v2, v27, v2, v1
.LBB6_9649:                             ;   in Loop: Header=BB6_9212 Depth=3
	s_or_b64 exec, exec, s[52:53]
.LBB6_9650:                             ;   in Loop: Header=BB6_9212 Depth=3
	s_or_b64 exec, exec, s[50:51]
.LBB6_9651:                             ;   in Loop: Header=BB6_9212 Depth=3
	s_or_b64 exec, exec, s[48:49]
	v_and_b32_e32 v1, 0xff, v42
	v_cmp_ne_u16_e32 vcc, 0, v1
	s_and_saveexec_b64 s[48:49], vcc
	s_cbranch_execz .LBB6_9657
; %bb.9652:                             ;   in Loop: Header=BB6_9212 Depth=3
	v_cmp_ne_u16_e32 vcc, s82, v1
	v_bfrev_b32_e32 v19, 1
	s_and_saveexec_b64 s[50:51], vcc
	s_cbranch_execz .LBB6_9656
; %bb.9653:                             ;   in Loop: Header=BB6_9212 Depth=3
	v_and_b32_e32 v27, 0x7f, v42
	v_cmp_ne_u32_e32 vcc, s83, v27
	v_mov_b32_e32 v19, 0x7f800001
	s_and_saveexec_b64 s[52:53], vcc
	s_cbranch_execz .LBB6_9655
; %bb.9654:                             ;   in Loop: Header=BB6_9212 Depth=3
	v_and_b32_e32 v19, 7, v1
	v_lshrrev_b32_e32 v32, 3, v27
	v_cmp_gt_u32_e32 vcc, 8, v27
	v_ffbh_u32_e32 v27, v19
	v_min_u32_e32 v27, 32, v27
	v_subrev_u32_e32 v29, 28, v27
	v_lshlrev_b64 v[29:30], v29, v[1:2]
	v_sub_u32_e32 v1, 29, v27
	v_and_b32_e32 v27, 7, v29
	v_cndmask_b32_e32 v1, v32, v1, vcc
	v_cndmask_b32_e32 v19, v19, v27, vcc
	v_lshlrev_b32_e32 v27, 24, v42
	v_bfrev_b32_e32 v29, 60
	v_lshlrev_b32_e32 v19, 20, v19
	v_and_b32_e32 v27, 0x80000000, v27
	v_lshl_add_u32 v1, v1, 23, v29
	v_or3_b32 v19, v27, v1, v19
.LBB6_9655:                             ;   in Loop: Header=BB6_9212 Depth=3
	s_or_b64 exec, exec, s[52:53]
.LBB6_9656:                             ;   in Loop: Header=BB6_9212 Depth=3
	s_or_b64 exec, exec, s[50:51]
.LBB6_9657:                             ;   in Loop: Header=BB6_9212 Depth=3
	s_or_b64 exec, exec, s[48:49]
	v_max_f32_e32 v1, v19, v19
	v_max_f32_e32 v2, v2, v2
	;; [unrolled: 1-line block ×3, first 2 shown]
	s_mov_b64 s[48:49], 0
.LBB6_9658:                             ;   in Loop: Header=BB6_9212 Depth=3
	s_and_b64 vcc, exec, s[48:49]
	s_cbranch_vccz .LBB6_9672
; %bb.9659:                             ;   in Loop: Header=BB6_9212 Depth=3
	v_mov_b32_e32 v2, 0
	v_mov_b32_e32 v1, 0
	s_and_saveexec_b64 s[48:49], s[40:41]
	s_cbranch_execz .LBB6_9665
; %bb.9660:                             ;   in Loop: Header=BB6_9212 Depth=3
	v_cmp_ne_u16_e32 vcc, s82, v0
	v_bfrev_b32_e32 v1, 1
	s_and_saveexec_b64 s[40:41], vcc
	s_cbranch_execz .LBB6_9664
; %bb.9661:                             ;   in Loop: Header=BB6_9212 Depth=3
	v_and_b32_e32 v19, 0x7f, v26
	v_cmp_ne_u32_e32 vcc, s83, v19
	v_mov_b32_e32 v1, 0x7f800001
	s_and_saveexec_b64 s[50:51], vcc
	s_cbranch_execz .LBB6_9663
; %bb.9662:                             ;   in Loop: Header=BB6_9212 Depth=3
	v_and_b32_e32 v27, 7, v0
	v_ffbh_u32_e32 v1, v27
	v_lshrrev_b32_e32 v29, 3, v19
	v_cmp_gt_u32_e32 vcc, 8, v19
	v_min_u32_e32 v19, 32, v1
	v_subrev_u32_e32 v1, 28, v19
	v_lshlrev_b64 v[0:1], v1, v[0:1]
	v_sub_u32_e32 v1, 29, v19
	v_and_b32_e32 v0, 7, v0
	v_cndmask_b32_e32 v1, v29, v1, vcc
	v_cndmask_b32_e32 v0, v27, v0, vcc
	v_lshlrev_b32_e32 v19, 24, v26
	v_bfrev_b32_e32 v26, 60
	v_lshlrev_b32_e32 v0, 20, v0
	v_and_b32_e32 v19, 0x80000000, v19
	v_lshl_add_u32 v1, v1, 23, v26
	v_or3_b32 v1, v19, v1, v0
.LBB6_9663:                             ;   in Loop: Header=BB6_9212 Depth=3
	s_or_b64 exec, exec, s[50:51]
.LBB6_9664:                             ;   in Loop: Header=BB6_9212 Depth=3
	s_or_b64 exec, exec, s[40:41]
.LBB6_9665:                             ;   in Loop: Header=BB6_9212 Depth=3
	s_or_b64 exec, exec, s[48:49]
	v_and_b32_e32 v0, 0xff, v42
	v_cmp_ne_u16_e32 vcc, 0, v0
	s_and_saveexec_b64 s[40:41], vcc
	s_cbranch_execz .LBB6_9671
; %bb.9666:                             ;   in Loop: Header=BB6_9212 Depth=3
	v_cmp_ne_u16_e32 vcc, s82, v0
	v_bfrev_b32_e32 v2, 1
	s_and_saveexec_b64 s[48:49], vcc
	s_cbranch_execz .LBB6_9670
; %bb.9667:                             ;   in Loop: Header=BB6_9212 Depth=3
	v_and_b32_e32 v19, 0x7f, v42
	v_cmp_ne_u32_e32 vcc, s83, v19
	v_mov_b32_e32 v2, 0x7f800001
	s_and_saveexec_b64 s[50:51], vcc
	s_cbranch_execz .LBB6_9669
; %bb.9668:                             ;   in Loop: Header=BB6_9212 Depth=3
	v_and_b32_e32 v2, 7, v0
	v_lshrrev_b32_e32 v29, 3, v19
	v_cmp_gt_u32_e32 vcc, 8, v19
	v_ffbh_u32_e32 v19, v2
	v_min_u32_e32 v19, 32, v19
	v_subrev_u32_e32 v26, 28, v19
	v_lshlrev_b64 v[26:27], v26, v[0:1]
	v_sub_u32_e32 v0, 29, v19
	v_and_b32_e32 v19, 7, v26
	v_cndmask_b32_e32 v0, v29, v0, vcc
	v_cndmask_b32_e32 v2, v2, v19, vcc
	v_lshlrev_b32_e32 v19, 24, v42
	v_bfrev_b32_e32 v26, 60
	v_lshlrev_b32_e32 v2, 20, v2
	v_and_b32_e32 v19, 0x80000000, v19
	v_lshl_add_u32 v0, v0, 23, v26
	v_or3_b32 v2, v19, v0, v2
.LBB6_9669:                             ;   in Loop: Header=BB6_9212 Depth=3
	s_or_b64 exec, exec, s[50:51]
.LBB6_9670:                             ;   in Loop: Header=BB6_9212 Depth=3
	s_or_b64 exec, exec, s[48:49]
.LBB6_9671:                             ;   in Loop: Header=BB6_9212 Depth=3
	s_or_b64 exec, exec, s[40:41]
	v_max_f32_e32 v0, v2, v2
	v_max_f32_e32 v1, v1, v1
	v_min_f32_e32 v1, v1, v0
.LBB6_9672:                             ;   in Loop: Header=BB6_9212 Depth=3
	v_and_b32_e32 v52, 0x7f800000, v1
	v_cmp_ne_u64_e32 vcc, s[76:77], v[52:53]
                                        ; implicit-def: $vgpr42
	s_and_saveexec_b64 s[40:41], vcc
	s_xor_b64 s[48:49], exec, s[40:41]
	s_cbranch_execz .LBB6_9690
; %bb.9673:                             ;   in Loop: Header=BB6_9212 Depth=3
	v_and_b32_e32 v52, 0x7fffffff, v1
	v_cmp_gt_u64_e32 vcc, s[78:79], v[52:53]
	v_and_b32_sdwa v19, v1, s82 dst_sel:DWORD dst_unused:UNUSED_PAD src0_sel:BYTE_3 src1_sel:DWORD
                                        ; implicit-def: $vgpr42
	s_and_saveexec_b64 s[40:41], vcc
	s_xor_b64 s[50:51], exec, s[40:41]
	s_cbranch_execz .LBB6_9687
; %bb.9674:                             ;   in Loop: Header=BB6_9212 Depth=3
	v_cmp_ne_u32_e32 vcc, 0, v1
	v_mov_b32_e32 v42, 0
	s_and_saveexec_b64 s[52:53], vcc
	s_cbranch_execz .LBB6_9686
; %bb.9675:                             ;   in Loop: Header=BB6_9212 Depth=3
	v_bfe_u32 v26, v1, 23, 8
	v_and_b32_e32 v0, 0x7fffff, v1
	v_cmp_gt_u32_e64 s[40:41], s85, v26
	v_sub_u32_e32 v1, 0x79, v26
	v_cmp_eq_u32_e32 vcc, 0, v26
	v_cndmask_b32_e64 v1, 0, v1, s[40:41]
	v_mov_b32_e32 v27, 0x78
	v_or_b32_e32 v2, 0x800000, v0
	v_cndmask_b32_e32 v27, v1, v27, vcc
	v_cndmask_b32_e32 v52, v2, v0, vcc
	v_add_u32_e32 v0, 20, v27
	v_lshlrev_b64 v[0:1], v0, -1
	v_add_u32_e32 v2, 19, v27
	v_lshlrev_b64 v[29:30], v2, 1
	v_bfi_b32 v1, v1, 0, 0
	v_bfi_b32 v0, v0, 0, v52
	v_cmp_eq_u64_e64 s[40:41], v[0:1], v[29:30]
	v_lshrrev_b64 v[0:1], v27, v[52:53]
	v_mov_b32_e32 v2, v1
	v_mov_b32_e32 v1, v0
	s_and_saveexec_b64 s[54:55], s[40:41]
; %bb.9676:                             ;   in Loop: Header=BB6_9212 Depth=3
	v_bfe_u32 v1, v0, 20, 1
	v_add_co_u32_e64 v1, s[40:41], v0, v1
	v_add_co_u32_e64 v1, s[40:41], -1, v1
; %bb.9677:                             ;   in Loop: Header=BB6_9212 Depth=3
	s_or_b64 exec, exec, s[54:55]
	v_add_u32_e32 v2, 0xffffff81, v26
	v_mov_b32_e32 v26, 0xffffff82
	v_cndmask_b32_e32 v2, v2, v26, vcc
	v_lshrrev_b32_e32 v26, 23, v0
	v_add3_u32 v27, v27, v2, v26
	v_add_u32_e32 v26, 6, v27
	v_and_b32_e32 v1, 0xfffff, v1
	v_add_u32_e32 v52, v1, v0
	v_cmp_ne_u32_e32 vcc, 0, v26
                                        ; implicit-def: $vgpr0_vgpr1
                                        ; implicit-def: $vgpr2
	s_and_saveexec_b64 s[40:41], vcc
	s_xor_b64 s[40:41], exec, s[40:41]
; %bb.9678:                             ;   in Loop: Header=BB6_9212 Depth=3
	v_cmp_lt_u64_e32 vcc, s[88:89], v[52:53]
	v_add_u32_e32 v0, 7, v27
	v_cndmask_b32_e32 v2, v26, v0, vcc
	v_cndmask_b32_e64 v0, 0, 1, vcc
	v_lshrrev_b64 v[0:1], v0, v[52:53]
; %bb.9679:                             ;   in Loop: Header=BB6_9212 Depth=3
	s_andn2_saveexec_b64 s[40:41], s[40:41]
; %bb.9680:                             ;   in Loop: Header=BB6_9212 Depth=3
	v_mov_b32_e32 v0, v52
	v_mov_b32_e32 v1, v53
	v_bfe_u32 v2, v52, 23, 1
; %bb.9681:                             ;   in Loop: Header=BB6_9212 Depth=3
	s_or_b64 exec, exec, s[40:41]
	v_lshrrev_b64 v[0:1], 20, v[0:1]
	v_cmp_gt_i32_e32 vcc, 16, v2
	v_cndmask_b32_e32 v1, 0, v1, vcc
	v_cndmask_b32_e32 v0, 7, v0, vcc
	v_cmp_ne_u64_e32 vcc, 0, v[0:1]
	v_cmp_ne_u32_e64 s[40:41], 0, v2
	s_or_b64 s[40:41], s[40:41], vcc
                                        ; implicit-def: $vgpr42
	s_and_saveexec_b64 vcc, s[40:41]
	s_xor_b64 s[40:41], exec, vcc
; %bb.9682:                             ;   in Loop: Header=BB6_9212 Depth=3
	v_min_i32_e32 v1, 15, v2
	v_lshl_or_b32 v1, v1, 3, v19
	v_and_or_b32 v42, v0, 7, v1
                                        ; implicit-def: $vgpr19
; %bb.9683:                             ;   in Loop: Header=BB6_9212 Depth=3
	s_andn2_saveexec_b64 s[40:41], s[40:41]
; %bb.9684:                             ;   in Loop: Header=BB6_9212 Depth=3
	v_mov_b32_e32 v42, v19
; %bb.9685:                             ;   in Loop: Header=BB6_9212 Depth=3
	s_or_b64 exec, exec, s[40:41]
.LBB6_9686:                             ;   in Loop: Header=BB6_9212 Depth=3
	s_or_b64 exec, exec, s[52:53]
                                        ; implicit-def: $vgpr19
.LBB6_9687:                             ;   in Loop: Header=BB6_9212 Depth=3
	s_andn2_saveexec_b64 s[40:41], s[50:51]
; %bb.9688:                             ;   in Loop: Header=BB6_9212 Depth=3
	v_or_b32_e32 v42, 0x7e, v19
; %bb.9689:                             ;   in Loop: Header=BB6_9212 Depth=3
	s_or_b64 exec, exec, s[40:41]
                                        ; implicit-def: $vgpr1
.LBB6_9690:                             ;   in Loop: Header=BB6_9212 Depth=3
	s_andn2_saveexec_b64 s[40:41], s[48:49]
; %bb.9691:                             ;   in Loop: Header=BB6_9212 Depth=3
	v_or_b32_sdwa v42, v1, s83 dst_sel:DWORD dst_unused:UNUSED_PAD src0_sel:BYTE_3 src1_sel:DWORD
; %bb.9692:                             ;   in Loop: Header=BB6_9212 Depth=3
	s_or_b64 exec, exec, s[40:41]
	v_and_b32_e32 v0, 0xff, v24
	v_cmp_ne_u16_e64 s[40:41], 0, v0
	s_and_b64 vcc, exec, s[28:29]
	s_mov_b64 s[48:49], -1
                                        ; implicit-def: $vgpr1
	s_cbranch_vccnz .LBB6_9706
; %bb.9693:                             ;   in Loop: Header=BB6_9212 Depth=3
	v_mov_b32_e32 v19, 0
	v_mov_b32_e32 v2, 0
	s_and_saveexec_b64 s[48:49], s[40:41]
	s_cbranch_execz .LBB6_9699
; %bb.9694:                             ;   in Loop: Header=BB6_9212 Depth=3
	v_cmp_ne_u16_e32 vcc, s82, v0
	v_bfrev_b32_e32 v2, 1
	s_and_saveexec_b64 s[50:51], vcc
	s_cbranch_execz .LBB6_9698
; %bb.9695:                             ;   in Loop: Header=BB6_9212 Depth=3
	v_and_b32_e32 v1, 0x7f, v24
	v_cmp_ne_u32_e32 vcc, s83, v1
	v_mov_b32_e32 v2, 0x7f800001
	s_and_saveexec_b64 s[52:53], vcc
	s_cbranch_execz .LBB6_9697
; %bb.9696:                             ;   in Loop: Header=BB6_9212 Depth=3
	v_and_b32_e32 v26, 7, v0
	v_lshrrev_b32_e32 v27, 3, v1
	v_cmp_gt_u32_e32 vcc, 8, v1
	v_ffbh_u32_e32 v1, v26
	v_min_u32_e32 v29, 32, v1
	v_subrev_u32_e32 v1, 28, v29
	v_lshlrev_b64 v[1:2], v1, v[0:1]
	v_sub_u32_e32 v2, 29, v29
	v_and_b32_e32 v1, 7, v1
	v_cndmask_b32_e32 v2, v27, v2, vcc
	v_cndmask_b32_e32 v1, v26, v1, vcc
	v_lshlrev_b32_e32 v26, 24, v24
	v_bfrev_b32_e32 v27, 60
	v_lshlrev_b32_e32 v1, 20, v1
	v_and_b32_e32 v26, 0x80000000, v26
	v_lshl_add_u32 v2, v2, 23, v27
	v_or3_b32 v2, v26, v2, v1
.LBB6_9697:                             ;   in Loop: Header=BB6_9212 Depth=3
	s_or_b64 exec, exec, s[52:53]
.LBB6_9698:                             ;   in Loop: Header=BB6_9212 Depth=3
	s_or_b64 exec, exec, s[50:51]
.LBB6_9699:                             ;   in Loop: Header=BB6_9212 Depth=3
	s_or_b64 exec, exec, s[48:49]
	v_and_b32_e32 v1, 0xff, v45
	v_cmp_ne_u16_e32 vcc, 0, v1
	s_and_saveexec_b64 s[48:49], vcc
	s_cbranch_execz .LBB6_9705
; %bb.9700:                             ;   in Loop: Header=BB6_9212 Depth=3
	v_cmp_ne_u16_e32 vcc, s82, v1
	v_bfrev_b32_e32 v19, 1
	s_and_saveexec_b64 s[50:51], vcc
	s_cbranch_execz .LBB6_9704
; %bb.9701:                             ;   in Loop: Header=BB6_9212 Depth=3
	v_and_b32_e32 v26, 0x7f, v45
	v_cmp_ne_u32_e32 vcc, s83, v26
	v_mov_b32_e32 v19, 0x7f800001
	s_and_saveexec_b64 s[52:53], vcc
	s_cbranch_execz .LBB6_9703
; %bb.9702:                             ;   in Loop: Header=BB6_9212 Depth=3
	v_and_b32_e32 v19, 7, v1
	v_lshrrev_b32_e32 v29, 3, v26
	v_cmp_gt_u32_e32 vcc, 8, v26
	v_ffbh_u32_e32 v26, v19
	v_min_u32_e32 v30, 32, v26
	v_subrev_u32_e32 v26, 28, v30
	v_lshlrev_b64 v[26:27], v26, v[1:2]
	v_sub_u32_e32 v1, 29, v30
	v_and_b32_e32 v26, 7, v26
	v_cndmask_b32_e32 v1, v29, v1, vcc
	v_cndmask_b32_e32 v19, v19, v26, vcc
	v_lshlrev_b32_e32 v26, 24, v45
	v_bfrev_b32_e32 v27, 60
	v_lshlrev_b32_e32 v19, 20, v19
	v_and_b32_e32 v26, 0x80000000, v26
	v_lshl_add_u32 v1, v1, 23, v27
	v_or3_b32 v19, v26, v1, v19
.LBB6_9703:                             ;   in Loop: Header=BB6_9212 Depth=3
	s_or_b64 exec, exec, s[52:53]
.LBB6_9704:                             ;   in Loop: Header=BB6_9212 Depth=3
	s_or_b64 exec, exec, s[50:51]
.LBB6_9705:                             ;   in Loop: Header=BB6_9212 Depth=3
	s_or_b64 exec, exec, s[48:49]
	v_max_f32_e32 v1, v19, v19
	v_max_f32_e32 v2, v2, v2
	;; [unrolled: 1-line block ×3, first 2 shown]
	s_mov_b64 s[48:49], 0
.LBB6_9706:                             ;   in Loop: Header=BB6_9212 Depth=3
	s_and_b64 vcc, exec, s[48:49]
	s_cbranch_vccz .LBB6_9720
; %bb.9707:                             ;   in Loop: Header=BB6_9212 Depth=3
	v_mov_b32_e32 v2, 0
	v_mov_b32_e32 v1, 0
	s_and_saveexec_b64 s[48:49], s[40:41]
	s_cbranch_execz .LBB6_9713
; %bb.9708:                             ;   in Loop: Header=BB6_9212 Depth=3
	v_cmp_ne_u16_e32 vcc, s82, v0
	v_bfrev_b32_e32 v1, 1
	s_and_saveexec_b64 s[40:41], vcc
	s_cbranch_execz .LBB6_9712
; %bb.9709:                             ;   in Loop: Header=BB6_9212 Depth=3
	v_and_b32_e32 v19, 0x7f, v24
	v_cmp_ne_u32_e32 vcc, s83, v19
	v_mov_b32_e32 v1, 0x7f800001
	s_and_saveexec_b64 s[50:51], vcc
	s_cbranch_execz .LBB6_9711
; %bb.9710:                             ;   in Loop: Header=BB6_9212 Depth=3
	v_and_b32_e32 v26, 7, v0
	v_ffbh_u32_e32 v1, v26
	v_lshrrev_b32_e32 v27, 3, v19
	v_cmp_gt_u32_e32 vcc, 8, v19
	v_min_u32_e32 v19, 32, v1
	v_subrev_u32_e32 v1, 28, v19
	v_lshlrev_b64 v[0:1], v1, v[0:1]
	v_sub_u32_e32 v1, 29, v19
	v_and_b32_e32 v0, 7, v0
	v_cndmask_b32_e32 v1, v27, v1, vcc
	v_cndmask_b32_e32 v0, v26, v0, vcc
	v_lshlrev_b32_e32 v19, 24, v24
	v_bfrev_b32_e32 v24, 60
	v_lshlrev_b32_e32 v0, 20, v0
	v_and_b32_e32 v19, 0x80000000, v19
	v_lshl_add_u32 v1, v1, 23, v24
	v_or3_b32 v1, v19, v1, v0
.LBB6_9711:                             ;   in Loop: Header=BB6_9212 Depth=3
	s_or_b64 exec, exec, s[50:51]
.LBB6_9712:                             ;   in Loop: Header=BB6_9212 Depth=3
	s_or_b64 exec, exec, s[40:41]
.LBB6_9713:                             ;   in Loop: Header=BB6_9212 Depth=3
	s_or_b64 exec, exec, s[48:49]
	v_and_b32_e32 v0, 0xff, v45
	v_cmp_ne_u16_e32 vcc, 0, v0
	s_and_saveexec_b64 s[40:41], vcc
	s_cbranch_execz .LBB6_9719
; %bb.9714:                             ;   in Loop: Header=BB6_9212 Depth=3
	v_cmp_ne_u16_e32 vcc, s82, v0
	v_bfrev_b32_e32 v2, 1
	s_and_saveexec_b64 s[48:49], vcc
	s_cbranch_execz .LBB6_9718
; %bb.9715:                             ;   in Loop: Header=BB6_9212 Depth=3
	v_and_b32_e32 v19, 0x7f, v45
	v_cmp_ne_u32_e32 vcc, s83, v19
	v_mov_b32_e32 v2, 0x7f800001
	s_and_saveexec_b64 s[50:51], vcc
	s_cbranch_execz .LBB6_9717
; %bb.9716:                             ;   in Loop: Header=BB6_9212 Depth=3
	v_and_b32_e32 v2, 7, v0
	v_lshrrev_b32_e32 v24, 3, v19
	v_cmp_gt_u32_e32 vcc, 8, v19
	v_ffbh_u32_e32 v19, v2
	v_min_u32_e32 v19, 32, v19
	v_subrev_u32_e32 v26, 28, v19
	v_lshlrev_b64 v[26:27], v26, v[0:1]
	v_sub_u32_e32 v0, 29, v19
	v_and_b32_e32 v19, 7, v26
	v_cndmask_b32_e32 v0, v24, v0, vcc
	v_cndmask_b32_e32 v2, v2, v19, vcc
	v_lshlrev_b32_e32 v19, 24, v45
	v_bfrev_b32_e32 v24, 60
	v_lshlrev_b32_e32 v2, 20, v2
	v_and_b32_e32 v19, 0x80000000, v19
	v_lshl_add_u32 v0, v0, 23, v24
	v_or3_b32 v2, v19, v0, v2
.LBB6_9717:                             ;   in Loop: Header=BB6_9212 Depth=3
	s_or_b64 exec, exec, s[50:51]
.LBB6_9718:                             ;   in Loop: Header=BB6_9212 Depth=3
	s_or_b64 exec, exec, s[48:49]
.LBB6_9719:                             ;   in Loop: Header=BB6_9212 Depth=3
	s_or_b64 exec, exec, s[40:41]
	v_max_f32_e32 v0, v2, v2
	v_max_f32_e32 v1, v1, v1
	v_min_f32_e32 v1, v1, v0
.LBB6_9720:                             ;   in Loop: Header=BB6_9212 Depth=3
	v_and_b32_e32 v52, 0x7f800000, v1
	v_cmp_ne_u64_e32 vcc, s[76:77], v[52:53]
                                        ; implicit-def: $vgpr45
	s_and_saveexec_b64 s[40:41], vcc
	s_xor_b64 s[48:49], exec, s[40:41]
	s_cbranch_execz .LBB6_9738
; %bb.9721:                             ;   in Loop: Header=BB6_9212 Depth=3
	v_and_b32_e32 v52, 0x7fffffff, v1
	v_cmp_gt_u64_e32 vcc, s[78:79], v[52:53]
	v_and_b32_sdwa v19, v1, s82 dst_sel:DWORD dst_unused:UNUSED_PAD src0_sel:BYTE_3 src1_sel:DWORD
                                        ; implicit-def: $vgpr45
	s_and_saveexec_b64 s[40:41], vcc
	s_xor_b64 s[50:51], exec, s[40:41]
	s_cbranch_execz .LBB6_9735
; %bb.9722:                             ;   in Loop: Header=BB6_9212 Depth=3
	v_cmp_ne_u32_e32 vcc, 0, v1
	v_mov_b32_e32 v45, 0
	s_and_saveexec_b64 s[52:53], vcc
	s_cbranch_execz .LBB6_9734
; %bb.9723:                             ;   in Loop: Header=BB6_9212 Depth=3
	v_bfe_u32 v24, v1, 23, 8
	v_and_b32_e32 v0, 0x7fffff, v1
	v_cmp_gt_u32_e64 s[40:41], s85, v24
	v_sub_u32_e32 v1, 0x79, v24
	v_cmp_eq_u32_e32 vcc, 0, v24
	v_cndmask_b32_e64 v1, 0, v1, s[40:41]
	v_mov_b32_e32 v26, 0x78
	v_or_b32_e32 v2, 0x800000, v0
	v_cndmask_b32_e32 v26, v1, v26, vcc
	v_cndmask_b32_e32 v52, v2, v0, vcc
	v_add_u32_e32 v0, 20, v26
	v_lshlrev_b64 v[0:1], v0, -1
	v_add_u32_e32 v2, 19, v26
	v_lshlrev_b64 v[29:30], v2, 1
	v_bfi_b32 v1, v1, 0, 0
	v_bfi_b32 v0, v0, 0, v52
	v_cmp_eq_u64_e64 s[40:41], v[0:1], v[29:30]
	v_lshrrev_b64 v[0:1], v26, v[52:53]
	v_mov_b32_e32 v2, v1
	v_mov_b32_e32 v1, v0
	s_and_saveexec_b64 s[54:55], s[40:41]
; %bb.9724:                             ;   in Loop: Header=BB6_9212 Depth=3
	v_bfe_u32 v1, v0, 20, 1
	v_add_co_u32_e64 v1, s[40:41], v0, v1
	v_add_co_u32_e64 v1, s[40:41], -1, v1
; %bb.9725:                             ;   in Loop: Header=BB6_9212 Depth=3
	s_or_b64 exec, exec, s[54:55]
	v_add_u32_e32 v2, 0xffffff81, v24
	v_mov_b32_e32 v24, 0xffffff82
	v_cndmask_b32_e32 v2, v2, v24, vcc
	v_lshrrev_b32_e32 v24, 23, v0
	v_add3_u32 v26, v26, v2, v24
	v_add_u32_e32 v24, 6, v26
	v_and_b32_e32 v1, 0xfffff, v1
	v_add_u32_e32 v52, v1, v0
	v_cmp_ne_u32_e32 vcc, 0, v24
                                        ; implicit-def: $vgpr0_vgpr1
                                        ; implicit-def: $vgpr2
	s_and_saveexec_b64 s[40:41], vcc
	s_xor_b64 s[40:41], exec, s[40:41]
; %bb.9726:                             ;   in Loop: Header=BB6_9212 Depth=3
	v_cmp_lt_u64_e32 vcc, s[88:89], v[52:53]
	v_add_u32_e32 v0, 7, v26
	v_cndmask_b32_e32 v2, v24, v0, vcc
	v_cndmask_b32_e64 v0, 0, 1, vcc
	v_lshrrev_b64 v[0:1], v0, v[52:53]
; %bb.9727:                             ;   in Loop: Header=BB6_9212 Depth=3
	s_andn2_saveexec_b64 s[40:41], s[40:41]
; %bb.9728:                             ;   in Loop: Header=BB6_9212 Depth=3
	v_mov_b32_e32 v0, v52
	v_mov_b32_e32 v1, v53
	v_bfe_u32 v2, v52, 23, 1
; %bb.9729:                             ;   in Loop: Header=BB6_9212 Depth=3
	s_or_b64 exec, exec, s[40:41]
	v_lshrrev_b64 v[0:1], 20, v[0:1]
	v_cmp_gt_i32_e32 vcc, 16, v2
	v_cndmask_b32_e32 v1, 0, v1, vcc
	v_cndmask_b32_e32 v0, 7, v0, vcc
	v_cmp_ne_u64_e32 vcc, 0, v[0:1]
	v_cmp_ne_u32_e64 s[40:41], 0, v2
	s_or_b64 s[40:41], s[40:41], vcc
                                        ; implicit-def: $vgpr45
	s_and_saveexec_b64 vcc, s[40:41]
	s_xor_b64 s[40:41], exec, vcc
; %bb.9730:                             ;   in Loop: Header=BB6_9212 Depth=3
	v_min_i32_e32 v1, 15, v2
	v_lshl_or_b32 v1, v1, 3, v19
	v_and_or_b32 v45, v0, 7, v1
                                        ; implicit-def: $vgpr19
; %bb.9731:                             ;   in Loop: Header=BB6_9212 Depth=3
	s_andn2_saveexec_b64 s[40:41], s[40:41]
; %bb.9732:                             ;   in Loop: Header=BB6_9212 Depth=3
	v_mov_b32_e32 v45, v19
; %bb.9733:                             ;   in Loop: Header=BB6_9212 Depth=3
	s_or_b64 exec, exec, s[40:41]
.LBB6_9734:                             ;   in Loop: Header=BB6_9212 Depth=3
	s_or_b64 exec, exec, s[52:53]
                                        ; implicit-def: $vgpr19
.LBB6_9735:                             ;   in Loop: Header=BB6_9212 Depth=3
	s_andn2_saveexec_b64 s[40:41], s[50:51]
; %bb.9736:                             ;   in Loop: Header=BB6_9212 Depth=3
	v_or_b32_e32 v45, 0x7e, v19
; %bb.9737:                             ;   in Loop: Header=BB6_9212 Depth=3
	s_or_b64 exec, exec, s[40:41]
                                        ; implicit-def: $vgpr1
.LBB6_9738:                             ;   in Loop: Header=BB6_9212 Depth=3
	s_andn2_saveexec_b64 s[40:41], s[48:49]
; %bb.9739:                             ;   in Loop: Header=BB6_9212 Depth=3
	v_or_b32_sdwa v45, v1, s83 dst_sel:DWORD dst_unused:UNUSED_PAD src0_sel:BYTE_3 src1_sel:DWORD
; %bb.9740:                             ;   in Loop: Header=BB6_9212 Depth=3
	s_or_b64 exec, exec, s[40:41]
	v_and_b32_e32 v0, 0xff, v23
	v_cmp_ne_u16_e64 s[40:41], 0, v0
	s_and_b64 vcc, exec, s[28:29]
	s_mov_b64 s[48:49], -1
                                        ; implicit-def: $vgpr1
	s_cbranch_vccnz .LBB6_9754
; %bb.9741:                             ;   in Loop: Header=BB6_9212 Depth=3
	v_mov_b32_e32 v19, 0
	v_mov_b32_e32 v2, 0
	s_and_saveexec_b64 s[48:49], s[40:41]
	s_cbranch_execz .LBB6_9747
; %bb.9742:                             ;   in Loop: Header=BB6_9212 Depth=3
	v_cmp_ne_u16_e32 vcc, s82, v0
	v_bfrev_b32_e32 v2, 1
	s_and_saveexec_b64 s[50:51], vcc
	s_cbranch_execz .LBB6_9746
; %bb.9743:                             ;   in Loop: Header=BB6_9212 Depth=3
	v_and_b32_e32 v1, 0x7f, v23
	v_cmp_ne_u32_e32 vcc, s83, v1
	v_mov_b32_e32 v2, 0x7f800001
	s_and_saveexec_b64 s[52:53], vcc
	s_cbranch_execz .LBB6_9745
; %bb.9744:                             ;   in Loop: Header=BB6_9212 Depth=3
	v_and_b32_e32 v24, 7, v0
	v_lshrrev_b32_e32 v26, 3, v1
	v_cmp_gt_u32_e32 vcc, 8, v1
	v_ffbh_u32_e32 v1, v24
	v_min_u32_e32 v27, 32, v1
	v_subrev_u32_e32 v1, 28, v27
	v_lshlrev_b64 v[1:2], v1, v[0:1]
	v_sub_u32_e32 v2, 29, v27
	v_and_b32_e32 v1, 7, v1
	v_cndmask_b32_e32 v2, v26, v2, vcc
	v_cndmask_b32_e32 v1, v24, v1, vcc
	v_lshlrev_b32_e32 v24, 24, v23
	v_bfrev_b32_e32 v26, 60
	v_lshlrev_b32_e32 v1, 20, v1
	v_and_b32_e32 v24, 0x80000000, v24
	v_lshl_add_u32 v2, v2, 23, v26
	v_or3_b32 v2, v24, v2, v1
.LBB6_9745:                             ;   in Loop: Header=BB6_9212 Depth=3
	s_or_b64 exec, exec, s[52:53]
.LBB6_9746:                             ;   in Loop: Header=BB6_9212 Depth=3
	s_or_b64 exec, exec, s[50:51]
.LBB6_9747:                             ;   in Loop: Header=BB6_9212 Depth=3
	s_or_b64 exec, exec, s[48:49]
	v_and_b32_e32 v1, 0xff, v46
	v_cmp_ne_u16_e32 vcc, 0, v1
	s_and_saveexec_b64 s[48:49], vcc
	s_cbranch_execz .LBB6_9753
; %bb.9748:                             ;   in Loop: Header=BB6_9212 Depth=3
	v_cmp_ne_u16_e32 vcc, s82, v1
	v_bfrev_b32_e32 v19, 1
	s_and_saveexec_b64 s[50:51], vcc
	s_cbranch_execz .LBB6_9752
; %bb.9749:                             ;   in Loop: Header=BB6_9212 Depth=3
	v_and_b32_e32 v24, 0x7f, v46
	v_cmp_ne_u32_e32 vcc, s83, v24
	v_mov_b32_e32 v19, 0x7f800001
	s_and_saveexec_b64 s[52:53], vcc
	s_cbranch_execz .LBB6_9751
; %bb.9750:                             ;   in Loop: Header=BB6_9212 Depth=3
	v_and_b32_e32 v19, 7, v1
	v_lshrrev_b32_e32 v29, 3, v24
	v_cmp_gt_u32_e32 vcc, 8, v24
	v_ffbh_u32_e32 v24, v19
	v_min_u32_e32 v24, 32, v24
	v_subrev_u32_e32 v26, 28, v24
	v_lshlrev_b64 v[26:27], v26, v[1:2]
	v_sub_u32_e32 v1, 29, v24
	v_and_b32_e32 v24, 7, v26
	v_cndmask_b32_e32 v1, v29, v1, vcc
	v_cndmask_b32_e32 v19, v19, v24, vcc
	v_lshlrev_b32_e32 v24, 24, v46
	v_bfrev_b32_e32 v26, 60
	v_lshlrev_b32_e32 v19, 20, v19
	v_and_b32_e32 v24, 0x80000000, v24
	v_lshl_add_u32 v1, v1, 23, v26
	v_or3_b32 v19, v24, v1, v19
.LBB6_9751:                             ;   in Loop: Header=BB6_9212 Depth=3
	s_or_b64 exec, exec, s[52:53]
.LBB6_9752:                             ;   in Loop: Header=BB6_9212 Depth=3
	s_or_b64 exec, exec, s[50:51]
.LBB6_9753:                             ;   in Loop: Header=BB6_9212 Depth=3
	s_or_b64 exec, exec, s[48:49]
	v_max_f32_e32 v1, v19, v19
	v_max_f32_e32 v2, v2, v2
	;; [unrolled: 1-line block ×3, first 2 shown]
	s_mov_b64 s[48:49], 0
.LBB6_9754:                             ;   in Loop: Header=BB6_9212 Depth=3
	s_and_b64 vcc, exec, s[48:49]
	s_cbranch_vccz .LBB6_9768
; %bb.9755:                             ;   in Loop: Header=BB6_9212 Depth=3
	v_mov_b32_e32 v2, 0
	v_mov_b32_e32 v1, 0
	s_and_saveexec_b64 s[48:49], s[40:41]
	s_cbranch_execz .LBB6_9761
; %bb.9756:                             ;   in Loop: Header=BB6_9212 Depth=3
	v_cmp_ne_u16_e32 vcc, s82, v0
	v_bfrev_b32_e32 v1, 1
	s_and_saveexec_b64 s[40:41], vcc
	s_cbranch_execz .LBB6_9760
; %bb.9757:                             ;   in Loop: Header=BB6_9212 Depth=3
	v_and_b32_e32 v19, 0x7f, v23
	v_cmp_ne_u32_e32 vcc, s83, v19
	v_mov_b32_e32 v1, 0x7f800001
	s_and_saveexec_b64 s[50:51], vcc
	s_cbranch_execz .LBB6_9759
; %bb.9758:                             ;   in Loop: Header=BB6_9212 Depth=3
	v_and_b32_e32 v24, 7, v0
	v_ffbh_u32_e32 v1, v24
	v_lshrrev_b32_e32 v26, 3, v19
	v_cmp_gt_u32_e32 vcc, 8, v19
	v_min_u32_e32 v19, 32, v1
	v_subrev_u32_e32 v1, 28, v19
	v_lshlrev_b64 v[0:1], v1, v[0:1]
	v_sub_u32_e32 v1, 29, v19
	v_and_b32_e32 v0, 7, v0
	v_cndmask_b32_e32 v1, v26, v1, vcc
	v_cndmask_b32_e32 v0, v24, v0, vcc
	v_lshlrev_b32_e32 v19, 24, v23
	v_bfrev_b32_e32 v23, 60
	v_lshlrev_b32_e32 v0, 20, v0
	v_and_b32_e32 v19, 0x80000000, v19
	v_lshl_add_u32 v1, v1, 23, v23
	v_or3_b32 v1, v19, v1, v0
.LBB6_9759:                             ;   in Loop: Header=BB6_9212 Depth=3
	s_or_b64 exec, exec, s[50:51]
.LBB6_9760:                             ;   in Loop: Header=BB6_9212 Depth=3
	s_or_b64 exec, exec, s[40:41]
.LBB6_9761:                             ;   in Loop: Header=BB6_9212 Depth=3
	s_or_b64 exec, exec, s[48:49]
	v_and_b32_e32 v0, 0xff, v46
	v_cmp_ne_u16_e32 vcc, 0, v0
	s_and_saveexec_b64 s[40:41], vcc
	s_cbranch_execz .LBB6_9767
; %bb.9762:                             ;   in Loop: Header=BB6_9212 Depth=3
	v_cmp_ne_u16_e32 vcc, s82, v0
	v_bfrev_b32_e32 v2, 1
	s_and_saveexec_b64 s[48:49], vcc
	s_cbranch_execz .LBB6_9766
; %bb.9763:                             ;   in Loop: Header=BB6_9212 Depth=3
	v_and_b32_e32 v19, 0x7f, v46
	v_cmp_ne_u32_e32 vcc, s83, v19
	v_mov_b32_e32 v2, 0x7f800001
	s_and_saveexec_b64 s[50:51], vcc
	s_cbranch_execz .LBB6_9765
; %bb.9764:                             ;   in Loop: Header=BB6_9212 Depth=3
	v_and_b32_e32 v2, 7, v0
	v_lshrrev_b32_e32 v26, 3, v19
	v_cmp_gt_u32_e32 vcc, 8, v19
	v_ffbh_u32_e32 v19, v2
	v_min_u32_e32 v19, 32, v19
	v_subrev_u32_e32 v23, 28, v19
	v_lshlrev_b64 v[23:24], v23, v[0:1]
	v_sub_u32_e32 v0, 29, v19
	v_and_b32_e32 v19, 7, v23
	v_cndmask_b32_e32 v0, v26, v0, vcc
	v_cndmask_b32_e32 v2, v2, v19, vcc
	v_lshlrev_b32_e32 v19, 24, v46
	v_bfrev_b32_e32 v23, 60
	v_lshlrev_b32_e32 v2, 20, v2
	v_and_b32_e32 v19, 0x80000000, v19
	v_lshl_add_u32 v0, v0, 23, v23
	v_or3_b32 v2, v19, v0, v2
.LBB6_9765:                             ;   in Loop: Header=BB6_9212 Depth=3
	s_or_b64 exec, exec, s[50:51]
.LBB6_9766:                             ;   in Loop: Header=BB6_9212 Depth=3
	s_or_b64 exec, exec, s[48:49]
.LBB6_9767:                             ;   in Loop: Header=BB6_9212 Depth=3
	s_or_b64 exec, exec, s[40:41]
	v_max_f32_e32 v0, v2, v2
	v_max_f32_e32 v1, v1, v1
	v_min_f32_e32 v1, v1, v0
.LBB6_9768:                             ;   in Loop: Header=BB6_9212 Depth=3
	v_and_b32_e32 v52, 0x7f800000, v1
	v_cmp_ne_u64_e32 vcc, s[76:77], v[52:53]
                                        ; implicit-def: $vgpr46
	s_and_saveexec_b64 s[40:41], vcc
	s_xor_b64 s[48:49], exec, s[40:41]
	s_cbranch_execz .LBB6_9786
; %bb.9769:                             ;   in Loop: Header=BB6_9212 Depth=3
	v_and_b32_e32 v52, 0x7fffffff, v1
	v_cmp_gt_u64_e32 vcc, s[78:79], v[52:53]
	v_and_b32_sdwa v19, v1, s82 dst_sel:DWORD dst_unused:UNUSED_PAD src0_sel:BYTE_3 src1_sel:DWORD
                                        ; implicit-def: $vgpr46
	s_and_saveexec_b64 s[40:41], vcc
	s_xor_b64 s[50:51], exec, s[40:41]
	s_cbranch_execz .LBB6_9783
; %bb.9770:                             ;   in Loop: Header=BB6_9212 Depth=3
	v_cmp_ne_u32_e32 vcc, 0, v1
	v_mov_b32_e32 v46, 0
	s_and_saveexec_b64 s[52:53], vcc
	s_cbranch_execz .LBB6_9782
; %bb.9771:                             ;   in Loop: Header=BB6_9212 Depth=3
	v_bfe_u32 v23, v1, 23, 8
	v_and_b32_e32 v0, 0x7fffff, v1
	v_cmp_gt_u32_e64 s[40:41], s85, v23
	v_sub_u32_e32 v1, 0x79, v23
	v_cmp_eq_u32_e32 vcc, 0, v23
	v_cndmask_b32_e64 v1, 0, v1, s[40:41]
	v_mov_b32_e32 v24, 0x78
	v_or_b32_e32 v2, 0x800000, v0
	v_cndmask_b32_e32 v24, v1, v24, vcc
	v_cndmask_b32_e32 v52, v2, v0, vcc
	v_add_u32_e32 v0, 20, v24
	v_lshlrev_b64 v[0:1], v0, -1
	v_add_u32_e32 v2, 19, v24
	v_lshlrev_b64 v[26:27], v2, 1
	v_bfi_b32 v1, v1, 0, 0
	v_bfi_b32 v0, v0, 0, v52
	v_cmp_eq_u64_e64 s[40:41], v[0:1], v[26:27]
	v_lshrrev_b64 v[0:1], v24, v[52:53]
	v_mov_b32_e32 v2, v1
	v_mov_b32_e32 v1, v0
	s_and_saveexec_b64 s[54:55], s[40:41]
; %bb.9772:                             ;   in Loop: Header=BB6_9212 Depth=3
	v_bfe_u32 v1, v0, 20, 1
	v_add_co_u32_e64 v1, s[40:41], v0, v1
	v_add_co_u32_e64 v1, s[40:41], -1, v1
; %bb.9773:                             ;   in Loop: Header=BB6_9212 Depth=3
	s_or_b64 exec, exec, s[54:55]
	v_add_u32_e32 v2, 0xffffff81, v23
	v_mov_b32_e32 v23, 0xffffff82
	v_cndmask_b32_e32 v2, v2, v23, vcc
	v_lshrrev_b32_e32 v23, 23, v0
	v_add3_u32 v24, v24, v2, v23
	v_add_u32_e32 v23, 6, v24
	v_and_b32_e32 v1, 0xfffff, v1
	v_add_u32_e32 v52, v1, v0
	v_cmp_ne_u32_e32 vcc, 0, v23
                                        ; implicit-def: $vgpr0_vgpr1
                                        ; implicit-def: $vgpr2
	s_and_saveexec_b64 s[40:41], vcc
	s_xor_b64 s[40:41], exec, s[40:41]
; %bb.9774:                             ;   in Loop: Header=BB6_9212 Depth=3
	v_cmp_lt_u64_e32 vcc, s[88:89], v[52:53]
	v_add_u32_e32 v0, 7, v24
	v_cndmask_b32_e32 v2, v23, v0, vcc
	v_cndmask_b32_e64 v0, 0, 1, vcc
	v_lshrrev_b64 v[0:1], v0, v[52:53]
; %bb.9775:                             ;   in Loop: Header=BB6_9212 Depth=3
	s_andn2_saveexec_b64 s[40:41], s[40:41]
; %bb.9776:                             ;   in Loop: Header=BB6_9212 Depth=3
	v_mov_b32_e32 v0, v52
	v_mov_b32_e32 v1, v53
	v_bfe_u32 v2, v52, 23, 1
; %bb.9777:                             ;   in Loop: Header=BB6_9212 Depth=3
	s_or_b64 exec, exec, s[40:41]
	v_lshrrev_b64 v[0:1], 20, v[0:1]
	v_cmp_gt_i32_e32 vcc, 16, v2
	v_cndmask_b32_e32 v1, 0, v1, vcc
	v_cndmask_b32_e32 v0, 7, v0, vcc
	v_cmp_ne_u64_e32 vcc, 0, v[0:1]
	v_cmp_ne_u32_e64 s[40:41], 0, v2
	s_or_b64 s[40:41], s[40:41], vcc
                                        ; implicit-def: $vgpr46
	s_and_saveexec_b64 vcc, s[40:41]
	s_xor_b64 s[40:41], exec, vcc
; %bb.9778:                             ;   in Loop: Header=BB6_9212 Depth=3
	v_min_i32_e32 v1, 15, v2
	v_lshl_or_b32 v1, v1, 3, v19
	v_and_or_b32 v46, v0, 7, v1
                                        ; implicit-def: $vgpr19
; %bb.9779:                             ;   in Loop: Header=BB6_9212 Depth=3
	s_andn2_saveexec_b64 s[40:41], s[40:41]
; %bb.9780:                             ;   in Loop: Header=BB6_9212 Depth=3
	v_mov_b32_e32 v46, v19
; %bb.9781:                             ;   in Loop: Header=BB6_9212 Depth=3
	s_or_b64 exec, exec, s[40:41]
.LBB6_9782:                             ;   in Loop: Header=BB6_9212 Depth=3
	s_or_b64 exec, exec, s[52:53]
                                        ; implicit-def: $vgpr19
.LBB6_9783:                             ;   in Loop: Header=BB6_9212 Depth=3
	s_andn2_saveexec_b64 s[40:41], s[50:51]
; %bb.9784:                             ;   in Loop: Header=BB6_9212 Depth=3
	v_or_b32_e32 v46, 0x7e, v19
; %bb.9785:                             ;   in Loop: Header=BB6_9212 Depth=3
	s_or_b64 exec, exec, s[40:41]
                                        ; implicit-def: $vgpr1
.LBB6_9786:                             ;   in Loop: Header=BB6_9212 Depth=3
	s_andn2_saveexec_b64 s[40:41], s[48:49]
; %bb.9787:                             ;   in Loop: Header=BB6_9212 Depth=3
	v_or_b32_sdwa v46, v1, s83 dst_sel:DWORD dst_unused:UNUSED_PAD src0_sel:BYTE_3 src1_sel:DWORD
; %bb.9788:                             ;   in Loop: Header=BB6_9212 Depth=3
	s_or_b64 exec, exec, s[40:41]
	v_and_b32_e32 v0, 0xff, v21
	v_cmp_ne_u16_e64 s[40:41], 0, v0
	s_and_b64 vcc, exec, s[28:29]
	s_mov_b64 s[48:49], -1
                                        ; implicit-def: $vgpr1
	s_cbranch_vccnz .LBB6_9802
; %bb.9789:                             ;   in Loop: Header=BB6_9212 Depth=3
	v_mov_b32_e32 v19, 0
	v_mov_b32_e32 v2, 0
	s_and_saveexec_b64 s[48:49], s[40:41]
	s_cbranch_execz .LBB6_9795
; %bb.9790:                             ;   in Loop: Header=BB6_9212 Depth=3
	v_cmp_ne_u16_e32 vcc, s82, v0
	v_bfrev_b32_e32 v2, 1
	s_and_saveexec_b64 s[50:51], vcc
	s_cbranch_execz .LBB6_9794
; %bb.9791:                             ;   in Loop: Header=BB6_9212 Depth=3
	v_and_b32_e32 v1, 0x7f, v21
	v_cmp_ne_u32_e32 vcc, s83, v1
	v_mov_b32_e32 v2, 0x7f800001
	s_and_saveexec_b64 s[52:53], vcc
	s_cbranch_execz .LBB6_9793
; %bb.9792:                             ;   in Loop: Header=BB6_9212 Depth=3
	v_and_b32_e32 v23, 7, v0
	v_lshrrev_b32_e32 v24, 3, v1
	v_cmp_gt_u32_e32 vcc, 8, v1
	v_ffbh_u32_e32 v1, v23
	v_min_u32_e32 v26, 32, v1
	v_subrev_u32_e32 v1, 28, v26
	v_lshlrev_b64 v[1:2], v1, v[0:1]
	v_sub_u32_e32 v2, 29, v26
	v_and_b32_e32 v1, 7, v1
	v_cndmask_b32_e32 v2, v24, v2, vcc
	v_cndmask_b32_e32 v1, v23, v1, vcc
	v_lshlrev_b32_e32 v23, 24, v21
	v_bfrev_b32_e32 v24, 60
	v_lshlrev_b32_e32 v1, 20, v1
	v_and_b32_e32 v23, 0x80000000, v23
	v_lshl_add_u32 v2, v2, 23, v24
	v_or3_b32 v2, v23, v2, v1
.LBB6_9793:                             ;   in Loop: Header=BB6_9212 Depth=3
	s_or_b64 exec, exec, s[52:53]
.LBB6_9794:                             ;   in Loop: Header=BB6_9212 Depth=3
	s_or_b64 exec, exec, s[50:51]
.LBB6_9795:                             ;   in Loop: Header=BB6_9212 Depth=3
	s_or_b64 exec, exec, s[48:49]
	v_and_b32_e32 v1, 0xff, v60
	v_cmp_ne_u16_e32 vcc, 0, v1
	s_and_saveexec_b64 s[48:49], vcc
	s_cbranch_execz .LBB6_9801
; %bb.9796:                             ;   in Loop: Header=BB6_9212 Depth=3
	v_cmp_ne_u16_e32 vcc, s82, v1
	v_bfrev_b32_e32 v19, 1
	s_and_saveexec_b64 s[50:51], vcc
	s_cbranch_execz .LBB6_9800
; %bb.9797:                             ;   in Loop: Header=BB6_9212 Depth=3
	v_and_b32_e32 v23, 0x7f, v60
	v_cmp_ne_u32_e32 vcc, s83, v23
	v_mov_b32_e32 v19, 0x7f800001
	s_and_saveexec_b64 s[52:53], vcc
	s_cbranch_execz .LBB6_9799
; %bb.9798:                             ;   in Loop: Header=BB6_9212 Depth=3
	v_and_b32_e32 v19, 7, v1
	v_lshrrev_b32_e32 v26, 3, v23
	v_cmp_gt_u32_e32 vcc, 8, v23
	v_ffbh_u32_e32 v23, v19
	v_min_u32_e32 v27, 32, v23
	v_subrev_u32_e32 v23, 28, v27
	v_lshlrev_b64 v[23:24], v23, v[1:2]
	v_sub_u32_e32 v1, 29, v27
	v_and_b32_e32 v23, 7, v23
	v_cndmask_b32_e32 v1, v26, v1, vcc
	v_cndmask_b32_e32 v19, v19, v23, vcc
	v_lshlrev_b32_e32 v23, 24, v60
	v_bfrev_b32_e32 v24, 60
	v_lshlrev_b32_e32 v19, 20, v19
	v_and_b32_e32 v23, 0x80000000, v23
	v_lshl_add_u32 v1, v1, 23, v24
	v_or3_b32 v19, v23, v1, v19
.LBB6_9799:                             ;   in Loop: Header=BB6_9212 Depth=3
	s_or_b64 exec, exec, s[52:53]
.LBB6_9800:                             ;   in Loop: Header=BB6_9212 Depth=3
	s_or_b64 exec, exec, s[50:51]
.LBB6_9801:                             ;   in Loop: Header=BB6_9212 Depth=3
	s_or_b64 exec, exec, s[48:49]
	v_max_f32_e32 v1, v19, v19
	v_max_f32_e32 v2, v2, v2
	;; [unrolled: 1-line block ×3, first 2 shown]
	s_mov_b64 s[48:49], 0
.LBB6_9802:                             ;   in Loop: Header=BB6_9212 Depth=3
	s_and_b64 vcc, exec, s[48:49]
	s_cbranch_vccz .LBB6_9816
; %bb.9803:                             ;   in Loop: Header=BB6_9212 Depth=3
	v_mov_b32_e32 v2, 0
	v_mov_b32_e32 v1, 0
	s_and_saveexec_b64 s[48:49], s[40:41]
	s_cbranch_execz .LBB6_9809
; %bb.9804:                             ;   in Loop: Header=BB6_9212 Depth=3
	v_cmp_ne_u16_e32 vcc, s82, v0
	v_bfrev_b32_e32 v1, 1
	s_and_saveexec_b64 s[40:41], vcc
	s_cbranch_execz .LBB6_9808
; %bb.9805:                             ;   in Loop: Header=BB6_9212 Depth=3
	v_and_b32_e32 v19, 0x7f, v21
	v_cmp_ne_u32_e32 vcc, s83, v19
	v_mov_b32_e32 v1, 0x7f800001
	s_and_saveexec_b64 s[50:51], vcc
	s_cbranch_execz .LBB6_9807
; %bb.9806:                             ;   in Loop: Header=BB6_9212 Depth=3
	v_and_b32_e32 v23, 7, v0
	v_ffbh_u32_e32 v1, v23
	v_lshrrev_b32_e32 v24, 3, v19
	v_cmp_gt_u32_e32 vcc, 8, v19
	v_min_u32_e32 v19, 32, v1
	v_subrev_u32_e32 v1, 28, v19
	v_lshlrev_b64 v[0:1], v1, v[0:1]
	v_sub_u32_e32 v1, 29, v19
	v_and_b32_e32 v0, 7, v0
	v_cndmask_b32_e32 v1, v24, v1, vcc
	v_cndmask_b32_e32 v0, v23, v0, vcc
	v_lshlrev_b32_e32 v19, 24, v21
	v_bfrev_b32_e32 v21, 60
	v_lshlrev_b32_e32 v0, 20, v0
	v_and_b32_e32 v19, 0x80000000, v19
	v_lshl_add_u32 v1, v1, 23, v21
	v_or3_b32 v1, v19, v1, v0
.LBB6_9807:                             ;   in Loop: Header=BB6_9212 Depth=3
	s_or_b64 exec, exec, s[50:51]
.LBB6_9808:                             ;   in Loop: Header=BB6_9212 Depth=3
	s_or_b64 exec, exec, s[40:41]
.LBB6_9809:                             ;   in Loop: Header=BB6_9212 Depth=3
	s_or_b64 exec, exec, s[48:49]
	v_and_b32_e32 v0, 0xff, v60
	v_cmp_ne_u16_e32 vcc, 0, v0
	s_and_saveexec_b64 s[40:41], vcc
	s_cbranch_execz .LBB6_9815
; %bb.9810:                             ;   in Loop: Header=BB6_9212 Depth=3
	v_cmp_ne_u16_e32 vcc, s82, v0
	v_bfrev_b32_e32 v2, 1
	s_and_saveexec_b64 s[48:49], vcc
	s_cbranch_execz .LBB6_9814
; %bb.9811:                             ;   in Loop: Header=BB6_9212 Depth=3
	v_and_b32_e32 v19, 0x7f, v60
	v_cmp_ne_u32_e32 vcc, s83, v19
	v_mov_b32_e32 v2, 0x7f800001
	s_and_saveexec_b64 s[50:51], vcc
	s_cbranch_execz .LBB6_9813
; %bb.9812:                             ;   in Loop: Header=BB6_9212 Depth=3
	v_and_b32_e32 v2, 7, v0
	v_lshrrev_b32_e32 v21, 3, v19
	v_cmp_gt_u32_e32 vcc, 8, v19
	v_ffbh_u32_e32 v19, v2
	v_min_u32_e32 v19, 32, v19
	v_subrev_u32_e32 v23, 28, v19
	v_lshlrev_b64 v[23:24], v23, v[0:1]
	v_sub_u32_e32 v0, 29, v19
	v_and_b32_e32 v19, 7, v23
	v_cndmask_b32_e32 v0, v21, v0, vcc
	v_cndmask_b32_e32 v2, v2, v19, vcc
	v_lshlrev_b32_e32 v19, 24, v60
	v_bfrev_b32_e32 v21, 60
	v_lshlrev_b32_e32 v2, 20, v2
	v_and_b32_e32 v19, 0x80000000, v19
	v_lshl_add_u32 v0, v0, 23, v21
	v_or3_b32 v2, v19, v0, v2
.LBB6_9813:                             ;   in Loop: Header=BB6_9212 Depth=3
	s_or_b64 exec, exec, s[50:51]
.LBB6_9814:                             ;   in Loop: Header=BB6_9212 Depth=3
	s_or_b64 exec, exec, s[48:49]
.LBB6_9815:                             ;   in Loop: Header=BB6_9212 Depth=3
	s_or_b64 exec, exec, s[40:41]
	v_max_f32_e32 v0, v2, v2
	v_max_f32_e32 v1, v1, v1
	v_min_f32_e32 v1, v1, v0
.LBB6_9816:                             ;   in Loop: Header=BB6_9212 Depth=3
	v_and_b32_e32 v52, 0x7f800000, v1
	v_cmp_ne_u64_e32 vcc, s[76:77], v[52:53]
                                        ; implicit-def: $vgpr60
	s_and_saveexec_b64 s[40:41], vcc
	s_xor_b64 s[48:49], exec, s[40:41]
	s_cbranch_execz .LBB6_9834
; %bb.9817:                             ;   in Loop: Header=BB6_9212 Depth=3
	v_and_b32_e32 v52, 0x7fffffff, v1
	v_cmp_gt_u64_e32 vcc, s[78:79], v[52:53]
	v_and_b32_sdwa v19, v1, s82 dst_sel:DWORD dst_unused:UNUSED_PAD src0_sel:BYTE_3 src1_sel:DWORD
                                        ; implicit-def: $vgpr60
	s_and_saveexec_b64 s[40:41], vcc
	s_xor_b64 s[50:51], exec, s[40:41]
	s_cbranch_execz .LBB6_9831
; %bb.9818:                             ;   in Loop: Header=BB6_9212 Depth=3
	v_cmp_ne_u32_e32 vcc, 0, v1
	v_mov_b32_e32 v60, 0
	s_and_saveexec_b64 s[52:53], vcc
	s_cbranch_execz .LBB6_9830
; %bb.9819:                             ;   in Loop: Header=BB6_9212 Depth=3
	v_bfe_u32 v21, v1, 23, 8
	v_and_b32_e32 v0, 0x7fffff, v1
	v_cmp_gt_u32_e64 s[40:41], s85, v21
	v_sub_u32_e32 v1, 0x79, v21
	v_cmp_eq_u32_e32 vcc, 0, v21
	v_cndmask_b32_e64 v1, 0, v1, s[40:41]
	v_mov_b32_e32 v23, 0x78
	v_or_b32_e32 v2, 0x800000, v0
	v_cndmask_b32_e32 v23, v1, v23, vcc
	v_cndmask_b32_e32 v52, v2, v0, vcc
	v_add_u32_e32 v0, 20, v23
	v_lshlrev_b64 v[0:1], v0, -1
	v_add_u32_e32 v2, 19, v23
	v_lshlrev_b64 v[26:27], v2, 1
	v_bfi_b32 v1, v1, 0, 0
	v_bfi_b32 v0, v0, 0, v52
	v_cmp_eq_u64_e64 s[40:41], v[0:1], v[26:27]
	v_lshrrev_b64 v[0:1], v23, v[52:53]
	v_mov_b32_e32 v2, v1
	v_mov_b32_e32 v1, v0
	s_and_saveexec_b64 s[54:55], s[40:41]
; %bb.9820:                             ;   in Loop: Header=BB6_9212 Depth=3
	v_bfe_u32 v1, v0, 20, 1
	v_add_co_u32_e64 v1, s[40:41], v0, v1
	v_add_co_u32_e64 v1, s[40:41], -1, v1
; %bb.9821:                             ;   in Loop: Header=BB6_9212 Depth=3
	s_or_b64 exec, exec, s[54:55]
	v_add_u32_e32 v2, 0xffffff81, v21
	v_mov_b32_e32 v21, 0xffffff82
	v_cndmask_b32_e32 v2, v2, v21, vcc
	v_lshrrev_b32_e32 v21, 23, v0
	v_add3_u32 v23, v23, v2, v21
	v_add_u32_e32 v21, 6, v23
	v_and_b32_e32 v1, 0xfffff, v1
	v_add_u32_e32 v52, v1, v0
	v_cmp_ne_u32_e32 vcc, 0, v21
                                        ; implicit-def: $vgpr0_vgpr1
                                        ; implicit-def: $vgpr2
	s_and_saveexec_b64 s[40:41], vcc
	s_xor_b64 s[40:41], exec, s[40:41]
; %bb.9822:                             ;   in Loop: Header=BB6_9212 Depth=3
	v_cmp_lt_u64_e32 vcc, s[88:89], v[52:53]
	v_add_u32_e32 v0, 7, v23
	v_cndmask_b32_e32 v2, v21, v0, vcc
	v_cndmask_b32_e64 v0, 0, 1, vcc
	v_lshrrev_b64 v[0:1], v0, v[52:53]
; %bb.9823:                             ;   in Loop: Header=BB6_9212 Depth=3
	s_andn2_saveexec_b64 s[40:41], s[40:41]
; %bb.9824:                             ;   in Loop: Header=BB6_9212 Depth=3
	v_mov_b32_e32 v0, v52
	v_mov_b32_e32 v1, v53
	v_bfe_u32 v2, v52, 23, 1
; %bb.9825:                             ;   in Loop: Header=BB6_9212 Depth=3
	s_or_b64 exec, exec, s[40:41]
	v_lshrrev_b64 v[0:1], 20, v[0:1]
	v_cmp_gt_i32_e32 vcc, 16, v2
	v_cndmask_b32_e32 v1, 0, v1, vcc
	v_cndmask_b32_e32 v0, 7, v0, vcc
	v_cmp_ne_u64_e32 vcc, 0, v[0:1]
	v_cmp_ne_u32_e64 s[40:41], 0, v2
	s_or_b64 s[40:41], s[40:41], vcc
                                        ; implicit-def: $vgpr60
	s_and_saveexec_b64 vcc, s[40:41]
	s_xor_b64 s[40:41], exec, vcc
; %bb.9826:                             ;   in Loop: Header=BB6_9212 Depth=3
	v_min_i32_e32 v1, 15, v2
	v_lshl_or_b32 v1, v1, 3, v19
	v_and_or_b32 v60, v0, 7, v1
                                        ; implicit-def: $vgpr19
; %bb.9827:                             ;   in Loop: Header=BB6_9212 Depth=3
	s_andn2_saveexec_b64 s[40:41], s[40:41]
; %bb.9828:                             ;   in Loop: Header=BB6_9212 Depth=3
	v_mov_b32_e32 v60, v19
; %bb.9829:                             ;   in Loop: Header=BB6_9212 Depth=3
	s_or_b64 exec, exec, s[40:41]
.LBB6_9830:                             ;   in Loop: Header=BB6_9212 Depth=3
	s_or_b64 exec, exec, s[52:53]
                                        ; implicit-def: $vgpr19
.LBB6_9831:                             ;   in Loop: Header=BB6_9212 Depth=3
	s_andn2_saveexec_b64 s[40:41], s[50:51]
; %bb.9832:                             ;   in Loop: Header=BB6_9212 Depth=3
	v_or_b32_e32 v60, 0x7e, v19
; %bb.9833:                             ;   in Loop: Header=BB6_9212 Depth=3
	s_or_b64 exec, exec, s[40:41]
                                        ; implicit-def: $vgpr1
.LBB6_9834:                             ;   in Loop: Header=BB6_9212 Depth=3
	s_andn2_saveexec_b64 s[40:41], s[48:49]
; %bb.9835:                             ;   in Loop: Header=BB6_9212 Depth=3
	v_or_b32_sdwa v60, v1, s83 dst_sel:DWORD dst_unused:UNUSED_PAD src0_sel:BYTE_3 src1_sel:DWORD
; %bb.9836:                             ;   in Loop: Header=BB6_9212 Depth=3
	s_or_b64 exec, exec, s[40:41]
	v_and_b32_e32 v0, 0xff, v20
	v_cmp_ne_u16_e64 s[40:41], 0, v0
	s_and_b64 vcc, exec, s[28:29]
	s_mov_b64 s[48:49], -1
                                        ; implicit-def: $vgpr1
	s_cbranch_vccnz .LBB6_9850
; %bb.9837:                             ;   in Loop: Header=BB6_9212 Depth=3
	v_mov_b32_e32 v19, 0
	v_mov_b32_e32 v2, 0
	s_and_saveexec_b64 s[48:49], s[40:41]
	s_cbranch_execz .LBB6_9843
; %bb.9838:                             ;   in Loop: Header=BB6_9212 Depth=3
	v_cmp_ne_u16_e32 vcc, s82, v0
	v_bfrev_b32_e32 v2, 1
	s_and_saveexec_b64 s[50:51], vcc
	s_cbranch_execz .LBB6_9842
; %bb.9839:                             ;   in Loop: Header=BB6_9212 Depth=3
	v_and_b32_e32 v1, 0x7f, v20
	v_cmp_ne_u32_e32 vcc, s83, v1
	v_mov_b32_e32 v2, 0x7f800001
	s_and_saveexec_b64 s[52:53], vcc
	s_cbranch_execz .LBB6_9841
; %bb.9840:                             ;   in Loop: Header=BB6_9212 Depth=3
	v_and_b32_e32 v21, 7, v0
	v_lshrrev_b32_e32 v23, 3, v1
	v_cmp_gt_u32_e32 vcc, 8, v1
	v_ffbh_u32_e32 v1, v21
	v_min_u32_e32 v24, 32, v1
	v_subrev_u32_e32 v1, 28, v24
	v_lshlrev_b64 v[1:2], v1, v[0:1]
	v_sub_u32_e32 v2, 29, v24
	v_and_b32_e32 v1, 7, v1
	v_cndmask_b32_e32 v2, v23, v2, vcc
	v_cndmask_b32_e32 v1, v21, v1, vcc
	v_lshlrev_b32_e32 v21, 24, v20
	v_bfrev_b32_e32 v23, 60
	v_lshlrev_b32_e32 v1, 20, v1
	v_and_b32_e32 v21, 0x80000000, v21
	v_lshl_add_u32 v2, v2, 23, v23
	v_or3_b32 v2, v21, v2, v1
.LBB6_9841:                             ;   in Loop: Header=BB6_9212 Depth=3
	s_or_b64 exec, exec, s[52:53]
.LBB6_9842:                             ;   in Loop: Header=BB6_9212 Depth=3
	s_or_b64 exec, exec, s[50:51]
.LBB6_9843:                             ;   in Loop: Header=BB6_9212 Depth=3
	s_or_b64 exec, exec, s[48:49]
	v_and_b32_e32 v1, 0xff, v16
	v_cmp_ne_u16_e32 vcc, 0, v1
	s_and_saveexec_b64 s[48:49], vcc
	s_cbranch_execz .LBB6_9849
; %bb.9844:                             ;   in Loop: Header=BB6_9212 Depth=3
	v_cmp_ne_u16_e32 vcc, s82, v1
	v_bfrev_b32_e32 v19, 1
	s_and_saveexec_b64 s[50:51], vcc
	s_cbranch_execz .LBB6_9848
; %bb.9845:                             ;   in Loop: Header=BB6_9212 Depth=3
	v_and_b32_e32 v21, 0x7f, v16
	v_cmp_ne_u32_e32 vcc, s83, v21
	v_mov_b32_e32 v19, 0x7f800001
	s_and_saveexec_b64 s[52:53], vcc
	s_cbranch_execz .LBB6_9847
; %bb.9846:                             ;   in Loop: Header=BB6_9212 Depth=3
	v_and_b32_e32 v19, 7, v1
	v_lshrrev_b32_e32 v26, 3, v21
	v_cmp_gt_u32_e32 vcc, 8, v21
	v_ffbh_u32_e32 v21, v19
	v_min_u32_e32 v21, 32, v21
	v_subrev_u32_e32 v23, 28, v21
	v_lshlrev_b64 v[23:24], v23, v[1:2]
	v_sub_u32_e32 v1, 29, v21
	v_and_b32_e32 v21, 7, v23
	v_cndmask_b32_e32 v1, v26, v1, vcc
	v_cndmask_b32_e32 v19, v19, v21, vcc
	v_lshlrev_b32_e32 v21, 24, v16
	v_bfrev_b32_e32 v23, 60
	v_lshlrev_b32_e32 v19, 20, v19
	v_and_b32_e32 v21, 0x80000000, v21
	v_lshl_add_u32 v1, v1, 23, v23
	v_or3_b32 v19, v21, v1, v19
.LBB6_9847:                             ;   in Loop: Header=BB6_9212 Depth=3
	s_or_b64 exec, exec, s[52:53]
.LBB6_9848:                             ;   in Loop: Header=BB6_9212 Depth=3
	s_or_b64 exec, exec, s[50:51]
.LBB6_9849:                             ;   in Loop: Header=BB6_9212 Depth=3
	s_or_b64 exec, exec, s[48:49]
	v_max_f32_e32 v1, v19, v19
	v_max_f32_e32 v2, v2, v2
	;; [unrolled: 1-line block ×3, first 2 shown]
	s_mov_b64 s[48:49], 0
.LBB6_9850:                             ;   in Loop: Header=BB6_9212 Depth=3
	s_and_b64 vcc, exec, s[48:49]
	s_cbranch_vccz .LBB6_9864
; %bb.9851:                             ;   in Loop: Header=BB6_9212 Depth=3
	v_mov_b32_e32 v2, 0
	v_mov_b32_e32 v1, 0
	s_and_saveexec_b64 s[48:49], s[40:41]
	s_cbranch_execz .LBB6_9857
; %bb.9852:                             ;   in Loop: Header=BB6_9212 Depth=3
	v_cmp_ne_u16_e32 vcc, s82, v0
	v_bfrev_b32_e32 v1, 1
	s_and_saveexec_b64 s[40:41], vcc
	s_cbranch_execz .LBB6_9856
; %bb.9853:                             ;   in Loop: Header=BB6_9212 Depth=3
	v_and_b32_e32 v19, 0x7f, v20
	v_cmp_ne_u32_e32 vcc, s83, v19
	v_mov_b32_e32 v1, 0x7f800001
	s_and_saveexec_b64 s[50:51], vcc
	s_cbranch_execz .LBB6_9855
; %bb.9854:                             ;   in Loop: Header=BB6_9212 Depth=3
	v_and_b32_e32 v21, 7, v0
	v_ffbh_u32_e32 v1, v21
	v_lshrrev_b32_e32 v23, 3, v19
	v_cmp_gt_u32_e32 vcc, 8, v19
	v_min_u32_e32 v19, 32, v1
	v_subrev_u32_e32 v1, 28, v19
	v_lshlrev_b64 v[0:1], v1, v[0:1]
	v_sub_u32_e32 v1, 29, v19
	v_and_b32_e32 v0, 7, v0
	v_cndmask_b32_e32 v1, v23, v1, vcc
	v_cndmask_b32_e32 v0, v21, v0, vcc
	v_lshlrev_b32_e32 v19, 24, v20
	v_bfrev_b32_e32 v20, 60
	v_lshlrev_b32_e32 v0, 20, v0
	v_and_b32_e32 v19, 0x80000000, v19
	v_lshl_add_u32 v1, v1, 23, v20
	v_or3_b32 v1, v19, v1, v0
.LBB6_9855:                             ;   in Loop: Header=BB6_9212 Depth=3
	s_or_b64 exec, exec, s[50:51]
.LBB6_9856:                             ;   in Loop: Header=BB6_9212 Depth=3
	s_or_b64 exec, exec, s[40:41]
.LBB6_9857:                             ;   in Loop: Header=BB6_9212 Depth=3
	s_or_b64 exec, exec, s[48:49]
	v_and_b32_e32 v0, 0xff, v16
	v_cmp_ne_u16_e32 vcc, 0, v0
	s_and_saveexec_b64 s[40:41], vcc
	s_cbranch_execz .LBB6_9863
; %bb.9858:                             ;   in Loop: Header=BB6_9212 Depth=3
	v_cmp_ne_u16_e32 vcc, s82, v0
	v_bfrev_b32_e32 v2, 1
	s_and_saveexec_b64 s[48:49], vcc
	s_cbranch_execz .LBB6_9862
; %bb.9859:                             ;   in Loop: Header=BB6_9212 Depth=3
	v_and_b32_e32 v19, 0x7f, v16
	v_cmp_ne_u32_e32 vcc, s83, v19
	v_mov_b32_e32 v2, 0x7f800001
	s_and_saveexec_b64 s[50:51], vcc
	s_cbranch_execz .LBB6_9861
; %bb.9860:                             ;   in Loop: Header=BB6_9212 Depth=3
	v_and_b32_e32 v2, 7, v0
	v_lshrrev_b32_e32 v21, 3, v19
	v_cmp_gt_u32_e32 vcc, 8, v19
	v_ffbh_u32_e32 v19, v2
	v_min_u32_e32 v23, 32, v19
	v_subrev_u32_e32 v19, 28, v23
	v_lshlrev_b64 v[19:20], v19, v[0:1]
	v_sub_u32_e32 v0, 29, v23
	v_and_b32_e32 v19, 7, v19
	v_cndmask_b32_e32 v0, v21, v0, vcc
	v_cndmask_b32_e32 v2, v2, v19, vcc
	v_lshlrev_b32_e32 v16, 24, v16
	v_bfrev_b32_e32 v19, 60
	v_lshlrev_b32_e32 v2, 20, v2
	v_and_b32_e32 v16, 0x80000000, v16
	v_lshl_add_u32 v0, v0, 23, v19
	v_or3_b32 v2, v16, v0, v2
.LBB6_9861:                             ;   in Loop: Header=BB6_9212 Depth=3
	s_or_b64 exec, exec, s[50:51]
.LBB6_9862:                             ;   in Loop: Header=BB6_9212 Depth=3
	s_or_b64 exec, exec, s[48:49]
.LBB6_9863:                             ;   in Loop: Header=BB6_9212 Depth=3
	s_or_b64 exec, exec, s[40:41]
	v_max_f32_e32 v0, v2, v2
	v_max_f32_e32 v1, v1, v1
	v_min_f32_e32 v1, v1, v0
.LBB6_9864:                             ;   in Loop: Header=BB6_9212 Depth=3
	v_and_b32_e32 v52, 0x7f800000, v1
	v_cmp_ne_u64_e32 vcc, s[76:77], v[52:53]
                                        ; implicit-def: $vgpr16
	s_and_saveexec_b64 s[40:41], vcc
	s_xor_b64 s[48:49], exec, s[40:41]
	s_cbranch_execz .LBB6_9882
; %bb.9865:                             ;   in Loop: Header=BB6_9212 Depth=3
	v_and_b32_e32 v52, 0x7fffffff, v1
	v_cmp_gt_u64_e32 vcc, s[78:79], v[52:53]
	v_and_b32_sdwa v19, v1, s82 dst_sel:DWORD dst_unused:UNUSED_PAD src0_sel:BYTE_3 src1_sel:DWORD
                                        ; implicit-def: $vgpr16
	s_and_saveexec_b64 s[40:41], vcc
	s_xor_b64 s[50:51], exec, s[40:41]
	s_cbranch_execz .LBB6_9879
; %bb.9866:                             ;   in Loop: Header=BB6_9212 Depth=3
	v_cmp_ne_u32_e32 vcc, 0, v1
	v_mov_b32_e32 v16, 0
	s_and_saveexec_b64 s[52:53], vcc
	s_cbranch_execz .LBB6_9878
; %bb.9867:                             ;   in Loop: Header=BB6_9212 Depth=3
	v_bfe_u32 v16, v1, 23, 8
	v_and_b32_e32 v0, 0x7fffff, v1
	v_cmp_gt_u32_e64 s[40:41], s85, v16
	v_sub_u32_e32 v1, 0x79, v16
	v_cmp_eq_u32_e32 vcc, 0, v16
	v_cndmask_b32_e64 v1, 0, v1, s[40:41]
	v_mov_b32_e32 v20, 0x78
	v_or_b32_e32 v2, 0x800000, v0
	v_cndmask_b32_e32 v20, v1, v20, vcc
	v_cndmask_b32_e32 v52, v2, v0, vcc
	v_add_u32_e32 v0, 20, v20
	v_lshlrev_b64 v[0:1], v0, -1
	v_add_u32_e32 v2, 19, v20
	v_lshlrev_b64 v[23:24], v2, 1
	v_bfi_b32 v1, v1, 0, 0
	v_bfi_b32 v0, v0, 0, v52
	v_cmp_eq_u64_e64 s[40:41], v[0:1], v[23:24]
	v_lshrrev_b64 v[0:1], v20, v[52:53]
	v_mov_b32_e32 v2, v1
	v_mov_b32_e32 v1, v0
	s_and_saveexec_b64 s[54:55], s[40:41]
; %bb.9868:                             ;   in Loop: Header=BB6_9212 Depth=3
	v_bfe_u32 v1, v0, 20, 1
	v_add_co_u32_e64 v1, s[40:41], v0, v1
	v_add_co_u32_e64 v1, s[40:41], -1, v1
; %bb.9869:                             ;   in Loop: Header=BB6_9212 Depth=3
	s_or_b64 exec, exec, s[54:55]
	v_add_u32_e32 v2, 0xffffff81, v16
	v_mov_b32_e32 v16, 0xffffff82
	v_cndmask_b32_e32 v2, v2, v16, vcc
	v_lshrrev_b32_e32 v16, 23, v0
	v_add3_u32 v20, v20, v2, v16
	v_add_u32_e32 v16, 6, v20
	v_and_b32_e32 v1, 0xfffff, v1
	v_add_u32_e32 v52, v1, v0
	v_cmp_ne_u32_e32 vcc, 0, v16
                                        ; implicit-def: $vgpr0_vgpr1
                                        ; implicit-def: $vgpr2
	s_and_saveexec_b64 s[40:41], vcc
	s_xor_b64 s[40:41], exec, s[40:41]
; %bb.9870:                             ;   in Loop: Header=BB6_9212 Depth=3
	v_cmp_lt_u64_e32 vcc, s[88:89], v[52:53]
	v_add_u32_e32 v0, 7, v20
	v_cndmask_b32_e32 v2, v16, v0, vcc
	v_cndmask_b32_e64 v0, 0, 1, vcc
	v_lshrrev_b64 v[0:1], v0, v[52:53]
; %bb.9871:                             ;   in Loop: Header=BB6_9212 Depth=3
	s_andn2_saveexec_b64 s[40:41], s[40:41]
; %bb.9872:                             ;   in Loop: Header=BB6_9212 Depth=3
	v_mov_b32_e32 v0, v52
	v_mov_b32_e32 v1, v53
	v_bfe_u32 v2, v52, 23, 1
; %bb.9873:                             ;   in Loop: Header=BB6_9212 Depth=3
	s_or_b64 exec, exec, s[40:41]
	v_lshrrev_b64 v[0:1], 20, v[0:1]
	v_cmp_gt_i32_e32 vcc, 16, v2
	v_cndmask_b32_e32 v1, 0, v1, vcc
	v_cndmask_b32_e32 v0, 7, v0, vcc
	v_cmp_ne_u64_e32 vcc, 0, v[0:1]
	v_cmp_ne_u32_e64 s[40:41], 0, v2
	s_or_b64 s[40:41], s[40:41], vcc
                                        ; implicit-def: $vgpr16
	s_and_saveexec_b64 vcc, s[40:41]
	s_xor_b64 s[40:41], exec, vcc
; %bb.9874:                             ;   in Loop: Header=BB6_9212 Depth=3
	v_min_i32_e32 v1, 15, v2
	v_lshl_or_b32 v1, v1, 3, v19
	v_and_or_b32 v16, v0, 7, v1
                                        ; implicit-def: $vgpr19
; %bb.9875:                             ;   in Loop: Header=BB6_9212 Depth=3
	s_andn2_saveexec_b64 s[40:41], s[40:41]
; %bb.9876:                             ;   in Loop: Header=BB6_9212 Depth=3
	v_mov_b32_e32 v16, v19
; %bb.9877:                             ;   in Loop: Header=BB6_9212 Depth=3
	s_or_b64 exec, exec, s[40:41]
.LBB6_9878:                             ;   in Loop: Header=BB6_9212 Depth=3
	s_or_b64 exec, exec, s[52:53]
                                        ; implicit-def: $vgpr19
.LBB6_9879:                             ;   in Loop: Header=BB6_9212 Depth=3
	s_andn2_saveexec_b64 s[40:41], s[50:51]
; %bb.9880:                             ;   in Loop: Header=BB6_9212 Depth=3
	v_or_b32_e32 v16, 0x7e, v19
; %bb.9881:                             ;   in Loop: Header=BB6_9212 Depth=3
	s_or_b64 exec, exec, s[40:41]
                                        ; implicit-def: $vgpr1
.LBB6_9882:                             ;   in Loop: Header=BB6_9212 Depth=3
	s_andn2_saveexec_b64 s[40:41], s[48:49]
; %bb.9883:                             ;   in Loop: Header=BB6_9212 Depth=3
	v_or_b32_sdwa v16, v1, s83 dst_sel:DWORD dst_unused:UNUSED_PAD src0_sel:BYTE_3 src1_sel:DWORD
; %bb.9884:                             ;   in Loop: Header=BB6_9212 Depth=3
	s_or_b64 exec, exec, s[40:41]
	v_and_b32_e32 v0, 0xff, v57
	v_cmp_ne_u16_e64 s[40:41], 0, v0
	s_and_b64 vcc, exec, s[28:29]
	s_mov_b64 s[48:49], -1
                                        ; implicit-def: $vgpr1
	s_cbranch_vccnz .LBB6_9898
; %bb.9885:                             ;   in Loop: Header=BB6_9212 Depth=3
	v_mov_b32_e32 v19, 0
	v_mov_b32_e32 v2, 0
	s_and_saveexec_b64 s[48:49], s[40:41]
	s_cbranch_execz .LBB6_9891
; %bb.9886:                             ;   in Loop: Header=BB6_9212 Depth=3
	v_cmp_ne_u16_e32 vcc, s82, v0
	v_bfrev_b32_e32 v2, 1
	s_and_saveexec_b64 s[50:51], vcc
	s_cbranch_execz .LBB6_9890
; %bb.9887:                             ;   in Loop: Header=BB6_9212 Depth=3
	v_and_b32_e32 v1, 0x7f, v57
	v_cmp_ne_u32_e32 vcc, s83, v1
	v_mov_b32_e32 v2, 0x7f800001
	s_and_saveexec_b64 s[52:53], vcc
	s_cbranch_execz .LBB6_9889
; %bb.9888:                             ;   in Loop: Header=BB6_9212 Depth=3
	v_and_b32_e32 v20, 7, v0
	v_lshrrev_b32_e32 v21, 3, v1
	v_cmp_gt_u32_e32 vcc, 8, v1
	v_ffbh_u32_e32 v1, v20
	v_min_u32_e32 v23, 32, v1
	v_subrev_u32_e32 v1, 28, v23
	v_lshlrev_b64 v[1:2], v1, v[0:1]
	v_sub_u32_e32 v2, 29, v23
	v_and_b32_e32 v1, 7, v1
	v_cndmask_b32_e32 v2, v21, v2, vcc
	v_cndmask_b32_e32 v1, v20, v1, vcc
	v_lshlrev_b32_e32 v20, 24, v57
	v_bfrev_b32_e32 v21, 60
	v_lshlrev_b32_e32 v1, 20, v1
	v_and_b32_e32 v20, 0x80000000, v20
	v_lshl_add_u32 v2, v2, 23, v21
	v_or3_b32 v2, v20, v2, v1
.LBB6_9889:                             ;   in Loop: Header=BB6_9212 Depth=3
	s_or_b64 exec, exec, s[52:53]
.LBB6_9890:                             ;   in Loop: Header=BB6_9212 Depth=3
	s_or_b64 exec, exec, s[50:51]
.LBB6_9891:                             ;   in Loop: Header=BB6_9212 Depth=3
	s_or_b64 exec, exec, s[48:49]
	v_and_b32_e32 v1, 0xff, v6
	v_cmp_ne_u16_e32 vcc, 0, v1
	s_and_saveexec_b64 s[48:49], vcc
	s_cbranch_execz .LBB6_9897
; %bb.9892:                             ;   in Loop: Header=BB6_9212 Depth=3
	v_cmp_ne_u16_e32 vcc, s82, v1
	v_bfrev_b32_e32 v19, 1
	s_and_saveexec_b64 s[50:51], vcc
	s_cbranch_execz .LBB6_9896
; %bb.9893:                             ;   in Loop: Header=BB6_9212 Depth=3
	v_and_b32_e32 v20, 0x7f, v6
	v_cmp_ne_u32_e32 vcc, s83, v20
	v_mov_b32_e32 v19, 0x7f800001
	s_and_saveexec_b64 s[52:53], vcc
	s_cbranch_execz .LBB6_9895
; %bb.9894:                             ;   in Loop: Header=BB6_9212 Depth=3
	v_and_b32_e32 v21, 7, v1
	v_ffbh_u32_e32 v19, v21
	v_min_u32_e32 v24, 32, v19
	v_subrev_u32_e32 v19, 28, v24
	v_lshrrev_b32_e32 v23, 3, v20
	v_cmp_gt_u32_e32 vcc, 8, v20
	v_lshlrev_b64 v[19:20], v19, v[1:2]
	v_sub_u32_e32 v1, 29, v24
	v_and_b32_e32 v19, 7, v19
	v_cndmask_b32_e32 v1, v23, v1, vcc
	v_cndmask_b32_e32 v19, v21, v19, vcc
	v_lshlrev_b32_e32 v20, 24, v6
	v_bfrev_b32_e32 v21, 60
	v_lshlrev_b32_e32 v19, 20, v19
	v_and_b32_e32 v20, 0x80000000, v20
	v_lshl_add_u32 v1, v1, 23, v21
	v_or3_b32 v19, v20, v1, v19
.LBB6_9895:                             ;   in Loop: Header=BB6_9212 Depth=3
	s_or_b64 exec, exec, s[52:53]
.LBB6_9896:                             ;   in Loop: Header=BB6_9212 Depth=3
	s_or_b64 exec, exec, s[50:51]
.LBB6_9897:                             ;   in Loop: Header=BB6_9212 Depth=3
	s_or_b64 exec, exec, s[48:49]
	v_max_f32_e32 v1, v19, v19
	v_max_f32_e32 v2, v2, v2
	;; [unrolled: 1-line block ×3, first 2 shown]
	s_mov_b64 s[48:49], 0
.LBB6_9898:                             ;   in Loop: Header=BB6_9212 Depth=3
	s_and_b64 vcc, exec, s[48:49]
	s_cbranch_vccz .LBB6_9912
; %bb.9899:                             ;   in Loop: Header=BB6_9212 Depth=3
	v_mov_b32_e32 v2, 0
	v_mov_b32_e32 v1, 0
	s_and_saveexec_b64 s[48:49], s[40:41]
	s_cbranch_execz .LBB6_9905
; %bb.9900:                             ;   in Loop: Header=BB6_9212 Depth=3
	v_cmp_ne_u16_e32 vcc, s82, v0
	v_bfrev_b32_e32 v1, 1
	s_and_saveexec_b64 s[40:41], vcc
	s_cbranch_execz .LBB6_9904
; %bb.9901:                             ;   in Loop: Header=BB6_9212 Depth=3
	v_and_b32_e32 v19, 0x7f, v57
	v_cmp_ne_u32_e32 vcc, s83, v19
	v_mov_b32_e32 v1, 0x7f800001
	s_and_saveexec_b64 s[50:51], vcc
	s_cbranch_execz .LBB6_9903
; %bb.9902:                             ;   in Loop: Header=BB6_9212 Depth=3
	v_and_b32_e32 v20, 7, v0
	v_ffbh_u32_e32 v1, v20
	v_lshrrev_b32_e32 v21, 3, v19
	v_cmp_gt_u32_e32 vcc, 8, v19
	v_min_u32_e32 v19, 32, v1
	v_subrev_u32_e32 v1, 28, v19
	v_lshlrev_b64 v[0:1], v1, v[0:1]
	v_sub_u32_e32 v1, 29, v19
	v_and_b32_e32 v0, 7, v0
	v_cndmask_b32_e32 v1, v21, v1, vcc
	v_cndmask_b32_e32 v0, v20, v0, vcc
	v_lshlrev_b32_e32 v19, 24, v57
	v_bfrev_b32_e32 v20, 60
	v_lshlrev_b32_e32 v0, 20, v0
	v_and_b32_e32 v19, 0x80000000, v19
	v_lshl_add_u32 v1, v1, 23, v20
	v_or3_b32 v1, v19, v1, v0
.LBB6_9903:                             ;   in Loop: Header=BB6_9212 Depth=3
	s_or_b64 exec, exec, s[50:51]
.LBB6_9904:                             ;   in Loop: Header=BB6_9212 Depth=3
	s_or_b64 exec, exec, s[40:41]
.LBB6_9905:                             ;   in Loop: Header=BB6_9212 Depth=3
	s_or_b64 exec, exec, s[48:49]
	v_and_b32_e32 v0, 0xff, v6
	v_cmp_ne_u16_e32 vcc, 0, v0
	s_and_saveexec_b64 s[40:41], vcc
	s_cbranch_execz .LBB6_9911
; %bb.9906:                             ;   in Loop: Header=BB6_9212 Depth=3
	v_cmp_ne_u16_e32 vcc, s82, v0
	v_bfrev_b32_e32 v2, 1
	s_and_saveexec_b64 s[48:49], vcc
	s_cbranch_execz .LBB6_9910
; %bb.9907:                             ;   in Loop: Header=BB6_9212 Depth=3
	v_and_b32_e32 v19, 0x7f, v6
	v_cmp_ne_u32_e32 vcc, s83, v19
	v_mov_b32_e32 v2, 0x7f800001
	s_and_saveexec_b64 s[50:51], vcc
	s_cbranch_execz .LBB6_9909
; %bb.9908:                             ;   in Loop: Header=BB6_9212 Depth=3
	v_and_b32_e32 v2, 7, v0
	v_lshrrev_b32_e32 v21, 3, v19
	v_cmp_gt_u32_e32 vcc, 8, v19
	v_ffbh_u32_e32 v19, v2
	v_min_u32_e32 v23, 32, v19
	v_subrev_u32_e32 v19, 28, v23
	v_lshlrev_b64 v[19:20], v19, v[0:1]
	v_sub_u32_e32 v0, 29, v23
	v_and_b32_e32 v19, 7, v19
	v_cndmask_b32_e32 v0, v21, v0, vcc
	v_cndmask_b32_e32 v2, v2, v19, vcc
	v_lshlrev_b32_e32 v6, 24, v6
	v_bfrev_b32_e32 v19, 60
	v_lshlrev_b32_e32 v2, 20, v2
	v_and_b32_e32 v6, 0x80000000, v6
	v_lshl_add_u32 v0, v0, 23, v19
	v_or3_b32 v2, v6, v0, v2
.LBB6_9909:                             ;   in Loop: Header=BB6_9212 Depth=3
	s_or_b64 exec, exec, s[50:51]
.LBB6_9910:                             ;   in Loop: Header=BB6_9212 Depth=3
	s_or_b64 exec, exec, s[48:49]
.LBB6_9911:                             ;   in Loop: Header=BB6_9212 Depth=3
	s_or_b64 exec, exec, s[40:41]
	v_max_f32_e32 v0, v2, v2
	v_max_f32_e32 v1, v1, v1
	v_min_f32_e32 v1, v1, v0
.LBB6_9912:                             ;   in Loop: Header=BB6_9212 Depth=3
	v_and_b32_e32 v52, 0x7f800000, v1
	v_cmp_ne_u64_e32 vcc, s[76:77], v[52:53]
                                        ; implicit-def: $vgpr6
	s_mov_b64 s[40:41], exec
	v_mov_b32_e32 v30, v14
	buffer_load_dword v32, off, s[0:3], s33 offset:156 ; 4-byte Folded Reload
	buffer_load_dword v57, off, s[0:3], s33 offset:148 ; 4-byte Folded Reload
	;; [unrolled: 1-line block ×3, first 2 shown]
	v_mov_b32_e32 v27, v7
	v_mov_b32_e32 v26, v3
	buffer_load_dword v38, off, s[0:3], s33 offset:152 ; 4-byte Folded Reload
	buffer_load_dword v49, off, s[0:3], s33 offset:160 ; 4-byte Folded Reload
	;; [unrolled: 1-line block ×6, first 2 shown]
	s_and_b64 vcc, s[40:41], vcc
	s_xor_b64 s[48:49], vcc, s[40:41]
	v_mov_b32_e32 v33, v41
	v_mov_b32_e32 v29, v44
	s_mov_b64 exec, vcc
	s_cbranch_execz .LBB6_9930
; %bb.9913:                             ;   in Loop: Header=BB6_9212 Depth=3
	v_and_b32_e32 v52, 0x7fffffff, v1
	v_cmp_gt_u64_e32 vcc, s[78:79], v[52:53]
	v_and_b32_sdwa v19, v1, s82 dst_sel:DWORD dst_unused:UNUSED_PAD src0_sel:BYTE_3 src1_sel:DWORD
                                        ; implicit-def: $vgpr6
	s_and_saveexec_b64 s[40:41], vcc
	s_xor_b64 s[50:51], exec, s[40:41]
	s_cbranch_execz .LBB6_9927
; %bb.9914:                             ;   in Loop: Header=BB6_9212 Depth=3
	v_cmp_ne_u32_e32 vcc, 0, v1
	v_mov_b32_e32 v6, 0
	s_and_saveexec_b64 s[52:53], vcc
	s_cbranch_execz .LBB6_9926
; %bb.9915:                             ;   in Loop: Header=BB6_9212 Depth=3
	v_bfe_u32 v6, v1, 23, 8
	v_and_b32_e32 v0, 0x7fffff, v1
	v_cmp_gt_u32_e64 s[40:41], s85, v6
	v_sub_u32_e32 v1, 0x79, v6
	v_cmp_eq_u32_e32 vcc, 0, v6
	v_cndmask_b32_e64 v1, 0, v1, s[40:41]
	v_mov_b32_e32 v20, 0x78
	v_or_b32_e32 v2, 0x800000, v0
	v_cndmask_b32_e32 v20, v1, v20, vcc
	v_cndmask_b32_e32 v52, v2, v0, vcc
	v_add_u32_e32 v0, 20, v20
	v_lshlrev_b64 v[0:1], v0, -1
	v_add_u32_e32 v2, 19, v20
	v_lshlrev_b64 v[23:24], v2, 1
	v_bfi_b32 v1, v1, 0, 0
	v_bfi_b32 v0, v0, 0, v52
	v_cmp_eq_u64_e64 s[40:41], v[0:1], v[23:24]
	v_lshrrev_b64 v[0:1], v20, v[52:53]
	v_mov_b32_e32 v2, v1
	v_mov_b32_e32 v1, v0
	s_and_saveexec_b64 s[54:55], s[40:41]
; %bb.9916:                             ;   in Loop: Header=BB6_9212 Depth=3
	v_bfe_u32 v1, v0, 20, 1
	v_add_co_u32_e64 v1, s[40:41], v0, v1
	v_add_co_u32_e64 v1, s[40:41], -1, v1
; %bb.9917:                             ;   in Loop: Header=BB6_9212 Depth=3
	s_or_b64 exec, exec, s[54:55]
	v_add_u32_e32 v2, 0xffffff81, v6
	v_mov_b32_e32 v6, 0xffffff82
	v_cndmask_b32_e32 v2, v2, v6, vcc
	v_lshrrev_b32_e32 v6, 23, v0
	v_add3_u32 v20, v20, v2, v6
	v_add_u32_e32 v6, 6, v20
	v_and_b32_e32 v1, 0xfffff, v1
	v_add_u32_e32 v52, v1, v0
	v_cmp_ne_u32_e32 vcc, 0, v6
                                        ; implicit-def: $vgpr0_vgpr1
                                        ; implicit-def: $vgpr2
	s_and_saveexec_b64 s[40:41], vcc
	s_xor_b64 s[40:41], exec, s[40:41]
; %bb.9918:                             ;   in Loop: Header=BB6_9212 Depth=3
	v_cmp_lt_u64_e32 vcc, s[88:89], v[52:53]
	v_add_u32_e32 v0, 7, v20
	v_cndmask_b32_e32 v2, v6, v0, vcc
	v_cndmask_b32_e64 v0, 0, 1, vcc
	v_lshrrev_b64 v[0:1], v0, v[52:53]
; %bb.9919:                             ;   in Loop: Header=BB6_9212 Depth=3
	s_andn2_saveexec_b64 s[40:41], s[40:41]
; %bb.9920:                             ;   in Loop: Header=BB6_9212 Depth=3
	v_mov_b32_e32 v0, v52
	v_mov_b32_e32 v1, v53
	v_bfe_u32 v2, v52, 23, 1
; %bb.9921:                             ;   in Loop: Header=BB6_9212 Depth=3
	s_or_b64 exec, exec, s[40:41]
	v_lshrrev_b64 v[0:1], 20, v[0:1]
	v_cmp_gt_i32_e32 vcc, 16, v2
	v_cndmask_b32_e32 v1, 0, v1, vcc
	v_cndmask_b32_e32 v0, 7, v0, vcc
	v_cmp_ne_u64_e32 vcc, 0, v[0:1]
	v_cmp_ne_u32_e64 s[40:41], 0, v2
	s_or_b64 s[40:41], s[40:41], vcc
                                        ; implicit-def: $vgpr6
	s_and_saveexec_b64 vcc, s[40:41]
	s_xor_b64 s[40:41], exec, vcc
; %bb.9922:                             ;   in Loop: Header=BB6_9212 Depth=3
	v_min_i32_e32 v1, 15, v2
	v_lshl_or_b32 v1, v1, 3, v19
	v_and_or_b32 v6, v0, 7, v1
                                        ; implicit-def: $vgpr19
; %bb.9923:                             ;   in Loop: Header=BB6_9212 Depth=3
	s_andn2_saveexec_b64 s[40:41], s[40:41]
; %bb.9924:                             ;   in Loop: Header=BB6_9212 Depth=3
	v_mov_b32_e32 v6, v19
; %bb.9925:                             ;   in Loop: Header=BB6_9212 Depth=3
	s_or_b64 exec, exec, s[40:41]
.LBB6_9926:                             ;   in Loop: Header=BB6_9212 Depth=3
	s_or_b64 exec, exec, s[52:53]
                                        ; implicit-def: $vgpr19
.LBB6_9927:                             ;   in Loop: Header=BB6_9212 Depth=3
	s_andn2_saveexec_b64 s[40:41], s[50:51]
; %bb.9928:                             ;   in Loop: Header=BB6_9212 Depth=3
	v_or_b32_e32 v6, 0x7e, v19
; %bb.9929:                             ;   in Loop: Header=BB6_9212 Depth=3
	s_or_b64 exec, exec, s[40:41]
                                        ; implicit-def: $vgpr1
.LBB6_9930:                             ;   in Loop: Header=BB6_9212 Depth=3
	s_andn2_saveexec_b64 s[40:41], s[48:49]
; %bb.9931:                             ;   in Loop: Header=BB6_9212 Depth=3
	v_or_b32_sdwa v6, v1, s83 dst_sel:DWORD dst_unused:UNUSED_PAD src0_sel:BYTE_3 src1_sel:DWORD
; %bb.9932:                             ;   in Loop: Header=BB6_9212 Depth=3
	s_or_b64 exec, exec, s[40:41]
	v_and_b32_e32 v0, 0xff, v56
	v_cmp_ne_u16_e64 s[40:41], 0, v0
	s_and_b64 vcc, exec, s[28:29]
	s_mov_b64 s[48:49], -1
                                        ; implicit-def: $vgpr1
	s_cbranch_vccnz .LBB6_9946
; %bb.9933:                             ;   in Loop: Header=BB6_9212 Depth=3
	v_mov_b32_e32 v19, 0
	v_mov_b32_e32 v2, 0
	s_and_saveexec_b64 s[48:49], s[40:41]
	s_cbranch_execz .LBB6_9939
; %bb.9934:                             ;   in Loop: Header=BB6_9212 Depth=3
	v_cmp_ne_u16_e32 vcc, s82, v0
	v_bfrev_b32_e32 v2, 1
	s_and_saveexec_b64 s[50:51], vcc
	s_cbranch_execz .LBB6_9938
; %bb.9935:                             ;   in Loop: Header=BB6_9212 Depth=3
	v_and_b32_e32 v1, 0x7f, v56
	v_cmp_ne_u32_e32 vcc, s83, v1
	v_mov_b32_e32 v2, 0x7f800001
	s_and_saveexec_b64 s[52:53], vcc
	s_cbranch_execz .LBB6_9937
; %bb.9936:                             ;   in Loop: Header=BB6_9212 Depth=3
	v_and_b32_e32 v20, 7, v0
	v_lshrrev_b32_e32 v21, 3, v1
	v_cmp_gt_u32_e32 vcc, 8, v1
	v_ffbh_u32_e32 v1, v20
	v_min_u32_e32 v23, 32, v1
	v_subrev_u32_e32 v1, 28, v23
	v_lshlrev_b64 v[1:2], v1, v[0:1]
	v_sub_u32_e32 v2, 29, v23
	v_and_b32_e32 v1, 7, v1
	v_cndmask_b32_e32 v2, v21, v2, vcc
	v_cndmask_b32_e32 v1, v20, v1, vcc
	v_lshlrev_b32_e32 v20, 24, v56
	v_bfrev_b32_e32 v21, 60
	v_lshlrev_b32_e32 v1, 20, v1
	v_and_b32_e32 v20, 0x80000000, v20
	v_lshl_add_u32 v2, v2, 23, v21
	v_or3_b32 v2, v20, v2, v1
.LBB6_9937:                             ;   in Loop: Header=BB6_9212 Depth=3
	s_or_b64 exec, exec, s[52:53]
.LBB6_9938:                             ;   in Loop: Header=BB6_9212 Depth=3
	s_or_b64 exec, exec, s[50:51]
.LBB6_9939:                             ;   in Loop: Header=BB6_9212 Depth=3
	s_or_b64 exec, exec, s[48:49]
	v_and_b32_e32 v1, 0xff, v18
	v_cmp_ne_u16_e32 vcc, 0, v1
	s_and_saveexec_b64 s[48:49], vcc
	s_cbranch_execz .LBB6_9945
; %bb.9940:                             ;   in Loop: Header=BB6_9212 Depth=3
	v_cmp_ne_u16_e32 vcc, s82, v1
	v_bfrev_b32_e32 v19, 1
	s_and_saveexec_b64 s[50:51], vcc
	s_cbranch_execz .LBB6_9944
; %bb.9941:                             ;   in Loop: Header=BB6_9212 Depth=3
	v_and_b32_e32 v20, 0x7f, v18
	v_cmp_ne_u32_e32 vcc, s83, v20
	v_mov_b32_e32 v19, 0x7f800001
	s_and_saveexec_b64 s[52:53], vcc
	s_cbranch_execz .LBB6_9943
; %bb.9942:                             ;   in Loop: Header=BB6_9212 Depth=3
	v_and_b32_e32 v21, 7, v1
	v_ffbh_u32_e32 v19, v21
	v_min_u32_e32 v24, 32, v19
	v_subrev_u32_e32 v19, 28, v24
	v_lshrrev_b32_e32 v23, 3, v20
	v_cmp_gt_u32_e32 vcc, 8, v20
	v_lshlrev_b64 v[19:20], v19, v[1:2]
	v_sub_u32_e32 v1, 29, v24
	v_and_b32_e32 v19, 7, v19
	v_cndmask_b32_e32 v1, v23, v1, vcc
	v_cndmask_b32_e32 v19, v21, v19, vcc
	v_lshlrev_b32_e32 v20, 24, v18
	v_bfrev_b32_e32 v21, 60
	v_lshlrev_b32_e32 v19, 20, v19
	v_and_b32_e32 v20, 0x80000000, v20
	v_lshl_add_u32 v1, v1, 23, v21
	v_or3_b32 v19, v20, v1, v19
.LBB6_9943:                             ;   in Loop: Header=BB6_9212 Depth=3
	s_or_b64 exec, exec, s[52:53]
.LBB6_9944:                             ;   in Loop: Header=BB6_9212 Depth=3
	s_or_b64 exec, exec, s[50:51]
.LBB6_9945:                             ;   in Loop: Header=BB6_9212 Depth=3
	s_or_b64 exec, exec, s[48:49]
	v_max_f32_e32 v1, v19, v19
	v_max_f32_e32 v2, v2, v2
	;; [unrolled: 1-line block ×3, first 2 shown]
	s_mov_b64 s[48:49], 0
.LBB6_9946:                             ;   in Loop: Header=BB6_9212 Depth=3
	s_and_b64 vcc, exec, s[48:49]
	s_cbranch_vccz .LBB6_9960
; %bb.9947:                             ;   in Loop: Header=BB6_9212 Depth=3
	v_mov_b32_e32 v2, 0
	v_mov_b32_e32 v1, 0
	s_and_saveexec_b64 s[48:49], s[40:41]
	s_cbranch_execz .LBB6_9953
; %bb.9948:                             ;   in Loop: Header=BB6_9212 Depth=3
	v_cmp_ne_u16_e32 vcc, s82, v0
	v_bfrev_b32_e32 v1, 1
	s_and_saveexec_b64 s[40:41], vcc
	s_cbranch_execz .LBB6_9952
; %bb.9949:                             ;   in Loop: Header=BB6_9212 Depth=3
	v_and_b32_e32 v19, 0x7f, v56
	v_cmp_ne_u32_e32 vcc, s83, v19
	v_mov_b32_e32 v1, 0x7f800001
	s_and_saveexec_b64 s[50:51], vcc
	s_cbranch_execz .LBB6_9951
; %bb.9950:                             ;   in Loop: Header=BB6_9212 Depth=3
	v_and_b32_e32 v20, 7, v0
	v_ffbh_u32_e32 v1, v20
	v_lshrrev_b32_e32 v21, 3, v19
	v_cmp_gt_u32_e32 vcc, 8, v19
	v_min_u32_e32 v19, 32, v1
	v_subrev_u32_e32 v1, 28, v19
	v_lshlrev_b64 v[0:1], v1, v[0:1]
	v_sub_u32_e32 v1, 29, v19
	v_and_b32_e32 v0, 7, v0
	v_cndmask_b32_e32 v1, v21, v1, vcc
	v_cndmask_b32_e32 v0, v20, v0, vcc
	v_lshlrev_b32_e32 v19, 24, v56
	v_bfrev_b32_e32 v20, 60
	v_lshlrev_b32_e32 v0, 20, v0
	v_and_b32_e32 v19, 0x80000000, v19
	v_lshl_add_u32 v1, v1, 23, v20
	v_or3_b32 v1, v19, v1, v0
.LBB6_9951:                             ;   in Loop: Header=BB6_9212 Depth=3
	s_or_b64 exec, exec, s[50:51]
.LBB6_9952:                             ;   in Loop: Header=BB6_9212 Depth=3
	s_or_b64 exec, exec, s[40:41]
.LBB6_9953:                             ;   in Loop: Header=BB6_9212 Depth=3
	s_or_b64 exec, exec, s[48:49]
	v_and_b32_e32 v0, 0xff, v18
	v_cmp_ne_u16_e32 vcc, 0, v0
	s_and_saveexec_b64 s[40:41], vcc
	s_cbranch_execz .LBB6_9959
; %bb.9954:                             ;   in Loop: Header=BB6_9212 Depth=3
	v_cmp_ne_u16_e32 vcc, s82, v0
	v_bfrev_b32_e32 v2, 1
	s_and_saveexec_b64 s[48:49], vcc
	s_cbranch_execz .LBB6_9958
; %bb.9955:                             ;   in Loop: Header=BB6_9212 Depth=3
	v_and_b32_e32 v19, 0x7f, v18
	v_cmp_ne_u32_e32 vcc, s83, v19
	v_mov_b32_e32 v2, 0x7f800001
	s_and_saveexec_b64 s[50:51], vcc
	s_cbranch_execz .LBB6_9957
; %bb.9956:                             ;   in Loop: Header=BB6_9212 Depth=3
	v_and_b32_e32 v2, 7, v0
	v_lshrrev_b32_e32 v21, 3, v19
	v_cmp_gt_u32_e32 vcc, 8, v19
	v_ffbh_u32_e32 v19, v2
	v_min_u32_e32 v23, 32, v19
	v_subrev_u32_e32 v19, 28, v23
	v_lshlrev_b64 v[19:20], v19, v[0:1]
	v_sub_u32_e32 v0, 29, v23
	v_and_b32_e32 v19, 7, v19
	v_cndmask_b32_e32 v0, v21, v0, vcc
	v_cndmask_b32_e32 v2, v2, v19, vcc
	v_lshlrev_b32_e32 v18, 24, v18
	v_bfrev_b32_e32 v19, 60
	v_lshlrev_b32_e32 v2, 20, v2
	v_and_b32_e32 v18, 0x80000000, v18
	v_lshl_add_u32 v0, v0, 23, v19
	v_or3_b32 v2, v18, v0, v2
.LBB6_9957:                             ;   in Loop: Header=BB6_9212 Depth=3
	s_or_b64 exec, exec, s[50:51]
.LBB6_9958:                             ;   in Loop: Header=BB6_9212 Depth=3
	s_or_b64 exec, exec, s[48:49]
.LBB6_9959:                             ;   in Loop: Header=BB6_9212 Depth=3
	s_or_b64 exec, exec, s[40:41]
	v_max_f32_e32 v0, v2, v2
	v_max_f32_e32 v1, v1, v1
	v_min_f32_e32 v1, v1, v0
.LBB6_9960:                             ;   in Loop: Header=BB6_9212 Depth=3
	v_and_b32_e32 v52, 0x7f800000, v1
	v_cmp_ne_u64_e32 vcc, s[76:77], v[52:53]
                                        ; implicit-def: $vgpr18
	s_mov_b64 s[40:41], exec
	buffer_load_dword v35, off, s[0:3], s33 offset:140 ; 4-byte Folded Reload
	buffer_load_dword v56, off, s[0:3], s33 offset:136 ; 4-byte Folded Reload
	s_and_b64 vcc, s[40:41], vcc
	s_xor_b64 s[48:49], vcc, s[40:41]
	s_mov_b64 exec, vcc
	s_cbranch_execz .LBB6_9978
; %bb.9961:                             ;   in Loop: Header=BB6_9212 Depth=3
	v_and_b32_e32 v52, 0x7fffffff, v1
	v_cmp_gt_u64_e32 vcc, s[78:79], v[52:53]
	v_and_b32_sdwa v19, v1, s82 dst_sel:DWORD dst_unused:UNUSED_PAD src0_sel:BYTE_3 src1_sel:DWORD
                                        ; implicit-def: $vgpr18
	s_and_saveexec_b64 s[40:41], vcc
	s_xor_b64 s[50:51], exec, s[40:41]
	s_cbranch_execz .LBB6_9975
; %bb.9962:                             ;   in Loop: Header=BB6_9212 Depth=3
	v_cmp_ne_u32_e32 vcc, 0, v1
	v_mov_b32_e32 v18, 0
	s_and_saveexec_b64 s[52:53], vcc
	s_cbranch_execz .LBB6_9974
; %bb.9963:                             ;   in Loop: Header=BB6_9212 Depth=3
	v_bfe_u32 v18, v1, 23, 8
	v_and_b32_e32 v0, 0x7fffff, v1
	v_cmp_gt_u32_e64 s[40:41], s85, v18
	v_sub_u32_e32 v1, 0x79, v18
	v_cmp_eq_u32_e32 vcc, 0, v18
	v_cndmask_b32_e64 v1, 0, v1, s[40:41]
	v_mov_b32_e32 v20, 0x78
	v_or_b32_e32 v2, 0x800000, v0
	v_cndmask_b32_e32 v20, v1, v20, vcc
	v_cndmask_b32_e32 v52, v2, v0, vcc
	v_add_u32_e32 v0, 20, v20
	v_lshlrev_b64 v[0:1], v0, -1
	v_add_u32_e32 v2, 19, v20
	v_lshlrev_b64 v[23:24], v2, 1
	v_bfi_b32 v1, v1, 0, 0
	v_bfi_b32 v0, v0, 0, v52
	v_cmp_eq_u64_e64 s[40:41], v[0:1], v[23:24]
	v_lshrrev_b64 v[0:1], v20, v[52:53]
	v_mov_b32_e32 v2, v1
	v_mov_b32_e32 v1, v0
	s_and_saveexec_b64 s[54:55], s[40:41]
; %bb.9964:                             ;   in Loop: Header=BB6_9212 Depth=3
	v_bfe_u32 v1, v0, 20, 1
	v_add_co_u32_e64 v1, s[40:41], v0, v1
	v_add_co_u32_e64 v1, s[40:41], -1, v1
; %bb.9965:                             ;   in Loop: Header=BB6_9212 Depth=3
	s_or_b64 exec, exec, s[54:55]
	v_add_u32_e32 v2, 0xffffff81, v18
	v_mov_b32_e32 v18, 0xffffff82
	v_cndmask_b32_e32 v2, v2, v18, vcc
	v_lshrrev_b32_e32 v18, 23, v0
	v_add3_u32 v20, v20, v2, v18
	v_add_u32_e32 v18, 6, v20
	v_and_b32_e32 v1, 0xfffff, v1
	v_add_u32_e32 v52, v1, v0
	v_cmp_ne_u32_e32 vcc, 0, v18
                                        ; implicit-def: $vgpr0_vgpr1
                                        ; implicit-def: $vgpr2
	s_and_saveexec_b64 s[40:41], vcc
	s_xor_b64 s[40:41], exec, s[40:41]
; %bb.9966:                             ;   in Loop: Header=BB6_9212 Depth=3
	v_cmp_lt_u64_e32 vcc, s[88:89], v[52:53]
	v_add_u32_e32 v0, 7, v20
	v_cndmask_b32_e32 v2, v18, v0, vcc
	v_cndmask_b32_e64 v0, 0, 1, vcc
	v_lshrrev_b64 v[0:1], v0, v[52:53]
; %bb.9967:                             ;   in Loop: Header=BB6_9212 Depth=3
	s_andn2_saveexec_b64 s[40:41], s[40:41]
; %bb.9968:                             ;   in Loop: Header=BB6_9212 Depth=3
	v_mov_b32_e32 v0, v52
	v_mov_b32_e32 v1, v53
	v_bfe_u32 v2, v52, 23, 1
; %bb.9969:                             ;   in Loop: Header=BB6_9212 Depth=3
	s_or_b64 exec, exec, s[40:41]
	v_lshrrev_b64 v[0:1], 20, v[0:1]
	v_cmp_gt_i32_e32 vcc, 16, v2
	v_cndmask_b32_e32 v1, 0, v1, vcc
	v_cndmask_b32_e32 v0, 7, v0, vcc
	v_cmp_ne_u64_e32 vcc, 0, v[0:1]
	v_cmp_ne_u32_e64 s[40:41], 0, v2
	s_or_b64 s[40:41], s[40:41], vcc
                                        ; implicit-def: $vgpr18
	s_and_saveexec_b64 vcc, s[40:41]
	s_xor_b64 s[40:41], exec, vcc
; %bb.9970:                             ;   in Loop: Header=BB6_9212 Depth=3
	v_min_i32_e32 v1, 15, v2
	v_lshl_or_b32 v1, v1, 3, v19
	v_and_or_b32 v18, v0, 7, v1
                                        ; implicit-def: $vgpr19
; %bb.9971:                             ;   in Loop: Header=BB6_9212 Depth=3
	s_andn2_saveexec_b64 s[40:41], s[40:41]
; %bb.9972:                             ;   in Loop: Header=BB6_9212 Depth=3
	v_mov_b32_e32 v18, v19
; %bb.9973:                             ;   in Loop: Header=BB6_9212 Depth=3
	s_or_b64 exec, exec, s[40:41]
.LBB6_9974:                             ;   in Loop: Header=BB6_9212 Depth=3
	s_or_b64 exec, exec, s[52:53]
                                        ; implicit-def: $vgpr19
.LBB6_9975:                             ;   in Loop: Header=BB6_9212 Depth=3
	s_andn2_saveexec_b64 s[40:41], s[50:51]
; %bb.9976:                             ;   in Loop: Header=BB6_9212 Depth=3
	v_or_b32_e32 v18, 0x7e, v19
; %bb.9977:                             ;   in Loop: Header=BB6_9212 Depth=3
	s_or_b64 exec, exec, s[40:41]
                                        ; implicit-def: $vgpr1
.LBB6_9978:                             ;   in Loop: Header=BB6_9212 Depth=3
	s_andn2_saveexec_b64 s[40:41], s[48:49]
; %bb.9979:                             ;   in Loop: Header=BB6_9212 Depth=3
	v_or_b32_sdwa v18, v1, s83 dst_sel:DWORD dst_unused:UNUSED_PAD src0_sel:BYTE_3 src1_sel:DWORD
; %bb.9980:                             ;   in Loop: Header=BB6_9212 Depth=3
	s_or_b64 exec, exec, s[40:41]
	v_and_b32_e32 v0, 0xff, v58
	v_cmp_ne_u16_e64 s[40:41], 0, v0
	s_and_b64 vcc, exec, s[28:29]
	s_mov_b64 s[48:49], -1
                                        ; implicit-def: $vgpr1
	s_cbranch_vccnz .LBB6_9994
; %bb.9981:                             ;   in Loop: Header=BB6_9212 Depth=3
	v_mov_b32_e32 v19, 0
	v_mov_b32_e32 v2, 0
	s_and_saveexec_b64 s[48:49], s[40:41]
	s_cbranch_execz .LBB6_9987
; %bb.9982:                             ;   in Loop: Header=BB6_9212 Depth=3
	v_cmp_ne_u16_e32 vcc, s82, v0
	v_bfrev_b32_e32 v2, 1
	s_and_saveexec_b64 s[50:51], vcc
	s_cbranch_execz .LBB6_9986
; %bb.9983:                             ;   in Loop: Header=BB6_9212 Depth=3
	v_and_b32_e32 v1, 0x7f, v58
	v_cmp_ne_u32_e32 vcc, s83, v1
	v_mov_b32_e32 v2, 0x7f800001
	s_and_saveexec_b64 s[52:53], vcc
	s_cbranch_execz .LBB6_9985
; %bb.9984:                             ;   in Loop: Header=BB6_9212 Depth=3
	v_and_b32_e32 v20, 7, v0
	v_lshrrev_b32_e32 v21, 3, v1
	v_cmp_gt_u32_e32 vcc, 8, v1
	v_ffbh_u32_e32 v1, v20
	v_min_u32_e32 v23, 32, v1
	v_subrev_u32_e32 v1, 28, v23
	v_lshlrev_b64 v[1:2], v1, v[0:1]
	v_sub_u32_e32 v2, 29, v23
	v_and_b32_e32 v1, 7, v1
	v_cndmask_b32_e32 v2, v21, v2, vcc
	v_cndmask_b32_e32 v1, v20, v1, vcc
	v_lshlrev_b32_e32 v20, 24, v58
	v_bfrev_b32_e32 v21, 60
	v_lshlrev_b32_e32 v1, 20, v1
	v_and_b32_e32 v20, 0x80000000, v20
	v_lshl_add_u32 v2, v2, 23, v21
	v_or3_b32 v2, v20, v2, v1
.LBB6_9985:                             ;   in Loop: Header=BB6_9212 Depth=3
	s_or_b64 exec, exec, s[52:53]
.LBB6_9986:                             ;   in Loop: Header=BB6_9212 Depth=3
	s_or_b64 exec, exec, s[50:51]
.LBB6_9987:                             ;   in Loop: Header=BB6_9212 Depth=3
	s_or_b64 exec, exec, s[48:49]
	v_and_b32_e32 v1, 0xff, v17
	v_cmp_ne_u16_e32 vcc, 0, v1
	s_and_saveexec_b64 s[48:49], vcc
	s_cbranch_execz .LBB6_9993
; %bb.9988:                             ;   in Loop: Header=BB6_9212 Depth=3
	v_cmp_ne_u16_e32 vcc, s82, v1
	v_bfrev_b32_e32 v19, 1
	s_and_saveexec_b64 s[50:51], vcc
	s_cbranch_execz .LBB6_9992
; %bb.9989:                             ;   in Loop: Header=BB6_9212 Depth=3
	v_and_b32_e32 v20, 0x7f, v17
	v_cmp_ne_u32_e32 vcc, s83, v20
	v_mov_b32_e32 v19, 0x7f800001
	s_and_saveexec_b64 s[52:53], vcc
	s_cbranch_execz .LBB6_9991
; %bb.9990:                             ;   in Loop: Header=BB6_9212 Depth=3
	v_and_b32_e32 v21, 7, v1
	v_ffbh_u32_e32 v19, v21
	v_min_u32_e32 v24, 32, v19
	v_subrev_u32_e32 v19, 28, v24
	v_lshrrev_b32_e32 v23, 3, v20
	v_cmp_gt_u32_e32 vcc, 8, v20
	v_lshlrev_b64 v[19:20], v19, v[1:2]
	v_sub_u32_e32 v1, 29, v24
	v_and_b32_e32 v19, 7, v19
	v_cndmask_b32_e32 v1, v23, v1, vcc
	v_cndmask_b32_e32 v19, v21, v19, vcc
	v_lshlrev_b32_e32 v20, 24, v17
	v_bfrev_b32_e32 v21, 60
	v_lshlrev_b32_e32 v19, 20, v19
	v_and_b32_e32 v20, 0x80000000, v20
	v_lshl_add_u32 v1, v1, 23, v21
	v_or3_b32 v19, v20, v1, v19
.LBB6_9991:                             ;   in Loop: Header=BB6_9212 Depth=3
	s_or_b64 exec, exec, s[52:53]
.LBB6_9992:                             ;   in Loop: Header=BB6_9212 Depth=3
	s_or_b64 exec, exec, s[50:51]
.LBB6_9993:                             ;   in Loop: Header=BB6_9212 Depth=3
	s_or_b64 exec, exec, s[48:49]
	v_max_f32_e32 v1, v19, v19
	v_max_f32_e32 v2, v2, v2
	;; [unrolled: 1-line block ×3, first 2 shown]
	s_mov_b64 s[48:49], 0
.LBB6_9994:                             ;   in Loop: Header=BB6_9212 Depth=3
	s_and_b64 vcc, exec, s[48:49]
	s_cbranch_vccz .LBB6_10008
; %bb.9995:                             ;   in Loop: Header=BB6_9212 Depth=3
	v_mov_b32_e32 v2, 0
	v_mov_b32_e32 v1, 0
	s_and_saveexec_b64 s[48:49], s[40:41]
	s_cbranch_execz .LBB6_10001
; %bb.9996:                             ;   in Loop: Header=BB6_9212 Depth=3
	v_cmp_ne_u16_e32 vcc, s82, v0
	v_bfrev_b32_e32 v1, 1
	s_and_saveexec_b64 s[40:41], vcc
	s_cbranch_execz .LBB6_10000
; %bb.9997:                             ;   in Loop: Header=BB6_9212 Depth=3
	v_and_b32_e32 v19, 0x7f, v58
	v_cmp_ne_u32_e32 vcc, s83, v19
	v_mov_b32_e32 v1, 0x7f800001
	s_and_saveexec_b64 s[50:51], vcc
	s_cbranch_execz .LBB6_9999
; %bb.9998:                             ;   in Loop: Header=BB6_9212 Depth=3
	v_and_b32_e32 v20, 7, v0
	v_ffbh_u32_e32 v1, v20
	v_lshrrev_b32_e32 v21, 3, v19
	v_cmp_gt_u32_e32 vcc, 8, v19
	v_min_u32_e32 v19, 32, v1
	v_subrev_u32_e32 v1, 28, v19
	v_lshlrev_b64 v[0:1], v1, v[0:1]
	v_sub_u32_e32 v1, 29, v19
	v_and_b32_e32 v0, 7, v0
	v_cndmask_b32_e32 v1, v21, v1, vcc
	v_cndmask_b32_e32 v0, v20, v0, vcc
	v_lshlrev_b32_e32 v19, 24, v58
	v_bfrev_b32_e32 v20, 60
	v_lshlrev_b32_e32 v0, 20, v0
	v_and_b32_e32 v19, 0x80000000, v19
	v_lshl_add_u32 v1, v1, 23, v20
	v_or3_b32 v1, v19, v1, v0
.LBB6_9999:                             ;   in Loop: Header=BB6_9212 Depth=3
	s_or_b64 exec, exec, s[50:51]
.LBB6_10000:                            ;   in Loop: Header=BB6_9212 Depth=3
	s_or_b64 exec, exec, s[40:41]
.LBB6_10001:                            ;   in Loop: Header=BB6_9212 Depth=3
	s_or_b64 exec, exec, s[48:49]
	v_and_b32_e32 v0, 0xff, v17
	v_cmp_ne_u16_e32 vcc, 0, v0
	s_and_saveexec_b64 s[40:41], vcc
	s_cbranch_execz .LBB6_10007
; %bb.10002:                            ;   in Loop: Header=BB6_9212 Depth=3
	v_cmp_ne_u16_e32 vcc, s82, v0
	v_bfrev_b32_e32 v2, 1
	s_and_saveexec_b64 s[48:49], vcc
	s_cbranch_execz .LBB6_10006
; %bb.10003:                            ;   in Loop: Header=BB6_9212 Depth=3
	v_and_b32_e32 v19, 0x7f, v17
	v_cmp_ne_u32_e32 vcc, s83, v19
	v_mov_b32_e32 v2, 0x7f800001
	s_and_saveexec_b64 s[50:51], vcc
	s_cbranch_execz .LBB6_10005
; %bb.10004:                            ;   in Loop: Header=BB6_9212 Depth=3
	v_and_b32_e32 v2, 7, v0
	v_lshrrev_b32_e32 v21, 3, v19
	v_cmp_gt_u32_e32 vcc, 8, v19
	v_ffbh_u32_e32 v19, v2
	v_min_u32_e32 v23, 32, v19
	v_subrev_u32_e32 v19, 28, v23
	v_lshlrev_b64 v[19:20], v19, v[0:1]
	v_sub_u32_e32 v0, 29, v23
	v_and_b32_e32 v19, 7, v19
	v_cndmask_b32_e32 v0, v21, v0, vcc
	v_cndmask_b32_e32 v2, v2, v19, vcc
	v_lshlrev_b32_e32 v17, 24, v17
	v_bfrev_b32_e32 v19, 60
	v_lshlrev_b32_e32 v2, 20, v2
	v_and_b32_e32 v17, 0x80000000, v17
	v_lshl_add_u32 v0, v0, 23, v19
	v_or3_b32 v2, v17, v0, v2
.LBB6_10005:                            ;   in Loop: Header=BB6_9212 Depth=3
	s_or_b64 exec, exec, s[50:51]
.LBB6_10006:                            ;   in Loop: Header=BB6_9212 Depth=3
	s_or_b64 exec, exec, s[48:49]
.LBB6_10007:                            ;   in Loop: Header=BB6_9212 Depth=3
	s_or_b64 exec, exec, s[40:41]
	v_max_f32_e32 v0, v2, v2
	v_max_f32_e32 v1, v1, v1
	v_min_f32_e32 v1, v1, v0
.LBB6_10008:                            ;   in Loop: Header=BB6_9212 Depth=3
	v_and_b32_e32 v52, 0x7f800000, v1
	v_cmp_ne_u64_e32 vcc, s[76:77], v[52:53]
                                        ; implicit-def: $vgpr17
	s_and_saveexec_b64 s[40:41], vcc
	s_xor_b64 s[48:49], exec, s[40:41]
	s_cbranch_execz .LBB6_10026
; %bb.10009:                            ;   in Loop: Header=BB6_9212 Depth=3
	v_and_b32_e32 v52, 0x7fffffff, v1
	v_cmp_gt_u64_e32 vcc, s[78:79], v[52:53]
	v_and_b32_sdwa v19, v1, s82 dst_sel:DWORD dst_unused:UNUSED_PAD src0_sel:BYTE_3 src1_sel:DWORD
                                        ; implicit-def: $vgpr17
	s_and_saveexec_b64 s[40:41], vcc
	s_xor_b64 s[50:51], exec, s[40:41]
	s_cbranch_execz .LBB6_10023
; %bb.10010:                            ;   in Loop: Header=BB6_9212 Depth=3
	v_cmp_ne_u32_e32 vcc, 0, v1
	v_mov_b32_e32 v17, 0
	s_and_saveexec_b64 s[52:53], vcc
	s_cbranch_execz .LBB6_10022
; %bb.10011:                            ;   in Loop: Header=BB6_9212 Depth=3
	v_bfe_u32 v17, v1, 23, 8
	v_and_b32_e32 v0, 0x7fffff, v1
	v_cmp_gt_u32_e64 s[40:41], s85, v17
	v_sub_u32_e32 v1, 0x79, v17
	v_cmp_eq_u32_e32 vcc, 0, v17
	v_cndmask_b32_e64 v1, 0, v1, s[40:41]
	v_mov_b32_e32 v20, 0x78
	v_or_b32_e32 v2, 0x800000, v0
	v_cndmask_b32_e32 v20, v1, v20, vcc
	v_cndmask_b32_e32 v52, v2, v0, vcc
	v_add_u32_e32 v0, 20, v20
	v_lshlrev_b64 v[0:1], v0, -1
	v_add_u32_e32 v2, 19, v20
	v_lshlrev_b64 v[23:24], v2, 1
	v_bfi_b32 v1, v1, 0, 0
	v_bfi_b32 v0, v0, 0, v52
	v_cmp_eq_u64_e64 s[40:41], v[0:1], v[23:24]
	v_lshrrev_b64 v[0:1], v20, v[52:53]
	v_mov_b32_e32 v2, v1
	v_mov_b32_e32 v1, v0
	s_and_saveexec_b64 s[54:55], s[40:41]
; %bb.10012:                            ;   in Loop: Header=BB6_9212 Depth=3
	v_bfe_u32 v1, v0, 20, 1
	v_add_co_u32_e64 v1, s[40:41], v0, v1
	v_add_co_u32_e64 v1, s[40:41], -1, v1
; %bb.10013:                            ;   in Loop: Header=BB6_9212 Depth=3
	s_or_b64 exec, exec, s[54:55]
	v_add_u32_e32 v2, 0xffffff81, v17
	v_mov_b32_e32 v17, 0xffffff82
	v_cndmask_b32_e32 v2, v2, v17, vcc
	v_lshrrev_b32_e32 v17, 23, v0
	v_add3_u32 v20, v20, v2, v17
	v_add_u32_e32 v17, 6, v20
	v_and_b32_e32 v1, 0xfffff, v1
	v_add_u32_e32 v52, v1, v0
	v_cmp_ne_u32_e32 vcc, 0, v17
                                        ; implicit-def: $vgpr0_vgpr1
                                        ; implicit-def: $vgpr2
	s_and_saveexec_b64 s[40:41], vcc
	s_xor_b64 s[40:41], exec, s[40:41]
; %bb.10014:                            ;   in Loop: Header=BB6_9212 Depth=3
	v_cmp_lt_u64_e32 vcc, s[88:89], v[52:53]
	v_add_u32_e32 v0, 7, v20
	v_cndmask_b32_e32 v2, v17, v0, vcc
	v_cndmask_b32_e64 v0, 0, 1, vcc
	v_lshrrev_b64 v[0:1], v0, v[52:53]
; %bb.10015:                            ;   in Loop: Header=BB6_9212 Depth=3
	s_andn2_saveexec_b64 s[40:41], s[40:41]
; %bb.10016:                            ;   in Loop: Header=BB6_9212 Depth=3
	v_mov_b32_e32 v0, v52
	v_mov_b32_e32 v1, v53
	v_bfe_u32 v2, v52, 23, 1
; %bb.10017:                            ;   in Loop: Header=BB6_9212 Depth=3
	s_or_b64 exec, exec, s[40:41]
	v_lshrrev_b64 v[0:1], 20, v[0:1]
	v_cmp_gt_i32_e32 vcc, 16, v2
	v_cndmask_b32_e32 v1, 0, v1, vcc
	v_cndmask_b32_e32 v0, 7, v0, vcc
	v_cmp_ne_u64_e32 vcc, 0, v[0:1]
	v_cmp_ne_u32_e64 s[40:41], 0, v2
	s_or_b64 s[40:41], s[40:41], vcc
                                        ; implicit-def: $vgpr17
	s_and_saveexec_b64 vcc, s[40:41]
	s_xor_b64 s[40:41], exec, vcc
; %bb.10018:                            ;   in Loop: Header=BB6_9212 Depth=3
	v_min_i32_e32 v1, 15, v2
	v_lshl_or_b32 v1, v1, 3, v19
	v_and_or_b32 v17, v0, 7, v1
                                        ; implicit-def: $vgpr19
; %bb.10019:                            ;   in Loop: Header=BB6_9212 Depth=3
	s_andn2_saveexec_b64 s[40:41], s[40:41]
; %bb.10020:                            ;   in Loop: Header=BB6_9212 Depth=3
	v_mov_b32_e32 v17, v19
; %bb.10021:                            ;   in Loop: Header=BB6_9212 Depth=3
	s_or_b64 exec, exec, s[40:41]
.LBB6_10022:                            ;   in Loop: Header=BB6_9212 Depth=3
	s_or_b64 exec, exec, s[52:53]
                                        ; implicit-def: $vgpr19
.LBB6_10023:                            ;   in Loop: Header=BB6_9212 Depth=3
	s_andn2_saveexec_b64 s[40:41], s[50:51]
; %bb.10024:                            ;   in Loop: Header=BB6_9212 Depth=3
	v_or_b32_e32 v17, 0x7e, v19
; %bb.10025:                            ;   in Loop: Header=BB6_9212 Depth=3
	s_or_b64 exec, exec, s[40:41]
                                        ; implicit-def: $vgpr1
.LBB6_10026:                            ;   in Loop: Header=BB6_9212 Depth=3
	s_andn2_saveexec_b64 s[40:41], s[48:49]
; %bb.10027:                            ;   in Loop: Header=BB6_9212 Depth=3
	v_or_b32_sdwa v17, v1, s83 dst_sel:DWORD dst_unused:UNUSED_PAD src0_sel:BYTE_3 src1_sel:DWORD
; %bb.10028:                            ;   in Loop: Header=BB6_9212 Depth=3
	s_or_b64 exec, exec, s[40:41]
	s_waitcnt vmcnt(2)
	v_and_b32_e32 v0, 0xff, v7
	v_cmp_ne_u16_e64 s[40:41], 0, v0
	s_and_b64 vcc, exec, s[28:29]
	s_mov_b64 s[48:49], -1
                                        ; implicit-def: $vgpr1
	s_cbranch_vccnz .LBB6_10042
; %bb.10029:                            ;   in Loop: Header=BB6_9212 Depth=3
	v_mov_b32_e32 v19, 0
	v_mov_b32_e32 v2, 0
	s_and_saveexec_b64 s[48:49], s[40:41]
	s_cbranch_execz .LBB6_10035
; %bb.10030:                            ;   in Loop: Header=BB6_9212 Depth=3
	v_cmp_ne_u16_e32 vcc, s82, v0
	v_bfrev_b32_e32 v2, 1
	s_and_saveexec_b64 s[50:51], vcc
	s_cbranch_execz .LBB6_10034
; %bb.10031:                            ;   in Loop: Header=BB6_9212 Depth=3
	v_and_b32_e32 v1, 0x7f, v7
	v_cmp_ne_u32_e32 vcc, s83, v1
	v_mov_b32_e32 v2, 0x7f800001
	s_and_saveexec_b64 s[52:53], vcc
	s_cbranch_execz .LBB6_10033
; %bb.10032:                            ;   in Loop: Header=BB6_9212 Depth=3
	v_and_b32_e32 v20, 7, v0
	v_lshrrev_b32_e32 v21, 3, v1
	v_cmp_gt_u32_e32 vcc, 8, v1
	v_ffbh_u32_e32 v1, v20
	v_min_u32_e32 v23, 32, v1
	v_subrev_u32_e32 v1, 28, v23
	v_lshlrev_b64 v[1:2], v1, v[0:1]
	v_sub_u32_e32 v2, 29, v23
	v_and_b32_e32 v1, 7, v1
	v_cndmask_b32_e32 v2, v21, v2, vcc
	v_cndmask_b32_e32 v1, v20, v1, vcc
	v_lshlrev_b32_e32 v20, 24, v7
	v_bfrev_b32_e32 v21, 60
	v_lshlrev_b32_e32 v1, 20, v1
	v_and_b32_e32 v20, 0x80000000, v20
	v_lshl_add_u32 v2, v2, 23, v21
	v_or3_b32 v2, v20, v2, v1
.LBB6_10033:                            ;   in Loop: Header=BB6_9212 Depth=3
	s_or_b64 exec, exec, s[52:53]
.LBB6_10034:                            ;   in Loop: Header=BB6_9212 Depth=3
	s_or_b64 exec, exec, s[50:51]
.LBB6_10035:                            ;   in Loop: Header=BB6_9212 Depth=3
	s_or_b64 exec, exec, s[48:49]
	v_and_b32_e32 v1, 0xff, v3
	v_cmp_ne_u16_e32 vcc, 0, v1
	s_and_saveexec_b64 s[48:49], vcc
	s_cbranch_execz .LBB6_10041
; %bb.10036:                            ;   in Loop: Header=BB6_9212 Depth=3
	v_cmp_ne_u16_e32 vcc, s82, v1
	v_bfrev_b32_e32 v19, 1
	s_and_saveexec_b64 s[50:51], vcc
	s_cbranch_execz .LBB6_10040
; %bb.10037:                            ;   in Loop: Header=BB6_9212 Depth=3
	v_and_b32_e32 v20, 0x7f, v3
	v_cmp_ne_u32_e32 vcc, s83, v20
	v_mov_b32_e32 v19, 0x7f800001
	s_and_saveexec_b64 s[52:53], vcc
	s_cbranch_execz .LBB6_10039
; %bb.10038:                            ;   in Loop: Header=BB6_9212 Depth=3
	v_and_b32_e32 v21, 7, v1
	v_ffbh_u32_e32 v19, v21
	v_min_u32_e32 v24, 32, v19
	v_subrev_u32_e32 v19, 28, v24
	v_lshrrev_b32_e32 v23, 3, v20
	v_cmp_gt_u32_e32 vcc, 8, v20
	v_lshlrev_b64 v[19:20], v19, v[1:2]
	v_sub_u32_e32 v1, 29, v24
	v_and_b32_e32 v19, 7, v19
	v_cndmask_b32_e32 v1, v23, v1, vcc
	v_cndmask_b32_e32 v19, v21, v19, vcc
	v_lshlrev_b32_e32 v20, 24, v3
	v_bfrev_b32_e32 v21, 60
	v_lshlrev_b32_e32 v19, 20, v19
	v_and_b32_e32 v20, 0x80000000, v20
	v_lshl_add_u32 v1, v1, 23, v21
	v_or3_b32 v19, v20, v1, v19
.LBB6_10039:                            ;   in Loop: Header=BB6_9212 Depth=3
	s_or_b64 exec, exec, s[52:53]
.LBB6_10040:                            ;   in Loop: Header=BB6_9212 Depth=3
	s_or_b64 exec, exec, s[50:51]
.LBB6_10041:                            ;   in Loop: Header=BB6_9212 Depth=3
	s_or_b64 exec, exec, s[48:49]
	v_max_f32_e32 v1, v19, v19
	v_max_f32_e32 v2, v2, v2
	;; [unrolled: 1-line block ×3, first 2 shown]
	s_mov_b64 s[48:49], 0
.LBB6_10042:                            ;   in Loop: Header=BB6_9212 Depth=3
	s_and_b64 vcc, exec, s[48:49]
	s_cbranch_vccz .LBB6_10056
; %bb.10043:                            ;   in Loop: Header=BB6_9212 Depth=3
	v_mov_b32_e32 v2, 0
	v_mov_b32_e32 v1, 0
	s_and_saveexec_b64 s[48:49], s[40:41]
	s_cbranch_execz .LBB6_10049
; %bb.10044:                            ;   in Loop: Header=BB6_9212 Depth=3
	v_cmp_ne_u16_e32 vcc, s82, v0
	v_bfrev_b32_e32 v1, 1
	s_and_saveexec_b64 s[40:41], vcc
	s_cbranch_execz .LBB6_10048
; %bb.10045:                            ;   in Loop: Header=BB6_9212 Depth=3
	v_and_b32_e32 v19, 0x7f, v7
	v_cmp_ne_u32_e32 vcc, s83, v19
	v_mov_b32_e32 v1, 0x7f800001
	s_and_saveexec_b64 s[50:51], vcc
	s_cbranch_execz .LBB6_10047
; %bb.10046:                            ;   in Loop: Header=BB6_9212 Depth=3
	v_and_b32_e32 v20, 7, v0
	v_ffbh_u32_e32 v1, v20
	v_lshrrev_b32_e32 v21, 3, v19
	v_cmp_gt_u32_e32 vcc, 8, v19
	v_min_u32_e32 v19, 32, v1
	v_subrev_u32_e32 v1, 28, v19
	v_lshlrev_b64 v[0:1], v1, v[0:1]
	v_sub_u32_e32 v1, 29, v19
	v_and_b32_e32 v0, 7, v0
	v_cndmask_b32_e32 v1, v21, v1, vcc
	v_cndmask_b32_e32 v0, v20, v0, vcc
	v_lshlrev_b32_e32 v7, 24, v7
	v_bfrev_b32_e32 v19, 60
	v_lshlrev_b32_e32 v0, 20, v0
	v_and_b32_e32 v7, 0x80000000, v7
	v_lshl_add_u32 v1, v1, 23, v19
	v_or3_b32 v1, v7, v1, v0
.LBB6_10047:                            ;   in Loop: Header=BB6_9212 Depth=3
	s_or_b64 exec, exec, s[50:51]
.LBB6_10048:                            ;   in Loop: Header=BB6_9212 Depth=3
	s_or_b64 exec, exec, s[40:41]
.LBB6_10049:                            ;   in Loop: Header=BB6_9212 Depth=3
	s_or_b64 exec, exec, s[48:49]
	v_and_b32_e32 v0, 0xff, v3
	v_cmp_ne_u16_e32 vcc, 0, v0
	s_and_saveexec_b64 s[40:41], vcc
	s_cbranch_execz .LBB6_10055
; %bb.10050:                            ;   in Loop: Header=BB6_9212 Depth=3
	v_cmp_ne_u16_e32 vcc, s82, v0
	v_bfrev_b32_e32 v2, 1
	s_and_saveexec_b64 s[48:49], vcc
	s_cbranch_execz .LBB6_10054
; %bb.10051:                            ;   in Loop: Header=BB6_9212 Depth=3
	v_and_b32_e32 v7, 0x7f, v3
	v_cmp_ne_u32_e32 vcc, s83, v7
	v_mov_b32_e32 v2, 0x7f800001
	s_and_saveexec_b64 s[50:51], vcc
	s_cbranch_execz .LBB6_10053
; %bb.10052:                            ;   in Loop: Header=BB6_9212 Depth=3
	v_and_b32_e32 v2, 7, v0
	v_lshrrev_b32_e32 v21, 3, v7
	v_cmp_gt_u32_e32 vcc, 8, v7
	v_ffbh_u32_e32 v7, v2
	v_min_u32_e32 v7, 32, v7
	v_subrev_u32_e32 v19, 28, v7
	v_lshlrev_b64 v[19:20], v19, v[0:1]
	v_sub_u32_e32 v0, 29, v7
	v_and_b32_e32 v7, 7, v19
	v_cndmask_b32_e32 v0, v21, v0, vcc
	v_cndmask_b32_e32 v2, v2, v7, vcc
	v_lshlrev_b32_e32 v3, 24, v3
	v_bfrev_b32_e32 v7, 60
	v_lshlrev_b32_e32 v2, 20, v2
	v_and_b32_e32 v3, 0x80000000, v3
	v_lshl_add_u32 v0, v0, 23, v7
	v_or3_b32 v2, v3, v0, v2
.LBB6_10053:                            ;   in Loop: Header=BB6_9212 Depth=3
	s_or_b64 exec, exec, s[50:51]
.LBB6_10054:                            ;   in Loop: Header=BB6_9212 Depth=3
	s_or_b64 exec, exec, s[48:49]
.LBB6_10055:                            ;   in Loop: Header=BB6_9212 Depth=3
	s_or_b64 exec, exec, s[40:41]
	v_max_f32_e32 v0, v2, v2
	v_max_f32_e32 v1, v1, v1
	v_min_f32_e32 v1, v1, v0
.LBB6_10056:                            ;   in Loop: Header=BB6_9212 Depth=3
	v_and_b32_e32 v52, 0x7f800000, v1
	v_cmp_ne_u64_e32 vcc, s[76:77], v[52:53]
                                        ; implicit-def: $vgpr3
	s_and_saveexec_b64 s[40:41], vcc
	s_xor_b64 s[48:49], exec, s[40:41]
	s_cbranch_execz .LBB6_10074
; %bb.10057:                            ;   in Loop: Header=BB6_9212 Depth=3
	v_and_b32_e32 v52, 0x7fffffff, v1
	v_cmp_gt_u64_e32 vcc, s[78:79], v[52:53]
	v_and_b32_sdwa v7, v1, s82 dst_sel:DWORD dst_unused:UNUSED_PAD src0_sel:BYTE_3 src1_sel:DWORD
                                        ; implicit-def: $vgpr3
	s_and_saveexec_b64 s[40:41], vcc
	s_xor_b64 s[50:51], exec, s[40:41]
	s_cbranch_execz .LBB6_10071
; %bb.10058:                            ;   in Loop: Header=BB6_9212 Depth=3
	v_cmp_ne_u32_e32 vcc, 0, v1
	v_mov_b32_e32 v3, 0
	s_and_saveexec_b64 s[52:53], vcc
	s_cbranch_execz .LBB6_10070
; %bb.10059:                            ;   in Loop: Header=BB6_9212 Depth=3
	v_bfe_u32 v3, v1, 23, 8
	v_and_b32_e32 v0, 0x7fffff, v1
	v_cmp_gt_u32_e64 s[40:41], s85, v3
	v_sub_u32_e32 v1, 0x79, v3
	v_cmp_eq_u32_e32 vcc, 0, v3
	v_cndmask_b32_e64 v1, 0, v1, s[40:41]
	v_mov_b32_e32 v19, 0x78
	v_or_b32_e32 v2, 0x800000, v0
	v_cndmask_b32_e32 v19, v1, v19, vcc
	v_cndmask_b32_e32 v52, v2, v0, vcc
	v_add_u32_e32 v0, 20, v19
	v_lshlrev_b64 v[0:1], v0, -1
	v_add_u32_e32 v2, 19, v19
	v_lshlrev_b64 v[20:21], v2, 1
	v_bfi_b32 v1, v1, 0, 0
	v_bfi_b32 v0, v0, 0, v52
	v_cmp_eq_u64_e64 s[40:41], v[0:1], v[20:21]
	v_lshrrev_b64 v[0:1], v19, v[52:53]
	v_mov_b32_e32 v2, v1
	v_mov_b32_e32 v1, v0
	s_and_saveexec_b64 s[54:55], s[40:41]
; %bb.10060:                            ;   in Loop: Header=BB6_9212 Depth=3
	v_bfe_u32 v1, v0, 20, 1
	v_add_co_u32_e64 v1, s[40:41], v0, v1
	v_add_co_u32_e64 v1, s[40:41], -1, v1
; %bb.10061:                            ;   in Loop: Header=BB6_9212 Depth=3
	s_or_b64 exec, exec, s[54:55]
	v_add_u32_e32 v2, 0xffffff81, v3
	v_mov_b32_e32 v3, 0xffffff82
	v_cndmask_b32_e32 v2, v2, v3, vcc
	v_lshrrev_b32_e32 v3, 23, v0
	v_add3_u32 v19, v19, v2, v3
	v_add_u32_e32 v3, 6, v19
	v_and_b32_e32 v1, 0xfffff, v1
	v_add_u32_e32 v52, v1, v0
	v_cmp_ne_u32_e32 vcc, 0, v3
                                        ; implicit-def: $vgpr0_vgpr1
                                        ; implicit-def: $vgpr2
	s_and_saveexec_b64 s[40:41], vcc
	s_xor_b64 s[40:41], exec, s[40:41]
; %bb.10062:                            ;   in Loop: Header=BB6_9212 Depth=3
	v_cmp_lt_u64_e32 vcc, s[88:89], v[52:53]
	v_add_u32_e32 v0, 7, v19
	v_cndmask_b32_e32 v2, v3, v0, vcc
	v_cndmask_b32_e64 v0, 0, 1, vcc
	v_lshrrev_b64 v[0:1], v0, v[52:53]
; %bb.10063:                            ;   in Loop: Header=BB6_9212 Depth=3
	s_andn2_saveexec_b64 s[40:41], s[40:41]
; %bb.10064:                            ;   in Loop: Header=BB6_9212 Depth=3
	v_mov_b32_e32 v0, v52
	v_mov_b32_e32 v1, v53
	v_bfe_u32 v2, v52, 23, 1
; %bb.10065:                            ;   in Loop: Header=BB6_9212 Depth=3
	s_or_b64 exec, exec, s[40:41]
	v_lshrrev_b64 v[0:1], 20, v[0:1]
	v_cmp_gt_i32_e32 vcc, 16, v2
	v_cndmask_b32_e32 v1, 0, v1, vcc
	v_cndmask_b32_e32 v0, 7, v0, vcc
	v_cmp_ne_u64_e32 vcc, 0, v[0:1]
	v_cmp_ne_u32_e64 s[40:41], 0, v2
	s_or_b64 s[40:41], s[40:41], vcc
                                        ; implicit-def: $vgpr3
	s_and_saveexec_b64 vcc, s[40:41]
	s_xor_b64 s[40:41], exec, vcc
; %bb.10066:                            ;   in Loop: Header=BB6_9212 Depth=3
	v_min_i32_e32 v1, 15, v2
	v_lshl_or_b32 v1, v1, 3, v7
	v_and_or_b32 v3, v0, 7, v1
                                        ; implicit-def: $vgpr7
; %bb.10067:                            ;   in Loop: Header=BB6_9212 Depth=3
	s_andn2_saveexec_b64 s[40:41], s[40:41]
; %bb.10068:                            ;   in Loop: Header=BB6_9212 Depth=3
	v_mov_b32_e32 v3, v7
; %bb.10069:                            ;   in Loop: Header=BB6_9212 Depth=3
	s_or_b64 exec, exec, s[40:41]
.LBB6_10070:                            ;   in Loop: Header=BB6_9212 Depth=3
	s_or_b64 exec, exec, s[52:53]
                                        ; implicit-def: $vgpr7
.LBB6_10071:                            ;   in Loop: Header=BB6_9212 Depth=3
	s_andn2_saveexec_b64 s[40:41], s[50:51]
; %bb.10072:                            ;   in Loop: Header=BB6_9212 Depth=3
	v_or_b32_e32 v3, 0x7e, v7
; %bb.10073:                            ;   in Loop: Header=BB6_9212 Depth=3
	s_or_b64 exec, exec, s[40:41]
                                        ; implicit-def: $vgpr1
.LBB6_10074:                            ;   in Loop: Header=BB6_9212 Depth=3
	s_andn2_saveexec_b64 s[40:41], s[48:49]
; %bb.10075:                            ;   in Loop: Header=BB6_9212 Depth=3
	v_or_b32_sdwa v3, v1, s83 dst_sel:DWORD dst_unused:UNUSED_PAD src0_sel:BYTE_3 src1_sel:DWORD
; %bb.10076:                            ;   in Loop: Header=BB6_9212 Depth=3
	s_or_b64 exec, exec, s[40:41]
	v_and_b32_e32 v0, 0xff, v14
	v_cmp_ne_u16_e64 s[40:41], 0, v0
	s_and_b64 vcc, exec, s[28:29]
	s_mov_b64 s[48:49], -1
                                        ; implicit-def: $vgpr1
	s_cbranch_vccnz .LBB6_10090
; %bb.10077:                            ;   in Loop: Header=BB6_9212 Depth=3
	v_mov_b32_e32 v7, 0
	v_mov_b32_e32 v2, 0
	s_and_saveexec_b64 s[48:49], s[40:41]
	s_cbranch_execz .LBB6_10083
; %bb.10078:                            ;   in Loop: Header=BB6_9212 Depth=3
	v_cmp_ne_u16_e32 vcc, s82, v0
	v_bfrev_b32_e32 v2, 1
	s_and_saveexec_b64 s[50:51], vcc
	s_cbranch_execz .LBB6_10082
; %bb.10079:                            ;   in Loop: Header=BB6_9212 Depth=3
	v_and_b32_e32 v1, 0x7f, v14
	v_cmp_ne_u32_e32 vcc, s83, v1
	v_mov_b32_e32 v2, 0x7f800001
	s_and_saveexec_b64 s[52:53], vcc
	s_cbranch_execz .LBB6_10081
; %bb.10080:                            ;   in Loop: Header=BB6_9212 Depth=3
	v_and_b32_e32 v19, 7, v0
	v_lshrrev_b32_e32 v20, 3, v1
	v_cmp_gt_u32_e32 vcc, 8, v1
	v_ffbh_u32_e32 v1, v19
	v_min_u32_e32 v21, 32, v1
	v_subrev_u32_e32 v1, 28, v21
	v_lshlrev_b64 v[1:2], v1, v[0:1]
	v_sub_u32_e32 v2, 29, v21
	v_and_b32_e32 v1, 7, v1
	v_cndmask_b32_e32 v2, v20, v2, vcc
	v_cndmask_b32_e32 v1, v19, v1, vcc
	v_lshlrev_b32_e32 v19, 24, v14
	v_bfrev_b32_e32 v20, 60
	v_lshlrev_b32_e32 v1, 20, v1
	v_and_b32_e32 v19, 0x80000000, v19
	v_lshl_add_u32 v2, v2, 23, v20
	v_or3_b32 v2, v19, v2, v1
.LBB6_10081:                            ;   in Loop: Header=BB6_9212 Depth=3
	s_or_b64 exec, exec, s[52:53]
.LBB6_10082:                            ;   in Loop: Header=BB6_9212 Depth=3
	s_or_b64 exec, exec, s[50:51]
.LBB6_10083:                            ;   in Loop: Header=BB6_9212 Depth=3
	s_or_b64 exec, exec, s[48:49]
	v_and_b32_e32 v1, 0xff, v50
	v_cmp_ne_u16_e32 vcc, 0, v1
	s_and_saveexec_b64 s[48:49], vcc
	s_cbranch_execz .LBB6_10089
; %bb.10084:                            ;   in Loop: Header=BB6_9212 Depth=3
	v_cmp_ne_u16_e32 vcc, s82, v1
	v_bfrev_b32_e32 v7, 1
	s_and_saveexec_b64 s[50:51], vcc
	s_cbranch_execz .LBB6_10088
; %bb.10085:                            ;   in Loop: Header=BB6_9212 Depth=3
	v_and_b32_e32 v19, 0x7f, v50
	v_cmp_ne_u32_e32 vcc, s83, v19
	v_mov_b32_e32 v7, 0x7f800001
	s_and_saveexec_b64 s[52:53], vcc
	s_cbranch_execz .LBB6_10087
; %bb.10086:                            ;   in Loop: Header=BB6_9212 Depth=3
	v_and_b32_e32 v7, 7, v1
	v_lshrrev_b32_e32 v21, 3, v19
	v_cmp_gt_u32_e32 vcc, 8, v19
	v_ffbh_u32_e32 v19, v7
	v_min_u32_e32 v23, 32, v19
	v_subrev_u32_e32 v19, 28, v23
	v_lshlrev_b64 v[19:20], v19, v[1:2]
	v_sub_u32_e32 v1, 29, v23
	v_and_b32_e32 v19, 7, v19
	v_cndmask_b32_e32 v1, v21, v1, vcc
	v_cndmask_b32_e32 v7, v7, v19, vcc
	v_lshlrev_b32_e32 v19, 24, v50
	v_bfrev_b32_e32 v20, 60
	v_lshlrev_b32_e32 v7, 20, v7
	v_and_b32_e32 v19, 0x80000000, v19
	v_lshl_add_u32 v1, v1, 23, v20
	v_or3_b32 v7, v19, v1, v7
.LBB6_10087:                            ;   in Loop: Header=BB6_9212 Depth=3
	s_or_b64 exec, exec, s[52:53]
.LBB6_10088:                            ;   in Loop: Header=BB6_9212 Depth=3
	s_or_b64 exec, exec, s[50:51]
.LBB6_10089:                            ;   in Loop: Header=BB6_9212 Depth=3
	s_or_b64 exec, exec, s[48:49]
	v_max_f32_e32 v1, v7, v7
	v_max_f32_e32 v2, v2, v2
	;; [unrolled: 1-line block ×3, first 2 shown]
	s_mov_b64 s[48:49], 0
.LBB6_10090:                            ;   in Loop: Header=BB6_9212 Depth=3
	s_and_b64 vcc, exec, s[48:49]
	s_cbranch_vccz .LBB6_10104
; %bb.10091:                            ;   in Loop: Header=BB6_9212 Depth=3
	v_mov_b32_e32 v2, 0
	v_mov_b32_e32 v1, 0
	s_and_saveexec_b64 s[48:49], s[40:41]
	s_cbranch_execz .LBB6_10097
; %bb.10092:                            ;   in Loop: Header=BB6_9212 Depth=3
	v_cmp_ne_u16_e32 vcc, s82, v0
	v_bfrev_b32_e32 v1, 1
	s_and_saveexec_b64 s[40:41], vcc
	s_cbranch_execz .LBB6_10096
; %bb.10093:                            ;   in Loop: Header=BB6_9212 Depth=3
	v_and_b32_e32 v7, 0x7f, v14
	v_cmp_ne_u32_e32 vcc, s83, v7
	v_mov_b32_e32 v1, 0x7f800001
	s_and_saveexec_b64 s[50:51], vcc
	s_cbranch_execz .LBB6_10095
; %bb.10094:                            ;   in Loop: Header=BB6_9212 Depth=3
	v_and_b32_e32 v19, 7, v0
	v_ffbh_u32_e32 v1, v19
	v_lshrrev_b32_e32 v20, 3, v7
	v_cmp_gt_u32_e32 vcc, 8, v7
	v_min_u32_e32 v7, 32, v1
	v_subrev_u32_e32 v1, 28, v7
	v_lshlrev_b64 v[0:1], v1, v[0:1]
	v_sub_u32_e32 v1, 29, v7
	v_and_b32_e32 v0, 7, v0
	v_cndmask_b32_e32 v1, v20, v1, vcc
	v_cndmask_b32_e32 v0, v19, v0, vcc
	v_lshlrev_b32_e32 v7, 24, v14
	v_bfrev_b32_e32 v14, 60
	v_lshlrev_b32_e32 v0, 20, v0
	v_and_b32_e32 v7, 0x80000000, v7
	v_lshl_add_u32 v1, v1, 23, v14
	v_or3_b32 v1, v7, v1, v0
.LBB6_10095:                            ;   in Loop: Header=BB6_9212 Depth=3
	s_or_b64 exec, exec, s[50:51]
.LBB6_10096:                            ;   in Loop: Header=BB6_9212 Depth=3
	s_or_b64 exec, exec, s[40:41]
.LBB6_10097:                            ;   in Loop: Header=BB6_9212 Depth=3
	s_or_b64 exec, exec, s[48:49]
	v_and_b32_e32 v0, 0xff, v50
	v_cmp_ne_u16_e32 vcc, 0, v0
	s_and_saveexec_b64 s[40:41], vcc
	s_cbranch_execz .LBB6_10103
; %bb.10098:                            ;   in Loop: Header=BB6_9212 Depth=3
	v_cmp_ne_u16_e32 vcc, s82, v0
	v_bfrev_b32_e32 v2, 1
	s_and_saveexec_b64 s[48:49], vcc
	s_cbranch_execz .LBB6_10102
; %bb.10099:                            ;   in Loop: Header=BB6_9212 Depth=3
	v_and_b32_e32 v7, 0x7f, v50
	v_cmp_ne_u32_e32 vcc, s83, v7
	v_mov_b32_e32 v2, 0x7f800001
	s_and_saveexec_b64 s[50:51], vcc
	s_cbranch_execz .LBB6_10101
; %bb.10100:                            ;   in Loop: Header=BB6_9212 Depth=3
	v_and_b32_e32 v2, 7, v0
	v_lshrrev_b32_e32 v14, 3, v7
	v_cmp_gt_u32_e32 vcc, 8, v7
	v_ffbh_u32_e32 v7, v2
	v_min_u32_e32 v7, 32, v7
	v_subrev_u32_e32 v19, 28, v7
	v_lshlrev_b64 v[19:20], v19, v[0:1]
	v_sub_u32_e32 v0, 29, v7
	v_and_b32_e32 v7, 7, v19
	v_cndmask_b32_e32 v0, v14, v0, vcc
	v_cndmask_b32_e32 v2, v2, v7, vcc
	v_lshlrev_b32_e32 v7, 24, v50
	v_bfrev_b32_e32 v14, 60
	v_lshlrev_b32_e32 v2, 20, v2
	v_and_b32_e32 v7, 0x80000000, v7
	v_lshl_add_u32 v0, v0, 23, v14
	v_or3_b32 v2, v7, v0, v2
.LBB6_10101:                            ;   in Loop: Header=BB6_9212 Depth=3
	s_or_b64 exec, exec, s[50:51]
.LBB6_10102:                            ;   in Loop: Header=BB6_9212 Depth=3
	s_or_b64 exec, exec, s[48:49]
.LBB6_10103:                            ;   in Loop: Header=BB6_9212 Depth=3
	s_or_b64 exec, exec, s[40:41]
	v_max_f32_e32 v0, v2, v2
	v_max_f32_e32 v1, v1, v1
	v_min_f32_e32 v1, v1, v0
.LBB6_10104:                            ;   in Loop: Header=BB6_9212 Depth=3
	v_and_b32_e32 v52, 0x7f800000, v1
	v_cmp_ne_u64_e32 vcc, s[76:77], v[52:53]
                                        ; implicit-def: $vgpr7
	s_and_saveexec_b64 s[40:41], vcc
	s_xor_b64 s[48:49], exec, s[40:41]
	s_cbranch_execz .LBB6_10122
; %bb.10105:                            ;   in Loop: Header=BB6_9212 Depth=3
	v_and_b32_e32 v52, 0x7fffffff, v1
	v_cmp_gt_u64_e32 vcc, s[78:79], v[52:53]
	v_and_b32_sdwa v14, v1, s82 dst_sel:DWORD dst_unused:UNUSED_PAD src0_sel:BYTE_3 src1_sel:DWORD
                                        ; implicit-def: $vgpr7
	s_and_saveexec_b64 s[40:41], vcc
	s_xor_b64 s[50:51], exec, s[40:41]
	s_cbranch_execz .LBB6_10119
; %bb.10106:                            ;   in Loop: Header=BB6_9212 Depth=3
	v_cmp_ne_u32_e32 vcc, 0, v1
	v_mov_b32_e32 v7, 0
	s_and_saveexec_b64 s[52:53], vcc
	s_cbranch_execz .LBB6_10118
; %bb.10107:                            ;   in Loop: Header=BB6_9212 Depth=3
	v_bfe_u32 v7, v1, 23, 8
	v_and_b32_e32 v0, 0x7fffff, v1
	v_cmp_gt_u32_e64 s[40:41], s85, v7
	v_sub_u32_e32 v1, 0x79, v7
	v_cmp_eq_u32_e32 vcc, 0, v7
	v_cndmask_b32_e64 v1, 0, v1, s[40:41]
	v_mov_b32_e32 v19, 0x78
	v_or_b32_e32 v2, 0x800000, v0
	v_cndmask_b32_e32 v19, v1, v19, vcc
	v_cndmask_b32_e32 v52, v2, v0, vcc
	v_add_u32_e32 v0, 20, v19
	v_lshlrev_b64 v[0:1], v0, -1
	v_add_u32_e32 v2, 19, v19
	v_lshlrev_b64 v[20:21], v2, 1
	v_bfi_b32 v1, v1, 0, 0
	v_bfi_b32 v0, v0, 0, v52
	v_cmp_eq_u64_e64 s[40:41], v[0:1], v[20:21]
	v_lshrrev_b64 v[0:1], v19, v[52:53]
	v_mov_b32_e32 v2, v1
	v_mov_b32_e32 v1, v0
	s_and_saveexec_b64 s[54:55], s[40:41]
; %bb.10108:                            ;   in Loop: Header=BB6_9212 Depth=3
	v_bfe_u32 v1, v0, 20, 1
	v_add_co_u32_e64 v1, s[40:41], v0, v1
	v_add_co_u32_e64 v1, s[40:41], -1, v1
; %bb.10109:                            ;   in Loop: Header=BB6_9212 Depth=3
	s_or_b64 exec, exec, s[54:55]
	v_add_u32_e32 v2, 0xffffff81, v7
	v_mov_b32_e32 v7, 0xffffff82
	v_cndmask_b32_e32 v2, v2, v7, vcc
	v_lshrrev_b32_e32 v7, 23, v0
	v_add3_u32 v19, v19, v2, v7
	v_add_u32_e32 v7, 6, v19
	v_and_b32_e32 v1, 0xfffff, v1
	v_add_u32_e32 v52, v1, v0
	v_cmp_ne_u32_e32 vcc, 0, v7
                                        ; implicit-def: $vgpr0_vgpr1
                                        ; implicit-def: $vgpr2
	s_and_saveexec_b64 s[40:41], vcc
	s_xor_b64 s[40:41], exec, s[40:41]
; %bb.10110:                            ;   in Loop: Header=BB6_9212 Depth=3
	v_cmp_lt_u64_e32 vcc, s[88:89], v[52:53]
	v_add_u32_e32 v0, 7, v19
	v_cndmask_b32_e32 v2, v7, v0, vcc
	v_cndmask_b32_e64 v0, 0, 1, vcc
	v_lshrrev_b64 v[0:1], v0, v[52:53]
; %bb.10111:                            ;   in Loop: Header=BB6_9212 Depth=3
	s_andn2_saveexec_b64 s[40:41], s[40:41]
; %bb.10112:                            ;   in Loop: Header=BB6_9212 Depth=3
	v_mov_b32_e32 v0, v52
	v_mov_b32_e32 v1, v53
	v_bfe_u32 v2, v52, 23, 1
; %bb.10113:                            ;   in Loop: Header=BB6_9212 Depth=3
	s_or_b64 exec, exec, s[40:41]
	v_lshrrev_b64 v[0:1], 20, v[0:1]
	v_cmp_gt_i32_e32 vcc, 16, v2
	v_cndmask_b32_e32 v1, 0, v1, vcc
	v_cndmask_b32_e32 v0, 7, v0, vcc
	v_cmp_ne_u64_e32 vcc, 0, v[0:1]
	v_cmp_ne_u32_e64 s[40:41], 0, v2
	s_or_b64 s[40:41], s[40:41], vcc
                                        ; implicit-def: $vgpr7
	s_and_saveexec_b64 vcc, s[40:41]
	s_xor_b64 s[40:41], exec, vcc
; %bb.10114:                            ;   in Loop: Header=BB6_9212 Depth=3
	v_min_i32_e32 v1, 15, v2
	v_lshl_or_b32 v1, v1, 3, v14
	v_and_or_b32 v7, v0, 7, v1
                                        ; implicit-def: $vgpr14
; %bb.10115:                            ;   in Loop: Header=BB6_9212 Depth=3
	s_andn2_saveexec_b64 s[40:41], s[40:41]
; %bb.10116:                            ;   in Loop: Header=BB6_9212 Depth=3
	v_mov_b32_e32 v7, v14
; %bb.10117:                            ;   in Loop: Header=BB6_9212 Depth=3
	s_or_b64 exec, exec, s[40:41]
.LBB6_10118:                            ;   in Loop: Header=BB6_9212 Depth=3
	s_or_b64 exec, exec, s[52:53]
                                        ; implicit-def: $vgpr14
.LBB6_10119:                            ;   in Loop: Header=BB6_9212 Depth=3
	s_andn2_saveexec_b64 s[40:41], s[50:51]
; %bb.10120:                            ;   in Loop: Header=BB6_9212 Depth=3
	v_or_b32_e32 v7, 0x7e, v14
; %bb.10121:                            ;   in Loop: Header=BB6_9212 Depth=3
	s_or_b64 exec, exec, s[40:41]
                                        ; implicit-def: $vgpr1
.LBB6_10122:                            ;   in Loop: Header=BB6_9212 Depth=3
	s_andn2_saveexec_b64 s[40:41], s[48:49]
; %bb.10123:                            ;   in Loop: Header=BB6_9212 Depth=3
	v_or_b32_sdwa v7, v1, s83 dst_sel:DWORD dst_unused:UNUSED_PAD src0_sel:BYTE_3 src1_sel:DWORD
; %bb.10124:                            ;   in Loop: Header=BB6_9212 Depth=3
	s_or_b64 exec, exec, s[40:41]
	v_and_b32_e32 v0, 0xff, v49
	v_cmp_ne_u16_e64 s[40:41], 0, v0
	s_and_b64 vcc, exec, s[28:29]
	s_mov_b64 s[48:49], -1
                                        ; implicit-def: $vgpr1
	s_cbranch_vccnz .LBB6_10138
; %bb.10125:                            ;   in Loop: Header=BB6_9212 Depth=3
	v_mov_b32_e32 v14, 0
	v_mov_b32_e32 v2, 0
	s_and_saveexec_b64 s[48:49], s[40:41]
	s_cbranch_execz .LBB6_10131
; %bb.10126:                            ;   in Loop: Header=BB6_9212 Depth=3
	v_cmp_ne_u16_e32 vcc, s82, v0
	v_bfrev_b32_e32 v2, 1
	s_and_saveexec_b64 s[50:51], vcc
	s_cbranch_execz .LBB6_10130
; %bb.10127:                            ;   in Loop: Header=BB6_9212 Depth=3
	v_and_b32_e32 v1, 0x7f, v49
	v_cmp_ne_u32_e32 vcc, s83, v1
	v_mov_b32_e32 v2, 0x7f800001
	s_and_saveexec_b64 s[52:53], vcc
	s_cbranch_execz .LBB6_10129
; %bb.10128:                            ;   in Loop: Header=BB6_9212 Depth=3
	v_and_b32_e32 v19, 7, v0
	v_lshrrev_b32_e32 v20, 3, v1
	v_cmp_gt_u32_e32 vcc, 8, v1
	v_ffbh_u32_e32 v1, v19
	v_min_u32_e32 v21, 32, v1
	v_subrev_u32_e32 v1, 28, v21
	v_lshlrev_b64 v[1:2], v1, v[0:1]
	v_sub_u32_e32 v2, 29, v21
	v_and_b32_e32 v1, 7, v1
	v_cndmask_b32_e32 v2, v20, v2, vcc
	v_cndmask_b32_e32 v1, v19, v1, vcc
	v_lshlrev_b32_e32 v19, 24, v49
	v_bfrev_b32_e32 v20, 60
	v_lshlrev_b32_e32 v1, 20, v1
	v_and_b32_e32 v19, 0x80000000, v19
	v_lshl_add_u32 v2, v2, 23, v20
	v_or3_b32 v2, v19, v2, v1
.LBB6_10129:                            ;   in Loop: Header=BB6_9212 Depth=3
	s_or_b64 exec, exec, s[52:53]
.LBB6_10130:                            ;   in Loop: Header=BB6_9212 Depth=3
	s_or_b64 exec, exec, s[50:51]
.LBB6_10131:                            ;   in Loop: Header=BB6_9212 Depth=3
	s_or_b64 exec, exec, s[48:49]
	v_and_b32_e32 v1, 0xff, v40
	v_cmp_ne_u16_e32 vcc, 0, v1
	s_and_saveexec_b64 s[48:49], vcc
	s_cbranch_execz .LBB6_10137
; %bb.10132:                            ;   in Loop: Header=BB6_9212 Depth=3
	v_cmp_ne_u16_e32 vcc, s82, v1
	v_bfrev_b32_e32 v14, 1
	s_and_saveexec_b64 s[50:51], vcc
	s_cbranch_execz .LBB6_10136
; %bb.10133:                            ;   in Loop: Header=BB6_9212 Depth=3
	v_and_b32_e32 v19, 0x7f, v40
	v_cmp_ne_u32_e32 vcc, s83, v19
	v_mov_b32_e32 v14, 0x7f800001
	s_and_saveexec_b64 s[52:53], vcc
	s_cbranch_execz .LBB6_10135
; %bb.10134:                            ;   in Loop: Header=BB6_9212 Depth=3
	v_and_b32_e32 v14, 7, v1
	v_lshrrev_b32_e32 v21, 3, v19
	v_cmp_gt_u32_e32 vcc, 8, v19
	v_ffbh_u32_e32 v19, v14
	v_min_u32_e32 v23, 32, v19
	v_subrev_u32_e32 v19, 28, v23
	v_lshlrev_b64 v[19:20], v19, v[1:2]
	v_sub_u32_e32 v1, 29, v23
	v_and_b32_e32 v19, 7, v19
	v_cndmask_b32_e32 v1, v21, v1, vcc
	v_cndmask_b32_e32 v14, v14, v19, vcc
	v_lshlrev_b32_e32 v19, 24, v40
	v_bfrev_b32_e32 v20, 60
	v_lshlrev_b32_e32 v14, 20, v14
	v_and_b32_e32 v19, 0x80000000, v19
	v_lshl_add_u32 v1, v1, 23, v20
	v_or3_b32 v14, v19, v1, v14
.LBB6_10135:                            ;   in Loop: Header=BB6_9212 Depth=3
	s_or_b64 exec, exec, s[52:53]
.LBB6_10136:                            ;   in Loop: Header=BB6_9212 Depth=3
	s_or_b64 exec, exec, s[50:51]
.LBB6_10137:                            ;   in Loop: Header=BB6_9212 Depth=3
	s_or_b64 exec, exec, s[48:49]
	v_max_f32_e32 v1, v14, v14
	v_max_f32_e32 v2, v2, v2
	;; [unrolled: 1-line block ×3, first 2 shown]
	s_mov_b64 s[48:49], 0
.LBB6_10138:                            ;   in Loop: Header=BB6_9212 Depth=3
	s_and_b64 vcc, exec, s[48:49]
	s_cbranch_vccz .LBB6_10152
; %bb.10139:                            ;   in Loop: Header=BB6_9212 Depth=3
	v_mov_b32_e32 v2, 0
	v_mov_b32_e32 v1, 0
	s_and_saveexec_b64 s[48:49], s[40:41]
	s_cbranch_execz .LBB6_10145
; %bb.10140:                            ;   in Loop: Header=BB6_9212 Depth=3
	v_cmp_ne_u16_e32 vcc, s82, v0
	v_bfrev_b32_e32 v1, 1
	s_and_saveexec_b64 s[40:41], vcc
	s_cbranch_execz .LBB6_10144
; %bb.10141:                            ;   in Loop: Header=BB6_9212 Depth=3
	v_and_b32_e32 v14, 0x7f, v49
	v_cmp_ne_u32_e32 vcc, s83, v14
	v_mov_b32_e32 v1, 0x7f800001
	s_and_saveexec_b64 s[50:51], vcc
	s_cbranch_execz .LBB6_10143
; %bb.10142:                            ;   in Loop: Header=BB6_9212 Depth=3
	v_and_b32_e32 v19, 7, v0
	v_ffbh_u32_e32 v1, v19
	v_lshrrev_b32_e32 v20, 3, v14
	v_cmp_gt_u32_e32 vcc, 8, v14
	v_min_u32_e32 v14, 32, v1
	v_subrev_u32_e32 v1, 28, v14
	v_lshlrev_b64 v[0:1], v1, v[0:1]
	v_sub_u32_e32 v1, 29, v14
	v_and_b32_e32 v0, 7, v0
	v_cndmask_b32_e32 v1, v20, v1, vcc
	v_cndmask_b32_e32 v0, v19, v0, vcc
	v_lshlrev_b32_e32 v14, 24, v49
	v_bfrev_b32_e32 v19, 60
	v_lshlrev_b32_e32 v0, 20, v0
	v_and_b32_e32 v14, 0x80000000, v14
	v_lshl_add_u32 v1, v1, 23, v19
	v_or3_b32 v1, v14, v1, v0
.LBB6_10143:                            ;   in Loop: Header=BB6_9212 Depth=3
	s_or_b64 exec, exec, s[50:51]
.LBB6_10144:                            ;   in Loop: Header=BB6_9212 Depth=3
	s_or_b64 exec, exec, s[40:41]
.LBB6_10145:                            ;   in Loop: Header=BB6_9212 Depth=3
	s_or_b64 exec, exec, s[48:49]
	v_and_b32_e32 v0, 0xff, v40
	v_cmp_ne_u16_e32 vcc, 0, v0
	s_and_saveexec_b64 s[40:41], vcc
	s_cbranch_execz .LBB6_10151
; %bb.10146:                            ;   in Loop: Header=BB6_9212 Depth=3
	v_cmp_ne_u16_e32 vcc, s82, v0
	v_bfrev_b32_e32 v2, 1
	s_and_saveexec_b64 s[48:49], vcc
	s_cbranch_execz .LBB6_10150
; %bb.10147:                            ;   in Loop: Header=BB6_9212 Depth=3
	v_and_b32_e32 v14, 0x7f, v40
	v_cmp_ne_u32_e32 vcc, s83, v14
	v_mov_b32_e32 v2, 0x7f800001
	s_and_saveexec_b64 s[50:51], vcc
	s_cbranch_execz .LBB6_10149
; %bb.10148:                            ;   in Loop: Header=BB6_9212 Depth=3
	v_and_b32_e32 v2, 7, v0
	v_lshrrev_b32_e32 v21, 3, v14
	v_cmp_gt_u32_e32 vcc, 8, v14
	v_ffbh_u32_e32 v14, v2
	v_min_u32_e32 v14, 32, v14
	v_subrev_u32_e32 v19, 28, v14
	v_lshlrev_b64 v[19:20], v19, v[0:1]
	v_sub_u32_e32 v0, 29, v14
	v_and_b32_e32 v14, 7, v19
	v_cndmask_b32_e32 v0, v21, v0, vcc
	v_cndmask_b32_e32 v2, v2, v14, vcc
	v_lshlrev_b32_e32 v14, 24, v40
	v_bfrev_b32_e32 v19, 60
	v_lshlrev_b32_e32 v2, 20, v2
	v_and_b32_e32 v14, 0x80000000, v14
	v_lshl_add_u32 v0, v0, 23, v19
	v_or3_b32 v2, v14, v0, v2
.LBB6_10149:                            ;   in Loop: Header=BB6_9212 Depth=3
	s_or_b64 exec, exec, s[50:51]
.LBB6_10150:                            ;   in Loop: Header=BB6_9212 Depth=3
	s_or_b64 exec, exec, s[48:49]
.LBB6_10151:                            ;   in Loop: Header=BB6_9212 Depth=3
	s_or_b64 exec, exec, s[40:41]
	v_max_f32_e32 v0, v2, v2
	v_max_f32_e32 v1, v1, v1
	v_min_f32_e32 v1, v1, v0
.LBB6_10152:                            ;   in Loop: Header=BB6_9212 Depth=3
	v_and_b32_e32 v52, 0x7f800000, v1
	v_cmp_ne_u64_e32 vcc, s[76:77], v[52:53]
                                        ; implicit-def: $vgpr14
	s_and_saveexec_b64 s[40:41], vcc
	s_xor_b64 s[48:49], exec, s[40:41]
	s_cbranch_execz .LBB6_10170
; %bb.10153:                            ;   in Loop: Header=BB6_9212 Depth=3
	v_and_b32_e32 v52, 0x7fffffff, v1
	v_cmp_gt_u64_e32 vcc, s[78:79], v[52:53]
	v_and_b32_sdwa v19, v1, s82 dst_sel:DWORD dst_unused:UNUSED_PAD src0_sel:BYTE_3 src1_sel:DWORD
                                        ; implicit-def: $vgpr14
	s_and_saveexec_b64 s[40:41], vcc
	s_xor_b64 s[50:51], exec, s[40:41]
	s_cbranch_execz .LBB6_10167
; %bb.10154:                            ;   in Loop: Header=BB6_9212 Depth=3
	v_cmp_ne_u32_e32 vcc, 0, v1
	v_mov_b32_e32 v14, 0
	s_and_saveexec_b64 s[52:53], vcc
	s_cbranch_execz .LBB6_10166
; %bb.10155:                            ;   in Loop: Header=BB6_9212 Depth=3
	v_bfe_u32 v14, v1, 23, 8
	v_and_b32_e32 v0, 0x7fffff, v1
	v_cmp_gt_u32_e64 s[40:41], s85, v14
	v_sub_u32_e32 v1, 0x79, v14
	v_cmp_eq_u32_e32 vcc, 0, v14
	v_cndmask_b32_e64 v1, 0, v1, s[40:41]
	v_mov_b32_e32 v20, 0x78
	v_or_b32_e32 v2, 0x800000, v0
	v_cndmask_b32_e32 v20, v1, v20, vcc
	v_cndmask_b32_e32 v52, v2, v0, vcc
	v_add_u32_e32 v0, 20, v20
	v_lshlrev_b64 v[0:1], v0, -1
	v_add_u32_e32 v2, 19, v20
	v_lshlrev_b64 v[23:24], v2, 1
	v_bfi_b32 v1, v1, 0, 0
	v_bfi_b32 v0, v0, 0, v52
	v_cmp_eq_u64_e64 s[40:41], v[0:1], v[23:24]
	v_lshrrev_b64 v[0:1], v20, v[52:53]
	v_mov_b32_e32 v2, v1
	v_mov_b32_e32 v1, v0
	s_and_saveexec_b64 s[54:55], s[40:41]
; %bb.10156:                            ;   in Loop: Header=BB6_9212 Depth=3
	v_bfe_u32 v1, v0, 20, 1
	v_add_co_u32_e64 v1, s[40:41], v0, v1
	v_add_co_u32_e64 v1, s[40:41], -1, v1
; %bb.10157:                            ;   in Loop: Header=BB6_9212 Depth=3
	s_or_b64 exec, exec, s[54:55]
	v_add_u32_e32 v2, 0xffffff81, v14
	v_mov_b32_e32 v14, 0xffffff82
	v_cndmask_b32_e32 v2, v2, v14, vcc
	v_lshrrev_b32_e32 v14, 23, v0
	v_add3_u32 v20, v20, v2, v14
	v_add_u32_e32 v14, 6, v20
	v_and_b32_e32 v1, 0xfffff, v1
	v_add_u32_e32 v52, v1, v0
	v_cmp_ne_u32_e32 vcc, 0, v14
                                        ; implicit-def: $vgpr0_vgpr1
                                        ; implicit-def: $vgpr2
	s_and_saveexec_b64 s[40:41], vcc
	s_xor_b64 s[40:41], exec, s[40:41]
; %bb.10158:                            ;   in Loop: Header=BB6_9212 Depth=3
	v_cmp_lt_u64_e32 vcc, s[88:89], v[52:53]
	v_add_u32_e32 v0, 7, v20
	v_cndmask_b32_e32 v2, v14, v0, vcc
	v_cndmask_b32_e64 v0, 0, 1, vcc
	v_lshrrev_b64 v[0:1], v0, v[52:53]
; %bb.10159:                            ;   in Loop: Header=BB6_9212 Depth=3
	s_andn2_saveexec_b64 s[40:41], s[40:41]
; %bb.10160:                            ;   in Loop: Header=BB6_9212 Depth=3
	v_mov_b32_e32 v0, v52
	v_mov_b32_e32 v1, v53
	v_bfe_u32 v2, v52, 23, 1
; %bb.10161:                            ;   in Loop: Header=BB6_9212 Depth=3
	s_or_b64 exec, exec, s[40:41]
	v_lshrrev_b64 v[0:1], 20, v[0:1]
	v_cmp_gt_i32_e32 vcc, 16, v2
	v_cndmask_b32_e32 v1, 0, v1, vcc
	v_cndmask_b32_e32 v0, 7, v0, vcc
	v_cmp_ne_u64_e32 vcc, 0, v[0:1]
	v_cmp_ne_u32_e64 s[40:41], 0, v2
	s_or_b64 s[40:41], s[40:41], vcc
                                        ; implicit-def: $vgpr14
	s_and_saveexec_b64 vcc, s[40:41]
	s_xor_b64 s[40:41], exec, vcc
; %bb.10162:                            ;   in Loop: Header=BB6_9212 Depth=3
	v_min_i32_e32 v1, 15, v2
	v_lshl_or_b32 v1, v1, 3, v19
	v_and_or_b32 v14, v0, 7, v1
                                        ; implicit-def: $vgpr19
; %bb.10163:                            ;   in Loop: Header=BB6_9212 Depth=3
	s_andn2_saveexec_b64 s[40:41], s[40:41]
; %bb.10164:                            ;   in Loop: Header=BB6_9212 Depth=3
	v_mov_b32_e32 v14, v19
; %bb.10165:                            ;   in Loop: Header=BB6_9212 Depth=3
	s_or_b64 exec, exec, s[40:41]
.LBB6_10166:                            ;   in Loop: Header=BB6_9212 Depth=3
	s_or_b64 exec, exec, s[52:53]
                                        ; implicit-def: $vgpr19
.LBB6_10167:                            ;   in Loop: Header=BB6_9212 Depth=3
	s_andn2_saveexec_b64 s[40:41], s[50:51]
; %bb.10168:                            ;   in Loop: Header=BB6_9212 Depth=3
	v_or_b32_e32 v14, 0x7e, v19
; %bb.10169:                            ;   in Loop: Header=BB6_9212 Depth=3
	s_or_b64 exec, exec, s[40:41]
                                        ; implicit-def: $vgpr1
.LBB6_10170:                            ;   in Loop: Header=BB6_9212 Depth=3
	s_andn2_saveexec_b64 s[40:41], s[48:49]
; %bb.10171:                            ;   in Loop: Header=BB6_9212 Depth=3
	v_or_b32_sdwa v14, v1, s83 dst_sel:DWORD dst_unused:UNUSED_PAD src0_sel:BYTE_3 src1_sel:DWORD
; %bb.10172:                            ;   in Loop: Header=BB6_9212 Depth=3
	s_or_b64 exec, exec, s[40:41]
	v_and_b32_e32 v0, 0xff, v38
	v_cmp_ne_u16_e64 s[40:41], 0, v0
	s_and_b64 vcc, exec, s[28:29]
	s_mov_b64 s[48:49], -1
                                        ; implicit-def: $vgpr1
	s_cbranch_vccnz .LBB6_10186
; %bb.10173:                            ;   in Loop: Header=BB6_9212 Depth=3
	v_mov_b32_e32 v19, 0
	v_mov_b32_e32 v2, 0
	s_and_saveexec_b64 s[48:49], s[40:41]
	s_cbranch_execz .LBB6_10179
; %bb.10174:                            ;   in Loop: Header=BB6_9212 Depth=3
	v_cmp_ne_u16_e32 vcc, s82, v0
	v_bfrev_b32_e32 v2, 1
	s_and_saveexec_b64 s[50:51], vcc
	s_cbranch_execz .LBB6_10178
; %bb.10175:                            ;   in Loop: Header=BB6_9212 Depth=3
	v_and_b32_e32 v1, 0x7f, v38
	v_cmp_ne_u32_e32 vcc, s83, v1
	v_mov_b32_e32 v2, 0x7f800001
	s_and_saveexec_b64 s[52:53], vcc
	s_cbranch_execz .LBB6_10177
; %bb.10176:                            ;   in Loop: Header=BB6_9212 Depth=3
	v_and_b32_e32 v20, 7, v0
	v_lshrrev_b32_e32 v21, 3, v1
	v_cmp_gt_u32_e32 vcc, 8, v1
	v_ffbh_u32_e32 v1, v20
	v_min_u32_e32 v23, 32, v1
	v_subrev_u32_e32 v1, 28, v23
	v_lshlrev_b64 v[1:2], v1, v[0:1]
	v_sub_u32_e32 v2, 29, v23
	v_and_b32_e32 v1, 7, v1
	v_cndmask_b32_e32 v2, v21, v2, vcc
	v_cndmask_b32_e32 v1, v20, v1, vcc
	v_lshlrev_b32_e32 v20, 24, v38
	v_bfrev_b32_e32 v21, 60
	v_lshlrev_b32_e32 v1, 20, v1
	v_and_b32_e32 v20, 0x80000000, v20
	v_lshl_add_u32 v2, v2, 23, v21
	v_or3_b32 v2, v20, v2, v1
.LBB6_10177:                            ;   in Loop: Header=BB6_9212 Depth=3
	s_or_b64 exec, exec, s[52:53]
.LBB6_10178:                            ;   in Loop: Header=BB6_9212 Depth=3
	s_or_b64 exec, exec, s[50:51]
.LBB6_10179:                            ;   in Loop: Header=BB6_9212 Depth=3
	s_or_b64 exec, exec, s[48:49]
	v_and_b32_e32 v1, 0xff, v26
	v_cmp_ne_u16_e32 vcc, 0, v1
	s_and_saveexec_b64 s[48:49], vcc
	s_cbranch_execz .LBB6_10185
; %bb.10180:                            ;   in Loop: Header=BB6_9212 Depth=3
	v_cmp_ne_u16_e32 vcc, s82, v1
	v_bfrev_b32_e32 v19, 1
	s_and_saveexec_b64 s[50:51], vcc
	s_cbranch_execz .LBB6_10184
; %bb.10181:                            ;   in Loop: Header=BB6_9212 Depth=3
	v_and_b32_e32 v20, 0x7f, v26
	v_cmp_ne_u32_e32 vcc, s83, v20
	v_mov_b32_e32 v19, 0x7f800001
	s_and_saveexec_b64 s[52:53], vcc
	s_cbranch_execz .LBB6_10183
; %bb.10182:                            ;   in Loop: Header=BB6_9212 Depth=3
	v_and_b32_e32 v21, 7, v1
	v_ffbh_u32_e32 v19, v21
	v_min_u32_e32 v24, 32, v19
	v_subrev_u32_e32 v19, 28, v24
	v_lshrrev_b32_e32 v23, 3, v20
	v_cmp_gt_u32_e32 vcc, 8, v20
	v_lshlrev_b64 v[19:20], v19, v[1:2]
	v_sub_u32_e32 v1, 29, v24
	v_and_b32_e32 v19, 7, v19
	v_cndmask_b32_e32 v1, v23, v1, vcc
	v_cndmask_b32_e32 v19, v21, v19, vcc
	v_lshlrev_b32_e32 v20, 24, v26
	v_bfrev_b32_e32 v21, 60
	v_lshlrev_b32_e32 v19, 20, v19
	v_and_b32_e32 v20, 0x80000000, v20
	v_lshl_add_u32 v1, v1, 23, v21
	v_or3_b32 v19, v20, v1, v19
.LBB6_10183:                            ;   in Loop: Header=BB6_9212 Depth=3
	s_or_b64 exec, exec, s[52:53]
.LBB6_10184:                            ;   in Loop: Header=BB6_9212 Depth=3
	s_or_b64 exec, exec, s[50:51]
.LBB6_10185:                            ;   in Loop: Header=BB6_9212 Depth=3
	s_or_b64 exec, exec, s[48:49]
	v_max_f32_e32 v1, v19, v19
	v_max_f32_e32 v2, v2, v2
	;; [unrolled: 1-line block ×3, first 2 shown]
	s_mov_b64 s[48:49], 0
.LBB6_10186:                            ;   in Loop: Header=BB6_9212 Depth=3
	s_and_b64 vcc, exec, s[48:49]
	s_cbranch_vccz .LBB6_10200
; %bb.10187:                            ;   in Loop: Header=BB6_9212 Depth=3
	v_mov_b32_e32 v2, 0
	v_mov_b32_e32 v1, 0
	s_and_saveexec_b64 s[48:49], s[40:41]
	s_cbranch_execz .LBB6_10193
; %bb.10188:                            ;   in Loop: Header=BB6_9212 Depth=3
	v_cmp_ne_u16_e32 vcc, s82, v0
	v_bfrev_b32_e32 v1, 1
	s_and_saveexec_b64 s[40:41], vcc
	s_cbranch_execz .LBB6_10192
; %bb.10189:                            ;   in Loop: Header=BB6_9212 Depth=3
	v_and_b32_e32 v19, 0x7f, v38
	v_cmp_ne_u32_e32 vcc, s83, v19
	v_mov_b32_e32 v1, 0x7f800001
	s_and_saveexec_b64 s[50:51], vcc
	s_cbranch_execz .LBB6_10191
; %bb.10190:                            ;   in Loop: Header=BB6_9212 Depth=3
	v_and_b32_e32 v20, 7, v0
	v_ffbh_u32_e32 v1, v20
	v_lshrrev_b32_e32 v21, 3, v19
	v_cmp_gt_u32_e32 vcc, 8, v19
	v_min_u32_e32 v19, 32, v1
	v_subrev_u32_e32 v1, 28, v19
	v_lshlrev_b64 v[0:1], v1, v[0:1]
	v_sub_u32_e32 v1, 29, v19
	v_and_b32_e32 v0, 7, v0
	v_cndmask_b32_e32 v1, v21, v1, vcc
	v_cndmask_b32_e32 v0, v20, v0, vcc
	v_lshlrev_b32_e32 v19, 24, v38
	v_bfrev_b32_e32 v20, 60
	v_lshlrev_b32_e32 v0, 20, v0
	v_and_b32_e32 v19, 0x80000000, v19
	v_lshl_add_u32 v1, v1, 23, v20
	v_or3_b32 v1, v19, v1, v0
.LBB6_10191:                            ;   in Loop: Header=BB6_9212 Depth=3
	s_or_b64 exec, exec, s[50:51]
.LBB6_10192:                            ;   in Loop: Header=BB6_9212 Depth=3
	s_or_b64 exec, exec, s[40:41]
.LBB6_10193:                            ;   in Loop: Header=BB6_9212 Depth=3
	s_or_b64 exec, exec, s[48:49]
	v_and_b32_e32 v0, 0xff, v26
	v_cmp_ne_u16_e32 vcc, 0, v0
	s_and_saveexec_b64 s[40:41], vcc
	s_cbranch_execz .LBB6_10199
; %bb.10194:                            ;   in Loop: Header=BB6_9212 Depth=3
	v_cmp_ne_u16_e32 vcc, s82, v0
	v_bfrev_b32_e32 v2, 1
	s_and_saveexec_b64 s[48:49], vcc
	s_cbranch_execz .LBB6_10198
; %bb.10195:                            ;   in Loop: Header=BB6_9212 Depth=3
	v_and_b32_e32 v19, 0x7f, v26
	v_cmp_ne_u32_e32 vcc, s83, v19
	v_mov_b32_e32 v2, 0x7f800001
	s_and_saveexec_b64 s[50:51], vcc
	s_cbranch_execz .LBB6_10197
; %bb.10196:                            ;   in Loop: Header=BB6_9212 Depth=3
	v_and_b32_e32 v2, 7, v0
	v_lshrrev_b32_e32 v21, 3, v19
	v_cmp_gt_u32_e32 vcc, 8, v19
	v_ffbh_u32_e32 v19, v2
	v_min_u32_e32 v23, 32, v19
	v_subrev_u32_e32 v19, 28, v23
	v_lshlrev_b64 v[19:20], v19, v[0:1]
	v_sub_u32_e32 v0, 29, v23
	v_and_b32_e32 v19, 7, v19
	v_cndmask_b32_e32 v0, v21, v0, vcc
	v_cndmask_b32_e32 v2, v2, v19, vcc
	v_lshlrev_b32_e32 v19, 24, v26
	v_bfrev_b32_e32 v20, 60
	v_lshlrev_b32_e32 v2, 20, v2
	v_and_b32_e32 v19, 0x80000000, v19
	v_lshl_add_u32 v0, v0, 23, v20
	v_or3_b32 v2, v19, v0, v2
.LBB6_10197:                            ;   in Loop: Header=BB6_9212 Depth=3
	s_or_b64 exec, exec, s[50:51]
.LBB6_10198:                            ;   in Loop: Header=BB6_9212 Depth=3
	s_or_b64 exec, exec, s[48:49]
.LBB6_10199:                            ;   in Loop: Header=BB6_9212 Depth=3
	s_or_b64 exec, exec, s[40:41]
	v_max_f32_e32 v0, v2, v2
	v_max_f32_e32 v1, v1, v1
	v_min_f32_e32 v1, v1, v0
.LBB6_10200:                            ;   in Loop: Header=BB6_9212 Depth=3
	v_and_b32_e32 v52, 0x7f800000, v1
	v_cmp_ne_u64_e32 vcc, s[76:77], v[52:53]
                                        ; implicit-def: $vgpr20
	s_mov_b64 s[40:41], exec
	buffer_load_dword v40, off, s[0:3], s33 offset:104 ; 4-byte Folded Reload
	buffer_load_dword v41, off, s[0:3], s33 offset:108 ; 4-byte Folded Reload
	s_and_b64 vcc, s[40:41], vcc
	s_xor_b64 s[48:49], vcc, s[40:41]
	s_mov_b64 exec, vcc
	s_cbranch_execz .LBB6_10218
; %bb.10201:                            ;   in Loop: Header=BB6_9212 Depth=3
	v_and_b32_e32 v52, 0x7fffffff, v1
	v_cmp_gt_u64_e32 vcc, s[78:79], v[52:53]
	v_and_b32_sdwa v19, v1, s82 dst_sel:DWORD dst_unused:UNUSED_PAD src0_sel:BYTE_3 src1_sel:DWORD
                                        ; implicit-def: $vgpr20
	s_and_saveexec_b64 s[40:41], vcc
	s_xor_b64 s[50:51], exec, s[40:41]
	s_cbranch_execz .LBB6_10215
; %bb.10202:                            ;   in Loop: Header=BB6_9212 Depth=3
	v_cmp_ne_u32_e32 vcc, 0, v1
	v_mov_b32_e32 v20, 0
	s_and_saveexec_b64 s[52:53], vcc
	s_cbranch_execz .LBB6_10214
; %bb.10203:                            ;   in Loop: Header=BB6_9212 Depth=3
	v_bfe_u32 v20, v1, 23, 8
	v_and_b32_e32 v0, 0x7fffff, v1
	v_cmp_gt_u32_e64 s[40:41], s85, v20
	v_sub_u32_e32 v1, 0x79, v20
	v_cmp_eq_u32_e32 vcc, 0, v20
	v_cndmask_b32_e64 v1, 0, v1, s[40:41]
	v_mov_b32_e32 v21, 0x78
	v_or_b32_e32 v2, 0x800000, v0
	v_cndmask_b32_e32 v21, v1, v21, vcc
	v_cndmask_b32_e32 v52, v2, v0, vcc
	v_add_u32_e32 v0, 20, v21
	v_lshlrev_b64 v[0:1], v0, -1
	v_add_u32_e32 v2, 19, v21
	v_lshlrev_b64 v[23:24], v2, 1
	v_bfi_b32 v1, v1, 0, 0
	v_bfi_b32 v0, v0, 0, v52
	v_cmp_eq_u64_e64 s[40:41], v[0:1], v[23:24]
	v_lshrrev_b64 v[0:1], v21, v[52:53]
	v_mov_b32_e32 v2, v1
	v_mov_b32_e32 v1, v0
	s_and_saveexec_b64 s[54:55], s[40:41]
; %bb.10204:                            ;   in Loop: Header=BB6_9212 Depth=3
	v_bfe_u32 v1, v0, 20, 1
	v_add_co_u32_e64 v1, s[40:41], v0, v1
	v_add_co_u32_e64 v1, s[40:41], -1, v1
; %bb.10205:                            ;   in Loop: Header=BB6_9212 Depth=3
	s_or_b64 exec, exec, s[54:55]
	v_add_u32_e32 v2, 0xffffff81, v20
	v_mov_b32_e32 v20, 0xffffff82
	v_cndmask_b32_e32 v2, v2, v20, vcc
	v_lshrrev_b32_e32 v20, 23, v0
	v_add3_u32 v21, v21, v2, v20
	v_add_u32_e32 v20, 6, v21
	v_and_b32_e32 v1, 0xfffff, v1
	v_add_u32_e32 v52, v1, v0
	v_cmp_ne_u32_e32 vcc, 0, v20
                                        ; implicit-def: $vgpr0_vgpr1
                                        ; implicit-def: $vgpr2
	s_and_saveexec_b64 s[40:41], vcc
	s_xor_b64 s[40:41], exec, s[40:41]
; %bb.10206:                            ;   in Loop: Header=BB6_9212 Depth=3
	v_cmp_lt_u64_e32 vcc, s[88:89], v[52:53]
	v_add_u32_e32 v0, 7, v21
	v_cndmask_b32_e32 v2, v20, v0, vcc
	v_cndmask_b32_e64 v0, 0, 1, vcc
	v_lshrrev_b64 v[0:1], v0, v[52:53]
; %bb.10207:                            ;   in Loop: Header=BB6_9212 Depth=3
	s_andn2_saveexec_b64 s[40:41], s[40:41]
; %bb.10208:                            ;   in Loop: Header=BB6_9212 Depth=3
	v_mov_b32_e32 v0, v52
	v_mov_b32_e32 v1, v53
	v_bfe_u32 v2, v52, 23, 1
; %bb.10209:                            ;   in Loop: Header=BB6_9212 Depth=3
	s_or_b64 exec, exec, s[40:41]
	v_lshrrev_b64 v[0:1], 20, v[0:1]
	v_cmp_gt_i32_e32 vcc, 16, v2
	v_cndmask_b32_e32 v1, 0, v1, vcc
	v_cndmask_b32_e32 v0, 7, v0, vcc
	v_cmp_ne_u64_e32 vcc, 0, v[0:1]
	v_cmp_ne_u32_e64 s[40:41], 0, v2
	s_or_b64 s[40:41], s[40:41], vcc
                                        ; implicit-def: $vgpr20
	s_and_saveexec_b64 vcc, s[40:41]
	s_xor_b64 s[40:41], exec, vcc
; %bb.10210:                            ;   in Loop: Header=BB6_9212 Depth=3
	v_min_i32_e32 v1, 15, v2
	v_lshl_or_b32 v1, v1, 3, v19
	v_and_or_b32 v20, v0, 7, v1
                                        ; implicit-def: $vgpr19
; %bb.10211:                            ;   in Loop: Header=BB6_9212 Depth=3
	s_andn2_saveexec_b64 s[40:41], s[40:41]
; %bb.10212:                            ;   in Loop: Header=BB6_9212 Depth=3
	v_mov_b32_e32 v20, v19
; %bb.10213:                            ;   in Loop: Header=BB6_9212 Depth=3
	s_or_b64 exec, exec, s[40:41]
.LBB6_10214:                            ;   in Loop: Header=BB6_9212 Depth=3
	s_or_b64 exec, exec, s[52:53]
                                        ; implicit-def: $vgpr19
.LBB6_10215:                            ;   in Loop: Header=BB6_9212 Depth=3
	s_andn2_saveexec_b64 s[40:41], s[50:51]
; %bb.10216:                            ;   in Loop: Header=BB6_9212 Depth=3
	v_or_b32_e32 v20, 0x7e, v19
; %bb.10217:                            ;   in Loop: Header=BB6_9212 Depth=3
	s_or_b64 exec, exec, s[40:41]
                                        ; implicit-def: $vgpr1
.LBB6_10218:                            ;   in Loop: Header=BB6_9212 Depth=3
	s_andn2_saveexec_b64 s[40:41], s[48:49]
; %bb.10219:                            ;   in Loop: Header=BB6_9212 Depth=3
	v_or_b32_sdwa v20, v1, s83 dst_sel:DWORD dst_unused:UNUSED_PAD src0_sel:BYTE_3 src1_sel:DWORD
; %bb.10220:                            ;   in Loop: Header=BB6_9212 Depth=3
	s_or_b64 exec, exec, s[40:41]
	v_and_b32_e32 v0, 0xff, v36
	v_cmp_ne_u16_e64 s[40:41], 0, v0
	s_and_b64 vcc, exec, s[28:29]
	s_mov_b64 s[48:49], -1
                                        ; implicit-def: $vgpr1
	s_cbranch_vccnz .LBB6_10234
; %bb.10221:                            ;   in Loop: Header=BB6_9212 Depth=3
	v_mov_b32_e32 v19, 0
	v_mov_b32_e32 v2, 0
	s_and_saveexec_b64 s[48:49], s[40:41]
	s_cbranch_execz .LBB6_10227
; %bb.10222:                            ;   in Loop: Header=BB6_9212 Depth=3
	v_cmp_ne_u16_e32 vcc, s82, v0
	v_bfrev_b32_e32 v2, 1
	s_and_saveexec_b64 s[50:51], vcc
	s_cbranch_execz .LBB6_10226
; %bb.10223:                            ;   in Loop: Header=BB6_9212 Depth=3
	v_and_b32_e32 v1, 0x7f, v36
	v_cmp_ne_u32_e32 vcc, s83, v1
	v_mov_b32_e32 v2, 0x7f800001
	s_and_saveexec_b64 s[52:53], vcc
	s_cbranch_execz .LBB6_10225
; %bb.10224:                            ;   in Loop: Header=BB6_9212 Depth=3
	v_and_b32_e32 v21, 7, v0
	v_lshrrev_b32_e32 v23, 3, v1
	v_cmp_gt_u32_e32 vcc, 8, v1
	v_ffbh_u32_e32 v1, v21
	v_min_u32_e32 v24, 32, v1
	v_subrev_u32_e32 v1, 28, v24
	v_lshlrev_b64 v[1:2], v1, v[0:1]
	v_sub_u32_e32 v2, 29, v24
	v_and_b32_e32 v1, 7, v1
	v_cndmask_b32_e32 v2, v23, v2, vcc
	v_cndmask_b32_e32 v1, v21, v1, vcc
	v_lshlrev_b32_e32 v21, 24, v36
	v_bfrev_b32_e32 v23, 60
	v_lshlrev_b32_e32 v1, 20, v1
	v_and_b32_e32 v21, 0x80000000, v21
	v_lshl_add_u32 v2, v2, 23, v23
	v_or3_b32 v2, v21, v2, v1
.LBB6_10225:                            ;   in Loop: Header=BB6_9212 Depth=3
	s_or_b64 exec, exec, s[52:53]
.LBB6_10226:                            ;   in Loop: Header=BB6_9212 Depth=3
	s_or_b64 exec, exec, s[50:51]
.LBB6_10227:                            ;   in Loop: Header=BB6_9212 Depth=3
	s_or_b64 exec, exec, s[48:49]
	v_and_b32_e32 v1, 0xff, v27
	v_cmp_ne_u16_e32 vcc, 0, v1
	s_and_saveexec_b64 s[48:49], vcc
	s_cbranch_execz .LBB6_10233
; %bb.10228:                            ;   in Loop: Header=BB6_9212 Depth=3
	v_cmp_ne_u16_e32 vcc, s82, v1
	v_bfrev_b32_e32 v19, 1
	s_and_saveexec_b64 s[50:51], vcc
	s_cbranch_execz .LBB6_10232
; %bb.10229:                            ;   in Loop: Header=BB6_9212 Depth=3
	v_and_b32_e32 v21, 0x7f, v27
	v_cmp_ne_u32_e32 vcc, s83, v21
	v_mov_b32_e32 v19, 0x7f800001
	s_and_saveexec_b64 s[52:53], vcc
	s_cbranch_execz .LBB6_10231
; %bb.10230:                            ;   in Loop: Header=BB6_9212 Depth=3
	v_and_b32_e32 v19, 7, v1
	v_lshrrev_b32_e32 v26, 3, v21
	v_cmp_gt_u32_e32 vcc, 8, v21
	v_ffbh_u32_e32 v21, v19
	v_min_u32_e32 v21, 32, v21
	v_subrev_u32_e32 v23, 28, v21
	v_lshlrev_b64 v[23:24], v23, v[1:2]
	v_sub_u32_e32 v1, 29, v21
	v_and_b32_e32 v21, 7, v23
	v_cndmask_b32_e32 v1, v26, v1, vcc
	v_cndmask_b32_e32 v19, v19, v21, vcc
	v_lshlrev_b32_e32 v21, 24, v27
	v_bfrev_b32_e32 v23, 60
	v_lshlrev_b32_e32 v19, 20, v19
	v_and_b32_e32 v21, 0x80000000, v21
	v_lshl_add_u32 v1, v1, 23, v23
	v_or3_b32 v19, v21, v1, v19
.LBB6_10231:                            ;   in Loop: Header=BB6_9212 Depth=3
	s_or_b64 exec, exec, s[52:53]
.LBB6_10232:                            ;   in Loop: Header=BB6_9212 Depth=3
	s_or_b64 exec, exec, s[50:51]
.LBB6_10233:                            ;   in Loop: Header=BB6_9212 Depth=3
	s_or_b64 exec, exec, s[48:49]
	v_max_f32_e32 v1, v19, v19
	v_max_f32_e32 v2, v2, v2
	;; [unrolled: 1-line block ×3, first 2 shown]
	s_mov_b64 s[48:49], 0
.LBB6_10234:                            ;   in Loop: Header=BB6_9212 Depth=3
	s_and_b64 vcc, exec, s[48:49]
	s_cbranch_vccz .LBB6_10248
; %bb.10235:                            ;   in Loop: Header=BB6_9212 Depth=3
	v_mov_b32_e32 v2, 0
	v_mov_b32_e32 v1, 0
	s_and_saveexec_b64 s[48:49], s[40:41]
	s_cbranch_execz .LBB6_10241
; %bb.10236:                            ;   in Loop: Header=BB6_9212 Depth=3
	v_cmp_ne_u16_e32 vcc, s82, v0
	v_bfrev_b32_e32 v1, 1
	s_and_saveexec_b64 s[40:41], vcc
	s_cbranch_execz .LBB6_10240
; %bb.10237:                            ;   in Loop: Header=BB6_9212 Depth=3
	v_and_b32_e32 v19, 0x7f, v36
	v_cmp_ne_u32_e32 vcc, s83, v19
	v_mov_b32_e32 v1, 0x7f800001
	s_and_saveexec_b64 s[50:51], vcc
	s_cbranch_execz .LBB6_10239
; %bb.10238:                            ;   in Loop: Header=BB6_9212 Depth=3
	v_and_b32_e32 v21, 7, v0
	v_ffbh_u32_e32 v1, v21
	v_lshrrev_b32_e32 v23, 3, v19
	v_cmp_gt_u32_e32 vcc, 8, v19
	v_min_u32_e32 v19, 32, v1
	v_subrev_u32_e32 v1, 28, v19
	v_lshlrev_b64 v[0:1], v1, v[0:1]
	v_sub_u32_e32 v1, 29, v19
	v_and_b32_e32 v0, 7, v0
	v_cndmask_b32_e32 v1, v23, v1, vcc
	v_cndmask_b32_e32 v0, v21, v0, vcc
	v_lshlrev_b32_e32 v19, 24, v36
	v_bfrev_b32_e32 v21, 60
	v_lshlrev_b32_e32 v0, 20, v0
	v_and_b32_e32 v19, 0x80000000, v19
	v_lshl_add_u32 v1, v1, 23, v21
	v_or3_b32 v1, v19, v1, v0
.LBB6_10239:                            ;   in Loop: Header=BB6_9212 Depth=3
	s_or_b64 exec, exec, s[50:51]
.LBB6_10240:                            ;   in Loop: Header=BB6_9212 Depth=3
	s_or_b64 exec, exec, s[40:41]
.LBB6_10241:                            ;   in Loop: Header=BB6_9212 Depth=3
	s_or_b64 exec, exec, s[48:49]
	v_and_b32_e32 v0, 0xff, v27
	v_cmp_ne_u16_e32 vcc, 0, v0
	s_and_saveexec_b64 s[40:41], vcc
	s_cbranch_execz .LBB6_10247
; %bb.10242:                            ;   in Loop: Header=BB6_9212 Depth=3
	v_cmp_ne_u16_e32 vcc, s82, v0
	v_bfrev_b32_e32 v2, 1
	s_and_saveexec_b64 s[48:49], vcc
	s_cbranch_execz .LBB6_10246
; %bb.10243:                            ;   in Loop: Header=BB6_9212 Depth=3
	v_and_b32_e32 v19, 0x7f, v27
	v_cmp_ne_u32_e32 vcc, s83, v19
	v_mov_b32_e32 v2, 0x7f800001
	s_and_saveexec_b64 s[50:51], vcc
	s_cbranch_execz .LBB6_10245
; %bb.10244:                            ;   in Loop: Header=BB6_9212 Depth=3
	v_and_b32_e32 v2, 7, v0
	v_lshrrev_b32_e32 v21, 3, v19
	v_cmp_gt_u32_e32 vcc, 8, v19
	v_ffbh_u32_e32 v19, v2
	v_min_u32_e32 v19, 32, v19
	v_subrev_u32_e32 v23, 28, v19
	v_lshlrev_b64 v[23:24], v23, v[0:1]
	v_sub_u32_e32 v0, 29, v19
	v_and_b32_e32 v19, 7, v23
	v_cndmask_b32_e32 v0, v21, v0, vcc
	v_cndmask_b32_e32 v2, v2, v19, vcc
	v_lshlrev_b32_e32 v19, 24, v27
	v_bfrev_b32_e32 v21, 60
	v_lshlrev_b32_e32 v2, 20, v2
	v_and_b32_e32 v19, 0x80000000, v19
	v_lshl_add_u32 v0, v0, 23, v21
	v_or3_b32 v2, v19, v0, v2
.LBB6_10245:                            ;   in Loop: Header=BB6_9212 Depth=3
	s_or_b64 exec, exec, s[50:51]
.LBB6_10246:                            ;   in Loop: Header=BB6_9212 Depth=3
	s_or_b64 exec, exec, s[48:49]
.LBB6_10247:                            ;   in Loop: Header=BB6_9212 Depth=3
	s_or_b64 exec, exec, s[40:41]
	v_max_f32_e32 v0, v2, v2
	v_max_f32_e32 v1, v1, v1
	v_min_f32_e32 v1, v1, v0
.LBB6_10248:                            ;   in Loop: Header=BB6_9212 Depth=3
	v_and_b32_e32 v52, 0x7f800000, v1
	v_cmp_ne_u64_e32 vcc, s[76:77], v[52:53]
                                        ; implicit-def: $vgpr21
	s_mov_b64 s[40:41], exec
	buffer_load_dword v49, off, s[0:3], s33 offset:112 ; 4-byte Folded Reload
	buffer_load_dword v50, off, s[0:3], s33 offset:116 ; 4-byte Folded Reload
	;; [unrolled: 1-line block ×6, first 2 shown]
	s_and_b64 vcc, s[40:41], vcc
	s_xor_b64 s[48:49], vcc, s[40:41]
	s_mov_b64 exec, vcc
	s_cbranch_execz .LBB6_10266
; %bb.10249:                            ;   in Loop: Header=BB6_9212 Depth=3
	v_and_b32_e32 v52, 0x7fffffff, v1
	v_cmp_gt_u64_e32 vcc, s[78:79], v[52:53]
	v_and_b32_sdwa v19, v1, s82 dst_sel:DWORD dst_unused:UNUSED_PAD src0_sel:BYTE_3 src1_sel:DWORD
                                        ; implicit-def: $vgpr21
	s_and_saveexec_b64 s[40:41], vcc
	s_xor_b64 s[50:51], exec, s[40:41]
	s_cbranch_execz .LBB6_10263
; %bb.10250:                            ;   in Loop: Header=BB6_9212 Depth=3
	v_cmp_ne_u32_e32 vcc, 0, v1
	v_mov_b32_e32 v21, 0
	s_and_saveexec_b64 s[52:53], vcc
	s_cbranch_execz .LBB6_10262
; %bb.10251:                            ;   in Loop: Header=BB6_9212 Depth=3
	v_bfe_u32 v21, v1, 23, 8
	v_and_b32_e32 v0, 0x7fffff, v1
	v_cmp_gt_u32_e64 s[40:41], s85, v21
	v_sub_u32_e32 v1, 0x79, v21
	v_cmp_eq_u32_e32 vcc, 0, v21
	v_cndmask_b32_e64 v1, 0, v1, s[40:41]
	v_mov_b32_e32 v23, 0x78
	v_or_b32_e32 v2, 0x800000, v0
	v_cndmask_b32_e32 v23, v1, v23, vcc
	v_cndmask_b32_e32 v52, v2, v0, vcc
	v_add_u32_e32 v0, 20, v23
	v_lshlrev_b64 v[0:1], v0, -1
	v_add_u32_e32 v2, 19, v23
	v_lshlrev_b64 v[26:27], v2, 1
	v_bfi_b32 v1, v1, 0, 0
	v_bfi_b32 v0, v0, 0, v52
	v_cmp_eq_u64_e64 s[40:41], v[0:1], v[26:27]
	v_lshrrev_b64 v[0:1], v23, v[52:53]
	v_mov_b32_e32 v2, v1
	v_mov_b32_e32 v1, v0
	s_and_saveexec_b64 s[54:55], s[40:41]
; %bb.10252:                            ;   in Loop: Header=BB6_9212 Depth=3
	v_bfe_u32 v1, v0, 20, 1
	v_add_co_u32_e64 v1, s[40:41], v0, v1
	v_add_co_u32_e64 v1, s[40:41], -1, v1
; %bb.10253:                            ;   in Loop: Header=BB6_9212 Depth=3
	s_or_b64 exec, exec, s[54:55]
	v_add_u32_e32 v2, 0xffffff81, v21
	v_mov_b32_e32 v21, 0xffffff82
	v_cndmask_b32_e32 v2, v2, v21, vcc
	v_lshrrev_b32_e32 v21, 23, v0
	v_add3_u32 v23, v23, v2, v21
	v_add_u32_e32 v21, 6, v23
	v_and_b32_e32 v1, 0xfffff, v1
	v_add_u32_e32 v52, v1, v0
	v_cmp_ne_u32_e32 vcc, 0, v21
                                        ; implicit-def: $vgpr0_vgpr1
                                        ; implicit-def: $vgpr2
	s_and_saveexec_b64 s[40:41], vcc
	s_xor_b64 s[40:41], exec, s[40:41]
; %bb.10254:                            ;   in Loop: Header=BB6_9212 Depth=3
	v_cmp_lt_u64_e32 vcc, s[88:89], v[52:53]
	v_add_u32_e32 v0, 7, v23
	v_cndmask_b32_e32 v2, v21, v0, vcc
	v_cndmask_b32_e64 v0, 0, 1, vcc
	v_lshrrev_b64 v[0:1], v0, v[52:53]
; %bb.10255:                            ;   in Loop: Header=BB6_9212 Depth=3
	s_andn2_saveexec_b64 s[40:41], s[40:41]
; %bb.10256:                            ;   in Loop: Header=BB6_9212 Depth=3
	v_mov_b32_e32 v0, v52
	v_mov_b32_e32 v1, v53
	v_bfe_u32 v2, v52, 23, 1
; %bb.10257:                            ;   in Loop: Header=BB6_9212 Depth=3
	s_or_b64 exec, exec, s[40:41]
	v_lshrrev_b64 v[0:1], 20, v[0:1]
	v_cmp_gt_i32_e32 vcc, 16, v2
	v_cndmask_b32_e32 v1, 0, v1, vcc
	v_cndmask_b32_e32 v0, 7, v0, vcc
	v_cmp_ne_u64_e32 vcc, 0, v[0:1]
	v_cmp_ne_u32_e64 s[40:41], 0, v2
	s_or_b64 s[40:41], s[40:41], vcc
                                        ; implicit-def: $vgpr21
	s_and_saveexec_b64 vcc, s[40:41]
	s_xor_b64 s[40:41], exec, vcc
; %bb.10258:                            ;   in Loop: Header=BB6_9212 Depth=3
	v_min_i32_e32 v1, 15, v2
	v_lshl_or_b32 v1, v1, 3, v19
	v_and_or_b32 v21, v0, 7, v1
                                        ; implicit-def: $vgpr19
; %bb.10259:                            ;   in Loop: Header=BB6_9212 Depth=3
	s_andn2_saveexec_b64 s[40:41], s[40:41]
; %bb.10260:                            ;   in Loop: Header=BB6_9212 Depth=3
	v_mov_b32_e32 v21, v19
; %bb.10261:                            ;   in Loop: Header=BB6_9212 Depth=3
	s_or_b64 exec, exec, s[40:41]
.LBB6_10262:                            ;   in Loop: Header=BB6_9212 Depth=3
	s_or_b64 exec, exec, s[52:53]
                                        ; implicit-def: $vgpr19
.LBB6_10263:                            ;   in Loop: Header=BB6_9212 Depth=3
	s_andn2_saveexec_b64 s[40:41], s[50:51]
; %bb.10264:                            ;   in Loop: Header=BB6_9212 Depth=3
	v_or_b32_e32 v21, 0x7e, v19
; %bb.10265:                            ;   in Loop: Header=BB6_9212 Depth=3
	s_or_b64 exec, exec, s[40:41]
                                        ; implicit-def: $vgpr1
.LBB6_10266:                            ;   in Loop: Header=BB6_9212 Depth=3
	s_andn2_saveexec_b64 s[40:41], s[48:49]
; %bb.10267:                            ;   in Loop: Header=BB6_9212 Depth=3
	v_or_b32_sdwa v21, v1, s83 dst_sel:DWORD dst_unused:UNUSED_PAD src0_sel:BYTE_3 src1_sel:DWORD
; %bb.10268:                            ;   in Loop: Header=BB6_9212 Depth=3
	s_or_b64 exec, exec, s[40:41]
	v_and_b32_e32 v0, 0xff, v57
	v_cmp_ne_u16_e64 s[40:41], 0, v0
	s_and_b64 vcc, exec, s[28:29]
	s_mov_b64 s[48:49], -1
                                        ; implicit-def: $vgpr1
	s_cbranch_vccnz .LBB6_10282
; %bb.10269:                            ;   in Loop: Header=BB6_9212 Depth=3
	v_mov_b32_e32 v19, 0
	v_mov_b32_e32 v2, 0
	s_and_saveexec_b64 s[48:49], s[40:41]
	s_cbranch_execz .LBB6_10275
; %bb.10270:                            ;   in Loop: Header=BB6_9212 Depth=3
	v_cmp_ne_u16_e32 vcc, s82, v0
	v_bfrev_b32_e32 v2, 1
	s_and_saveexec_b64 s[50:51], vcc
	s_cbranch_execz .LBB6_10274
; %bb.10271:                            ;   in Loop: Header=BB6_9212 Depth=3
	v_and_b32_e32 v1, 0x7f, v57
	v_cmp_ne_u32_e32 vcc, s83, v1
	v_mov_b32_e32 v2, 0x7f800001
	s_and_saveexec_b64 s[52:53], vcc
	s_cbranch_execz .LBB6_10273
; %bb.10272:                            ;   in Loop: Header=BB6_9212 Depth=3
	v_and_b32_e32 v23, 7, v0
	v_lshrrev_b32_e32 v24, 3, v1
	v_cmp_gt_u32_e32 vcc, 8, v1
	v_ffbh_u32_e32 v1, v23
	v_min_u32_e32 v26, 32, v1
	v_subrev_u32_e32 v1, 28, v26
	v_lshlrev_b64 v[1:2], v1, v[0:1]
	v_sub_u32_e32 v2, 29, v26
	v_and_b32_e32 v1, 7, v1
	v_cndmask_b32_e32 v2, v24, v2, vcc
	v_cndmask_b32_e32 v1, v23, v1, vcc
	v_lshlrev_b32_e32 v23, 24, v57
	v_bfrev_b32_e32 v24, 60
	v_lshlrev_b32_e32 v1, 20, v1
	v_and_b32_e32 v23, 0x80000000, v23
	v_lshl_add_u32 v2, v2, 23, v24
	v_or3_b32 v2, v23, v2, v1
.LBB6_10273:                            ;   in Loop: Header=BB6_9212 Depth=3
	s_or_b64 exec, exec, s[52:53]
.LBB6_10274:                            ;   in Loop: Header=BB6_9212 Depth=3
	s_or_b64 exec, exec, s[50:51]
.LBB6_10275:                            ;   in Loop: Header=BB6_9212 Depth=3
	s_or_b64 exec, exec, s[48:49]
	v_and_b32_e32 v1, 0xff, v29
	v_cmp_ne_u16_e32 vcc, 0, v1
	s_and_saveexec_b64 s[48:49], vcc
	s_cbranch_execz .LBB6_10281
; %bb.10276:                            ;   in Loop: Header=BB6_9212 Depth=3
	v_cmp_ne_u16_e32 vcc, s82, v1
	v_bfrev_b32_e32 v19, 1
	s_and_saveexec_b64 s[50:51], vcc
	s_cbranch_execz .LBB6_10280
; %bb.10277:                            ;   in Loop: Header=BB6_9212 Depth=3
	v_and_b32_e32 v23, 0x7f, v29
	v_cmp_ne_u32_e32 vcc, s83, v23
	v_mov_b32_e32 v19, 0x7f800001
	s_and_saveexec_b64 s[52:53], vcc
	s_cbranch_execz .LBB6_10279
; %bb.10278:                            ;   in Loop: Header=BB6_9212 Depth=3
	v_and_b32_e32 v19, 7, v1
	v_lshrrev_b32_e32 v26, 3, v23
	v_cmp_gt_u32_e32 vcc, 8, v23
	v_ffbh_u32_e32 v23, v19
	v_min_u32_e32 v27, 32, v23
	v_subrev_u32_e32 v23, 28, v27
	v_lshlrev_b64 v[23:24], v23, v[1:2]
	v_sub_u32_e32 v1, 29, v27
	v_and_b32_e32 v23, 7, v23
	v_cndmask_b32_e32 v1, v26, v1, vcc
	v_cndmask_b32_e32 v19, v19, v23, vcc
	v_lshlrev_b32_e32 v23, 24, v29
	v_bfrev_b32_e32 v24, 60
	v_lshlrev_b32_e32 v19, 20, v19
	v_and_b32_e32 v23, 0x80000000, v23
	v_lshl_add_u32 v1, v1, 23, v24
	v_or3_b32 v19, v23, v1, v19
.LBB6_10279:                            ;   in Loop: Header=BB6_9212 Depth=3
	s_or_b64 exec, exec, s[52:53]
.LBB6_10280:                            ;   in Loop: Header=BB6_9212 Depth=3
	s_or_b64 exec, exec, s[50:51]
.LBB6_10281:                            ;   in Loop: Header=BB6_9212 Depth=3
	s_or_b64 exec, exec, s[48:49]
	v_max_f32_e32 v1, v19, v19
	v_max_f32_e32 v2, v2, v2
	;; [unrolled: 1-line block ×3, first 2 shown]
	s_mov_b64 s[48:49], 0
.LBB6_10282:                            ;   in Loop: Header=BB6_9212 Depth=3
	s_and_b64 vcc, exec, s[48:49]
	s_cbranch_vccz .LBB6_10296
; %bb.10283:                            ;   in Loop: Header=BB6_9212 Depth=3
	v_mov_b32_e32 v2, 0
	v_mov_b32_e32 v1, 0
	s_and_saveexec_b64 s[48:49], s[40:41]
	s_cbranch_execz .LBB6_10289
; %bb.10284:                            ;   in Loop: Header=BB6_9212 Depth=3
	v_cmp_ne_u16_e32 vcc, s82, v0
	v_bfrev_b32_e32 v1, 1
	s_and_saveexec_b64 s[40:41], vcc
	s_cbranch_execz .LBB6_10288
; %bb.10285:                            ;   in Loop: Header=BB6_9212 Depth=3
	v_and_b32_e32 v19, 0x7f, v57
	v_cmp_ne_u32_e32 vcc, s83, v19
	v_mov_b32_e32 v1, 0x7f800001
	s_and_saveexec_b64 s[50:51], vcc
	s_cbranch_execz .LBB6_10287
; %bb.10286:                            ;   in Loop: Header=BB6_9212 Depth=3
	v_and_b32_e32 v23, 7, v0
	v_ffbh_u32_e32 v1, v23
	v_lshrrev_b32_e32 v24, 3, v19
	v_cmp_gt_u32_e32 vcc, 8, v19
	v_min_u32_e32 v19, 32, v1
	v_subrev_u32_e32 v1, 28, v19
	v_lshlrev_b64 v[0:1], v1, v[0:1]
	v_sub_u32_e32 v1, 29, v19
	v_and_b32_e32 v0, 7, v0
	v_cndmask_b32_e32 v1, v24, v1, vcc
	v_cndmask_b32_e32 v0, v23, v0, vcc
	v_lshlrev_b32_e32 v19, 24, v57
	v_bfrev_b32_e32 v23, 60
	v_lshlrev_b32_e32 v0, 20, v0
	v_and_b32_e32 v19, 0x80000000, v19
	v_lshl_add_u32 v1, v1, 23, v23
	v_or3_b32 v1, v19, v1, v0
.LBB6_10287:                            ;   in Loop: Header=BB6_9212 Depth=3
	s_or_b64 exec, exec, s[50:51]
.LBB6_10288:                            ;   in Loop: Header=BB6_9212 Depth=3
	s_or_b64 exec, exec, s[40:41]
.LBB6_10289:                            ;   in Loop: Header=BB6_9212 Depth=3
	s_or_b64 exec, exec, s[48:49]
	v_and_b32_e32 v0, 0xff, v29
	v_cmp_ne_u16_e32 vcc, 0, v0
	s_and_saveexec_b64 s[40:41], vcc
	s_cbranch_execz .LBB6_10295
; %bb.10290:                            ;   in Loop: Header=BB6_9212 Depth=3
	v_cmp_ne_u16_e32 vcc, s82, v0
	v_bfrev_b32_e32 v2, 1
	s_and_saveexec_b64 s[48:49], vcc
	s_cbranch_execz .LBB6_10294
; %bb.10291:                            ;   in Loop: Header=BB6_9212 Depth=3
	v_and_b32_e32 v19, 0x7f, v29
	v_cmp_ne_u32_e32 vcc, s83, v19
	v_mov_b32_e32 v2, 0x7f800001
	s_and_saveexec_b64 s[50:51], vcc
	s_cbranch_execz .LBB6_10293
; %bb.10292:                            ;   in Loop: Header=BB6_9212 Depth=3
	v_and_b32_e32 v2, 7, v0
	v_lshrrev_b32_e32 v26, 3, v19
	v_cmp_gt_u32_e32 vcc, 8, v19
	v_ffbh_u32_e32 v19, v2
	v_min_u32_e32 v19, 32, v19
	v_subrev_u32_e32 v23, 28, v19
	v_lshlrev_b64 v[23:24], v23, v[0:1]
	v_sub_u32_e32 v0, 29, v19
	v_and_b32_e32 v19, 7, v23
	v_cndmask_b32_e32 v0, v26, v0, vcc
	v_cndmask_b32_e32 v2, v2, v19, vcc
	v_lshlrev_b32_e32 v19, 24, v29
	v_bfrev_b32_e32 v23, 60
	v_lshlrev_b32_e32 v2, 20, v2
	v_and_b32_e32 v19, 0x80000000, v19
	v_lshl_add_u32 v0, v0, 23, v23
	v_or3_b32 v2, v19, v0, v2
.LBB6_10293:                            ;   in Loop: Header=BB6_9212 Depth=3
	s_or_b64 exec, exec, s[50:51]
.LBB6_10294:                            ;   in Loop: Header=BB6_9212 Depth=3
	s_or_b64 exec, exec, s[48:49]
.LBB6_10295:                            ;   in Loop: Header=BB6_9212 Depth=3
	s_or_b64 exec, exec, s[40:41]
	v_max_f32_e32 v0, v2, v2
	v_max_f32_e32 v1, v1, v1
	v_min_f32_e32 v1, v1, v0
.LBB6_10296:                            ;   in Loop: Header=BB6_9212 Depth=3
	v_and_b32_e32 v52, 0x7f800000, v1
	v_cmp_ne_u64_e32 vcc, s[76:77], v[52:53]
                                        ; implicit-def: $vgpr23
	s_and_saveexec_b64 s[40:41], vcc
	s_xor_b64 s[48:49], exec, s[40:41]
	s_cbranch_execz .LBB6_10314
; %bb.10297:                            ;   in Loop: Header=BB6_9212 Depth=3
	v_and_b32_e32 v52, 0x7fffffff, v1
	v_cmp_gt_u64_e32 vcc, s[78:79], v[52:53]
	v_and_b32_sdwa v19, v1, s82 dst_sel:DWORD dst_unused:UNUSED_PAD src0_sel:BYTE_3 src1_sel:DWORD
                                        ; implicit-def: $vgpr23
	s_and_saveexec_b64 s[40:41], vcc
	s_xor_b64 s[50:51], exec, s[40:41]
	s_cbranch_execz .LBB6_10311
; %bb.10298:                            ;   in Loop: Header=BB6_9212 Depth=3
	v_cmp_ne_u32_e32 vcc, 0, v1
	v_mov_b32_e32 v23, 0
	s_and_saveexec_b64 s[52:53], vcc
	s_cbranch_execz .LBB6_10310
; %bb.10299:                            ;   in Loop: Header=BB6_9212 Depth=3
	v_bfe_u32 v23, v1, 23, 8
	v_and_b32_e32 v0, 0x7fffff, v1
	v_cmp_gt_u32_e64 s[40:41], s85, v23
	v_sub_u32_e32 v1, 0x79, v23
	v_cmp_eq_u32_e32 vcc, 0, v23
	v_cndmask_b32_e64 v1, 0, v1, s[40:41]
	v_mov_b32_e32 v24, 0x78
	v_or_b32_e32 v2, 0x800000, v0
	v_cndmask_b32_e32 v24, v1, v24, vcc
	v_cndmask_b32_e32 v52, v2, v0, vcc
	v_add_u32_e32 v0, 20, v24
	v_lshlrev_b64 v[0:1], v0, -1
	v_add_u32_e32 v2, 19, v24
	v_lshlrev_b64 v[26:27], v2, 1
	v_bfi_b32 v1, v1, 0, 0
	v_bfi_b32 v0, v0, 0, v52
	v_cmp_eq_u64_e64 s[40:41], v[0:1], v[26:27]
	v_lshrrev_b64 v[0:1], v24, v[52:53]
	v_mov_b32_e32 v2, v1
	v_mov_b32_e32 v1, v0
	s_and_saveexec_b64 s[54:55], s[40:41]
; %bb.10300:                            ;   in Loop: Header=BB6_9212 Depth=3
	v_bfe_u32 v1, v0, 20, 1
	v_add_co_u32_e64 v1, s[40:41], v0, v1
	v_add_co_u32_e64 v1, s[40:41], -1, v1
; %bb.10301:                            ;   in Loop: Header=BB6_9212 Depth=3
	s_or_b64 exec, exec, s[54:55]
	v_add_u32_e32 v2, 0xffffff81, v23
	v_mov_b32_e32 v23, 0xffffff82
	v_cndmask_b32_e32 v2, v2, v23, vcc
	v_lshrrev_b32_e32 v23, 23, v0
	v_add3_u32 v24, v24, v2, v23
	v_add_u32_e32 v23, 6, v24
	v_and_b32_e32 v1, 0xfffff, v1
	v_add_u32_e32 v52, v1, v0
	v_cmp_ne_u32_e32 vcc, 0, v23
                                        ; implicit-def: $vgpr0_vgpr1
                                        ; implicit-def: $vgpr2
	s_and_saveexec_b64 s[40:41], vcc
	s_xor_b64 s[40:41], exec, s[40:41]
; %bb.10302:                            ;   in Loop: Header=BB6_9212 Depth=3
	v_cmp_lt_u64_e32 vcc, s[88:89], v[52:53]
	v_add_u32_e32 v0, 7, v24
	v_cndmask_b32_e32 v2, v23, v0, vcc
	v_cndmask_b32_e64 v0, 0, 1, vcc
	v_lshrrev_b64 v[0:1], v0, v[52:53]
; %bb.10303:                            ;   in Loop: Header=BB6_9212 Depth=3
	s_andn2_saveexec_b64 s[40:41], s[40:41]
; %bb.10304:                            ;   in Loop: Header=BB6_9212 Depth=3
	v_mov_b32_e32 v0, v52
	v_mov_b32_e32 v1, v53
	v_bfe_u32 v2, v52, 23, 1
; %bb.10305:                            ;   in Loop: Header=BB6_9212 Depth=3
	s_or_b64 exec, exec, s[40:41]
	v_lshrrev_b64 v[0:1], 20, v[0:1]
	v_cmp_gt_i32_e32 vcc, 16, v2
	v_cndmask_b32_e32 v1, 0, v1, vcc
	v_cndmask_b32_e32 v0, 7, v0, vcc
	v_cmp_ne_u64_e32 vcc, 0, v[0:1]
	v_cmp_ne_u32_e64 s[40:41], 0, v2
	s_or_b64 s[40:41], s[40:41], vcc
                                        ; implicit-def: $vgpr23
	s_and_saveexec_b64 vcc, s[40:41]
	s_xor_b64 s[40:41], exec, vcc
; %bb.10306:                            ;   in Loop: Header=BB6_9212 Depth=3
	v_min_i32_e32 v1, 15, v2
	v_lshl_or_b32 v1, v1, 3, v19
	v_and_or_b32 v23, v0, 7, v1
                                        ; implicit-def: $vgpr19
; %bb.10307:                            ;   in Loop: Header=BB6_9212 Depth=3
	s_andn2_saveexec_b64 s[40:41], s[40:41]
; %bb.10308:                            ;   in Loop: Header=BB6_9212 Depth=3
	v_mov_b32_e32 v23, v19
; %bb.10309:                            ;   in Loop: Header=BB6_9212 Depth=3
	s_or_b64 exec, exec, s[40:41]
.LBB6_10310:                            ;   in Loop: Header=BB6_9212 Depth=3
	s_or_b64 exec, exec, s[52:53]
                                        ; implicit-def: $vgpr19
.LBB6_10311:                            ;   in Loop: Header=BB6_9212 Depth=3
	s_andn2_saveexec_b64 s[40:41], s[50:51]
; %bb.10312:                            ;   in Loop: Header=BB6_9212 Depth=3
	v_or_b32_e32 v23, 0x7e, v19
; %bb.10313:                            ;   in Loop: Header=BB6_9212 Depth=3
	s_or_b64 exec, exec, s[40:41]
                                        ; implicit-def: $vgpr1
.LBB6_10314:                            ;   in Loop: Header=BB6_9212 Depth=3
	s_andn2_saveexec_b64 s[40:41], s[48:49]
; %bb.10315:                            ;   in Loop: Header=BB6_9212 Depth=3
	v_or_b32_sdwa v23, v1, s83 dst_sel:DWORD dst_unused:UNUSED_PAD src0_sel:BYTE_3 src1_sel:DWORD
; %bb.10316:                            ;   in Loop: Header=BB6_9212 Depth=3
	s_or_b64 exec, exec, s[40:41]
	v_and_b32_e32 v0, 0xff, v32
	v_cmp_ne_u16_e64 s[40:41], 0, v0
	s_and_b64 vcc, exec, s[28:29]
	s_mov_b64 s[48:49], -1
                                        ; implicit-def: $vgpr1
	s_cbranch_vccnz .LBB6_10330
; %bb.10317:                            ;   in Loop: Header=BB6_9212 Depth=3
	v_mov_b32_e32 v19, 0
	v_mov_b32_e32 v2, 0
	s_and_saveexec_b64 s[48:49], s[40:41]
	s_cbranch_execz .LBB6_10323
; %bb.10318:                            ;   in Loop: Header=BB6_9212 Depth=3
	v_cmp_ne_u16_e32 vcc, s82, v0
	v_bfrev_b32_e32 v2, 1
	s_and_saveexec_b64 s[50:51], vcc
	s_cbranch_execz .LBB6_10322
; %bb.10319:                            ;   in Loop: Header=BB6_9212 Depth=3
	v_and_b32_e32 v1, 0x7f, v32
	v_cmp_ne_u32_e32 vcc, s83, v1
	v_mov_b32_e32 v2, 0x7f800001
	s_and_saveexec_b64 s[52:53], vcc
	s_cbranch_execz .LBB6_10321
; %bb.10320:                            ;   in Loop: Header=BB6_9212 Depth=3
	v_and_b32_e32 v24, 7, v0
	v_lshrrev_b32_e32 v26, 3, v1
	v_cmp_gt_u32_e32 vcc, 8, v1
	v_ffbh_u32_e32 v1, v24
	v_min_u32_e32 v27, 32, v1
	v_subrev_u32_e32 v1, 28, v27
	v_lshlrev_b64 v[1:2], v1, v[0:1]
	v_sub_u32_e32 v2, 29, v27
	v_and_b32_e32 v1, 7, v1
	v_cndmask_b32_e32 v2, v26, v2, vcc
	v_cndmask_b32_e32 v1, v24, v1, vcc
	v_lshlrev_b32_e32 v24, 24, v32
	v_bfrev_b32_e32 v26, 60
	v_lshlrev_b32_e32 v1, 20, v1
	v_and_b32_e32 v24, 0x80000000, v24
	v_lshl_add_u32 v2, v2, 23, v26
	v_or3_b32 v2, v24, v2, v1
.LBB6_10321:                            ;   in Loop: Header=BB6_9212 Depth=3
	s_or_b64 exec, exec, s[52:53]
.LBB6_10322:                            ;   in Loop: Header=BB6_9212 Depth=3
	s_or_b64 exec, exec, s[50:51]
.LBB6_10323:                            ;   in Loop: Header=BB6_9212 Depth=3
	s_or_b64 exec, exec, s[48:49]
	v_and_b32_e32 v1, 0xff, v30
	v_cmp_ne_u16_e32 vcc, 0, v1
	s_and_saveexec_b64 s[48:49], vcc
	s_cbranch_execz .LBB6_10329
; %bb.10324:                            ;   in Loop: Header=BB6_9212 Depth=3
	v_cmp_ne_u16_e32 vcc, s82, v1
	v_bfrev_b32_e32 v19, 1
	s_and_saveexec_b64 s[50:51], vcc
	s_cbranch_execz .LBB6_10328
; %bb.10325:                            ;   in Loop: Header=BB6_9212 Depth=3
	v_and_b32_e32 v24, 0x7f, v30
	v_cmp_ne_u32_e32 vcc, s83, v24
	v_mov_b32_e32 v19, 0x7f800001
	s_and_saveexec_b64 s[52:53], vcc
	s_cbranch_execz .LBB6_10327
; %bb.10326:                            ;   in Loop: Header=BB6_9212 Depth=3
	v_and_b32_e32 v19, 7, v1
	v_lshrrev_b32_e32 v29, 3, v24
	v_cmp_gt_u32_e32 vcc, 8, v24
	v_ffbh_u32_e32 v24, v19
	v_min_u32_e32 v24, 32, v24
	v_subrev_u32_e32 v26, 28, v24
	v_lshlrev_b64 v[26:27], v26, v[1:2]
	v_sub_u32_e32 v1, 29, v24
	v_and_b32_e32 v24, 7, v26
	v_cndmask_b32_e32 v1, v29, v1, vcc
	v_cndmask_b32_e32 v19, v19, v24, vcc
	v_lshlrev_b32_e32 v24, 24, v30
	v_bfrev_b32_e32 v26, 60
	v_lshlrev_b32_e32 v19, 20, v19
	v_and_b32_e32 v24, 0x80000000, v24
	v_lshl_add_u32 v1, v1, 23, v26
	v_or3_b32 v19, v24, v1, v19
.LBB6_10327:                            ;   in Loop: Header=BB6_9212 Depth=3
	s_or_b64 exec, exec, s[52:53]
.LBB6_10328:                            ;   in Loop: Header=BB6_9212 Depth=3
	s_or_b64 exec, exec, s[50:51]
.LBB6_10329:                            ;   in Loop: Header=BB6_9212 Depth=3
	s_or_b64 exec, exec, s[48:49]
	v_max_f32_e32 v1, v19, v19
	v_max_f32_e32 v2, v2, v2
	;; [unrolled: 1-line block ×3, first 2 shown]
	s_mov_b64 s[48:49], 0
.LBB6_10330:                            ;   in Loop: Header=BB6_9212 Depth=3
	s_and_b64 vcc, exec, s[48:49]
	s_cbranch_vccz .LBB6_10344
; %bb.10331:                            ;   in Loop: Header=BB6_9212 Depth=3
	v_mov_b32_e32 v2, 0
	v_mov_b32_e32 v1, 0
	s_and_saveexec_b64 s[48:49], s[40:41]
	s_cbranch_execz .LBB6_10337
; %bb.10332:                            ;   in Loop: Header=BB6_9212 Depth=3
	v_cmp_ne_u16_e32 vcc, s82, v0
	v_bfrev_b32_e32 v1, 1
	s_and_saveexec_b64 s[40:41], vcc
	s_cbranch_execz .LBB6_10336
; %bb.10333:                            ;   in Loop: Header=BB6_9212 Depth=3
	v_and_b32_e32 v19, 0x7f, v32
	v_cmp_ne_u32_e32 vcc, s83, v19
	v_mov_b32_e32 v1, 0x7f800001
	s_and_saveexec_b64 s[50:51], vcc
	s_cbranch_execz .LBB6_10335
; %bb.10334:                            ;   in Loop: Header=BB6_9212 Depth=3
	v_and_b32_e32 v24, 7, v0
	v_ffbh_u32_e32 v1, v24
	v_lshrrev_b32_e32 v26, 3, v19
	v_cmp_gt_u32_e32 vcc, 8, v19
	v_min_u32_e32 v19, 32, v1
	v_subrev_u32_e32 v1, 28, v19
	v_lshlrev_b64 v[0:1], v1, v[0:1]
	v_sub_u32_e32 v1, 29, v19
	v_and_b32_e32 v0, 7, v0
	v_cndmask_b32_e32 v1, v26, v1, vcc
	v_cndmask_b32_e32 v0, v24, v0, vcc
	v_lshlrev_b32_e32 v19, 24, v32
	v_bfrev_b32_e32 v24, 60
	v_lshlrev_b32_e32 v0, 20, v0
	v_and_b32_e32 v19, 0x80000000, v19
	v_lshl_add_u32 v1, v1, 23, v24
	v_or3_b32 v1, v19, v1, v0
.LBB6_10335:                            ;   in Loop: Header=BB6_9212 Depth=3
	s_or_b64 exec, exec, s[50:51]
.LBB6_10336:                            ;   in Loop: Header=BB6_9212 Depth=3
	s_or_b64 exec, exec, s[40:41]
.LBB6_10337:                            ;   in Loop: Header=BB6_9212 Depth=3
	s_or_b64 exec, exec, s[48:49]
	v_and_b32_e32 v0, 0xff, v30
	v_cmp_ne_u16_e32 vcc, 0, v0
	s_and_saveexec_b64 s[40:41], vcc
	s_cbranch_execz .LBB6_10343
; %bb.10338:                            ;   in Loop: Header=BB6_9212 Depth=3
	v_cmp_ne_u16_e32 vcc, s82, v0
	v_bfrev_b32_e32 v2, 1
	s_and_saveexec_b64 s[48:49], vcc
	s_cbranch_execz .LBB6_10342
; %bb.10339:                            ;   in Loop: Header=BB6_9212 Depth=3
	v_and_b32_e32 v19, 0x7f, v30
	v_cmp_ne_u32_e32 vcc, s83, v19
	v_mov_b32_e32 v2, 0x7f800001
	s_and_saveexec_b64 s[50:51], vcc
	s_cbranch_execz .LBB6_10341
; %bb.10340:                            ;   in Loop: Header=BB6_9212 Depth=3
	v_and_b32_e32 v2, 7, v0
	v_lshrrev_b32_e32 v24, 3, v19
	v_cmp_gt_u32_e32 vcc, 8, v19
	v_ffbh_u32_e32 v19, v2
	v_min_u32_e32 v19, 32, v19
	v_subrev_u32_e32 v26, 28, v19
	v_lshlrev_b64 v[26:27], v26, v[0:1]
	v_sub_u32_e32 v0, 29, v19
	v_and_b32_e32 v19, 7, v26
	v_cndmask_b32_e32 v0, v24, v0, vcc
	v_cndmask_b32_e32 v2, v2, v19, vcc
	v_lshlrev_b32_e32 v19, 24, v30
	v_bfrev_b32_e32 v24, 60
	v_lshlrev_b32_e32 v2, 20, v2
	v_and_b32_e32 v19, 0x80000000, v19
	v_lshl_add_u32 v0, v0, 23, v24
	v_or3_b32 v2, v19, v0, v2
.LBB6_10341:                            ;   in Loop: Header=BB6_9212 Depth=3
	s_or_b64 exec, exec, s[50:51]
.LBB6_10342:                            ;   in Loop: Header=BB6_9212 Depth=3
	s_or_b64 exec, exec, s[48:49]
.LBB6_10343:                            ;   in Loop: Header=BB6_9212 Depth=3
	s_or_b64 exec, exec, s[40:41]
	v_max_f32_e32 v0, v2, v2
	v_max_f32_e32 v1, v1, v1
	v_min_f32_e32 v1, v1, v0
.LBB6_10344:                            ;   in Loop: Header=BB6_9212 Depth=3
	v_and_b32_e32 v52, 0x7f800000, v1
	v_cmp_ne_u64_e32 vcc, s[76:77], v[52:53]
                                        ; implicit-def: $vgpr24
	s_and_saveexec_b64 s[40:41], vcc
	s_xor_b64 s[48:49], exec, s[40:41]
	s_cbranch_execz .LBB6_10362
; %bb.10345:                            ;   in Loop: Header=BB6_9212 Depth=3
	v_and_b32_e32 v52, 0x7fffffff, v1
	v_cmp_gt_u64_e32 vcc, s[78:79], v[52:53]
	v_and_b32_sdwa v19, v1, s82 dst_sel:DWORD dst_unused:UNUSED_PAD src0_sel:BYTE_3 src1_sel:DWORD
                                        ; implicit-def: $vgpr24
	s_and_saveexec_b64 s[40:41], vcc
	s_xor_b64 s[50:51], exec, s[40:41]
	s_cbranch_execz .LBB6_10359
; %bb.10346:                            ;   in Loop: Header=BB6_9212 Depth=3
	v_cmp_ne_u32_e32 vcc, 0, v1
	v_mov_b32_e32 v24, 0
	s_and_saveexec_b64 s[52:53], vcc
	s_cbranch_execz .LBB6_10358
; %bb.10347:                            ;   in Loop: Header=BB6_9212 Depth=3
	v_bfe_u32 v24, v1, 23, 8
	v_and_b32_e32 v0, 0x7fffff, v1
	v_cmp_gt_u32_e64 s[40:41], s85, v24
	v_sub_u32_e32 v1, 0x79, v24
	v_cmp_eq_u32_e32 vcc, 0, v24
	v_cndmask_b32_e64 v1, 0, v1, s[40:41]
	v_mov_b32_e32 v26, 0x78
	v_or_b32_e32 v2, 0x800000, v0
	v_cndmask_b32_e32 v26, v1, v26, vcc
	v_cndmask_b32_e32 v52, v2, v0, vcc
	v_add_u32_e32 v0, 20, v26
	v_lshlrev_b64 v[0:1], v0, -1
	v_add_u32_e32 v2, 19, v26
	v_lshlrev_b64 v[29:30], v2, 1
	v_bfi_b32 v1, v1, 0, 0
	v_bfi_b32 v0, v0, 0, v52
	v_cmp_eq_u64_e64 s[40:41], v[0:1], v[29:30]
	v_lshrrev_b64 v[0:1], v26, v[52:53]
	v_mov_b32_e32 v2, v1
	v_mov_b32_e32 v1, v0
	s_and_saveexec_b64 s[54:55], s[40:41]
; %bb.10348:                            ;   in Loop: Header=BB6_9212 Depth=3
	v_bfe_u32 v1, v0, 20, 1
	v_add_co_u32_e64 v1, s[40:41], v0, v1
	v_add_co_u32_e64 v1, s[40:41], -1, v1
; %bb.10349:                            ;   in Loop: Header=BB6_9212 Depth=3
	s_or_b64 exec, exec, s[54:55]
	v_add_u32_e32 v2, 0xffffff81, v24
	v_mov_b32_e32 v24, 0xffffff82
	v_cndmask_b32_e32 v2, v2, v24, vcc
	v_lshrrev_b32_e32 v24, 23, v0
	v_add3_u32 v26, v26, v2, v24
	v_add_u32_e32 v24, 6, v26
	v_and_b32_e32 v1, 0xfffff, v1
	v_add_u32_e32 v52, v1, v0
	v_cmp_ne_u32_e32 vcc, 0, v24
                                        ; implicit-def: $vgpr0_vgpr1
                                        ; implicit-def: $vgpr2
	s_and_saveexec_b64 s[40:41], vcc
	s_xor_b64 s[40:41], exec, s[40:41]
; %bb.10350:                            ;   in Loop: Header=BB6_9212 Depth=3
	v_cmp_lt_u64_e32 vcc, s[88:89], v[52:53]
	v_add_u32_e32 v0, 7, v26
	v_cndmask_b32_e32 v2, v24, v0, vcc
	v_cndmask_b32_e64 v0, 0, 1, vcc
	v_lshrrev_b64 v[0:1], v0, v[52:53]
; %bb.10351:                            ;   in Loop: Header=BB6_9212 Depth=3
	s_andn2_saveexec_b64 s[40:41], s[40:41]
; %bb.10352:                            ;   in Loop: Header=BB6_9212 Depth=3
	v_mov_b32_e32 v0, v52
	v_mov_b32_e32 v1, v53
	v_bfe_u32 v2, v52, 23, 1
; %bb.10353:                            ;   in Loop: Header=BB6_9212 Depth=3
	s_or_b64 exec, exec, s[40:41]
	v_lshrrev_b64 v[0:1], 20, v[0:1]
	v_cmp_gt_i32_e32 vcc, 16, v2
	v_cndmask_b32_e32 v1, 0, v1, vcc
	v_cndmask_b32_e32 v0, 7, v0, vcc
	v_cmp_ne_u64_e32 vcc, 0, v[0:1]
	v_cmp_ne_u32_e64 s[40:41], 0, v2
	s_or_b64 s[40:41], s[40:41], vcc
                                        ; implicit-def: $vgpr24
	s_and_saveexec_b64 vcc, s[40:41]
	s_xor_b64 s[40:41], exec, vcc
; %bb.10354:                            ;   in Loop: Header=BB6_9212 Depth=3
	v_min_i32_e32 v1, 15, v2
	v_lshl_or_b32 v1, v1, 3, v19
	v_and_or_b32 v24, v0, 7, v1
                                        ; implicit-def: $vgpr19
; %bb.10355:                            ;   in Loop: Header=BB6_9212 Depth=3
	s_andn2_saveexec_b64 s[40:41], s[40:41]
; %bb.10356:                            ;   in Loop: Header=BB6_9212 Depth=3
	v_mov_b32_e32 v24, v19
; %bb.10357:                            ;   in Loop: Header=BB6_9212 Depth=3
	s_or_b64 exec, exec, s[40:41]
.LBB6_10358:                            ;   in Loop: Header=BB6_9212 Depth=3
	s_or_b64 exec, exec, s[52:53]
                                        ; implicit-def: $vgpr19
.LBB6_10359:                            ;   in Loop: Header=BB6_9212 Depth=3
	s_andn2_saveexec_b64 s[40:41], s[50:51]
; %bb.10360:                            ;   in Loop: Header=BB6_9212 Depth=3
	v_or_b32_e32 v24, 0x7e, v19
; %bb.10361:                            ;   in Loop: Header=BB6_9212 Depth=3
	s_or_b64 exec, exec, s[40:41]
                                        ; implicit-def: $vgpr1
.LBB6_10362:                            ;   in Loop: Header=BB6_9212 Depth=3
	s_andn2_saveexec_b64 s[40:41], s[48:49]
; %bb.10363:                            ;   in Loop: Header=BB6_9212 Depth=3
	v_or_b32_sdwa v24, v1, s83 dst_sel:DWORD dst_unused:UNUSED_PAD src0_sel:BYTE_3 src1_sel:DWORD
; %bb.10364:                            ;   in Loop: Header=BB6_9212 Depth=3
	s_or_b64 exec, exec, s[40:41]
	v_and_b32_e32 v0, 0xff, v61
	v_cmp_ne_u16_e64 s[40:41], 0, v0
	s_and_b64 vcc, exec, s[28:29]
	s_mov_b64 s[48:49], -1
                                        ; implicit-def: $vgpr1
	s_cbranch_vccnz .LBB6_10378
; %bb.10365:                            ;   in Loop: Header=BB6_9212 Depth=3
	v_mov_b32_e32 v19, 0
	v_mov_b32_e32 v2, 0
	s_and_saveexec_b64 s[48:49], s[40:41]
	s_cbranch_execz .LBB6_10371
; %bb.10366:                            ;   in Loop: Header=BB6_9212 Depth=3
	v_cmp_ne_u16_e32 vcc, s82, v0
	v_bfrev_b32_e32 v2, 1
	s_and_saveexec_b64 s[50:51], vcc
	s_cbranch_execz .LBB6_10370
; %bb.10367:                            ;   in Loop: Header=BB6_9212 Depth=3
	v_and_b32_e32 v1, 0x7f, v61
	v_cmp_ne_u32_e32 vcc, s83, v1
	v_mov_b32_e32 v2, 0x7f800001
	s_and_saveexec_b64 s[52:53], vcc
	s_cbranch_execz .LBB6_10369
; %bb.10368:                            ;   in Loop: Header=BB6_9212 Depth=3
	v_and_b32_e32 v26, 7, v0
	v_lshrrev_b32_e32 v27, 3, v1
	v_cmp_gt_u32_e32 vcc, 8, v1
	v_ffbh_u32_e32 v1, v26
	v_min_u32_e32 v29, 32, v1
	v_subrev_u32_e32 v1, 28, v29
	v_lshlrev_b64 v[1:2], v1, v[0:1]
	v_sub_u32_e32 v2, 29, v29
	v_and_b32_e32 v1, 7, v1
	v_cndmask_b32_e32 v2, v27, v2, vcc
	v_cndmask_b32_e32 v1, v26, v1, vcc
	v_lshlrev_b32_e32 v26, 24, v61
	v_bfrev_b32_e32 v27, 60
	v_lshlrev_b32_e32 v1, 20, v1
	v_and_b32_e32 v26, 0x80000000, v26
	v_lshl_add_u32 v2, v2, 23, v27
	v_or3_b32 v2, v26, v2, v1
.LBB6_10369:                            ;   in Loop: Header=BB6_9212 Depth=3
	s_or_b64 exec, exec, s[52:53]
.LBB6_10370:                            ;   in Loop: Header=BB6_9212 Depth=3
	s_or_b64 exec, exec, s[50:51]
.LBB6_10371:                            ;   in Loop: Header=BB6_9212 Depth=3
	s_or_b64 exec, exec, s[48:49]
	v_and_b32_e32 v1, 0xff, v59
	v_cmp_ne_u16_e32 vcc, 0, v1
	s_and_saveexec_b64 s[48:49], vcc
	s_cbranch_execz .LBB6_10377
; %bb.10372:                            ;   in Loop: Header=BB6_9212 Depth=3
	v_cmp_ne_u16_e32 vcc, s82, v1
	v_bfrev_b32_e32 v19, 1
	s_and_saveexec_b64 s[50:51], vcc
	s_cbranch_execz .LBB6_10376
; %bb.10373:                            ;   in Loop: Header=BB6_9212 Depth=3
	v_and_b32_e32 v26, 0x7f, v59
	v_cmp_ne_u32_e32 vcc, s83, v26
	v_mov_b32_e32 v19, 0x7f800001
	s_and_saveexec_b64 s[52:53], vcc
	s_cbranch_execz .LBB6_10375
; %bb.10374:                            ;   in Loop: Header=BB6_9212 Depth=3
	v_and_b32_e32 v19, 7, v1
	v_lshrrev_b32_e32 v29, 3, v26
	v_cmp_gt_u32_e32 vcc, 8, v26
	v_ffbh_u32_e32 v26, v19
	v_min_u32_e32 v30, 32, v26
	v_subrev_u32_e32 v26, 28, v30
	v_lshlrev_b64 v[26:27], v26, v[1:2]
	v_sub_u32_e32 v1, 29, v30
	v_and_b32_e32 v26, 7, v26
	v_cndmask_b32_e32 v1, v29, v1, vcc
	v_cndmask_b32_e32 v19, v19, v26, vcc
	v_lshlrev_b32_e32 v26, 24, v59
	v_bfrev_b32_e32 v27, 60
	v_lshlrev_b32_e32 v19, 20, v19
	v_and_b32_e32 v26, 0x80000000, v26
	v_lshl_add_u32 v1, v1, 23, v27
	v_or3_b32 v19, v26, v1, v19
.LBB6_10375:                            ;   in Loop: Header=BB6_9212 Depth=3
	s_or_b64 exec, exec, s[52:53]
.LBB6_10376:                            ;   in Loop: Header=BB6_9212 Depth=3
	s_or_b64 exec, exec, s[50:51]
.LBB6_10377:                            ;   in Loop: Header=BB6_9212 Depth=3
	s_or_b64 exec, exec, s[48:49]
	v_max_f32_e32 v1, v19, v19
	v_max_f32_e32 v2, v2, v2
	;; [unrolled: 1-line block ×3, first 2 shown]
	s_mov_b64 s[48:49], 0
.LBB6_10378:                            ;   in Loop: Header=BB6_9212 Depth=3
	s_and_b64 vcc, exec, s[48:49]
	s_cbranch_vccz .LBB6_10392
; %bb.10379:                            ;   in Loop: Header=BB6_9212 Depth=3
	v_mov_b32_e32 v2, 0
	v_mov_b32_e32 v1, 0
	s_and_saveexec_b64 s[48:49], s[40:41]
	s_cbranch_execz .LBB6_10385
; %bb.10380:                            ;   in Loop: Header=BB6_9212 Depth=3
	v_cmp_ne_u16_e32 vcc, s82, v0
	v_bfrev_b32_e32 v1, 1
	s_and_saveexec_b64 s[40:41], vcc
	s_cbranch_execz .LBB6_10384
; %bb.10381:                            ;   in Loop: Header=BB6_9212 Depth=3
	v_and_b32_e32 v19, 0x7f, v61
	v_cmp_ne_u32_e32 vcc, s83, v19
	v_mov_b32_e32 v1, 0x7f800001
	s_and_saveexec_b64 s[50:51], vcc
	s_cbranch_execz .LBB6_10383
; %bb.10382:                            ;   in Loop: Header=BB6_9212 Depth=3
	v_and_b32_e32 v26, 7, v0
	v_ffbh_u32_e32 v1, v26
	v_lshrrev_b32_e32 v27, 3, v19
	v_cmp_gt_u32_e32 vcc, 8, v19
	v_min_u32_e32 v19, 32, v1
	v_subrev_u32_e32 v1, 28, v19
	v_lshlrev_b64 v[0:1], v1, v[0:1]
	v_sub_u32_e32 v1, 29, v19
	v_and_b32_e32 v0, 7, v0
	v_cndmask_b32_e32 v1, v27, v1, vcc
	v_cndmask_b32_e32 v0, v26, v0, vcc
	v_lshlrev_b32_e32 v19, 24, v61
	v_bfrev_b32_e32 v26, 60
	v_lshlrev_b32_e32 v0, 20, v0
	v_and_b32_e32 v19, 0x80000000, v19
	v_lshl_add_u32 v1, v1, 23, v26
	v_or3_b32 v1, v19, v1, v0
.LBB6_10383:                            ;   in Loop: Header=BB6_9212 Depth=3
	s_or_b64 exec, exec, s[50:51]
.LBB6_10384:                            ;   in Loop: Header=BB6_9212 Depth=3
	s_or_b64 exec, exec, s[40:41]
.LBB6_10385:                            ;   in Loop: Header=BB6_9212 Depth=3
	s_or_b64 exec, exec, s[48:49]
	v_and_b32_e32 v0, 0xff, v59
	v_cmp_ne_u16_e32 vcc, 0, v0
	s_and_saveexec_b64 s[40:41], vcc
	s_cbranch_execz .LBB6_10391
; %bb.10386:                            ;   in Loop: Header=BB6_9212 Depth=3
	v_cmp_ne_u16_e32 vcc, s82, v0
	v_bfrev_b32_e32 v2, 1
	s_and_saveexec_b64 s[48:49], vcc
	s_cbranch_execz .LBB6_10390
; %bb.10387:                            ;   in Loop: Header=BB6_9212 Depth=3
	v_and_b32_e32 v19, 0x7f, v59
	v_cmp_ne_u32_e32 vcc, s83, v19
	v_mov_b32_e32 v2, 0x7f800001
	s_and_saveexec_b64 s[50:51], vcc
	s_cbranch_execz .LBB6_10389
; %bb.10388:                            ;   in Loop: Header=BB6_9212 Depth=3
	v_and_b32_e32 v2, 7, v0
	v_lshrrev_b32_e32 v29, 3, v19
	v_cmp_gt_u32_e32 vcc, 8, v19
	v_ffbh_u32_e32 v19, v2
	v_min_u32_e32 v19, 32, v19
	v_subrev_u32_e32 v26, 28, v19
	v_lshlrev_b64 v[26:27], v26, v[0:1]
	v_sub_u32_e32 v0, 29, v19
	v_and_b32_e32 v19, 7, v26
	v_cndmask_b32_e32 v0, v29, v0, vcc
	v_cndmask_b32_e32 v2, v2, v19, vcc
	v_lshlrev_b32_e32 v19, 24, v59
	v_bfrev_b32_e32 v26, 60
	v_lshlrev_b32_e32 v2, 20, v2
	v_and_b32_e32 v19, 0x80000000, v19
	v_lshl_add_u32 v0, v0, 23, v26
	v_or3_b32 v2, v19, v0, v2
.LBB6_10389:                            ;   in Loop: Header=BB6_9212 Depth=3
	s_or_b64 exec, exec, s[50:51]
.LBB6_10390:                            ;   in Loop: Header=BB6_9212 Depth=3
	s_or_b64 exec, exec, s[48:49]
.LBB6_10391:                            ;   in Loop: Header=BB6_9212 Depth=3
	s_or_b64 exec, exec, s[40:41]
	v_max_f32_e32 v0, v2, v2
	v_max_f32_e32 v1, v1, v1
	v_min_f32_e32 v1, v1, v0
.LBB6_10392:                            ;   in Loop: Header=BB6_9212 Depth=3
	v_and_b32_e32 v52, 0x7f800000, v1
	v_cmp_ne_u64_e32 vcc, s[76:77], v[52:53]
                                        ; implicit-def: $vgpr26
	s_and_saveexec_b64 s[40:41], vcc
	s_xor_b64 s[48:49], exec, s[40:41]
	s_cbranch_execz .LBB6_10410
; %bb.10393:                            ;   in Loop: Header=BB6_9212 Depth=3
	v_and_b32_e32 v52, 0x7fffffff, v1
	v_cmp_gt_u64_e32 vcc, s[78:79], v[52:53]
	v_and_b32_sdwa v19, v1, s82 dst_sel:DWORD dst_unused:UNUSED_PAD src0_sel:BYTE_3 src1_sel:DWORD
                                        ; implicit-def: $vgpr26
	s_and_saveexec_b64 s[40:41], vcc
	s_xor_b64 s[50:51], exec, s[40:41]
	s_cbranch_execz .LBB6_10407
; %bb.10394:                            ;   in Loop: Header=BB6_9212 Depth=3
	v_cmp_ne_u32_e32 vcc, 0, v1
	v_mov_b32_e32 v26, 0
	s_and_saveexec_b64 s[52:53], vcc
	s_cbranch_execz .LBB6_10406
; %bb.10395:                            ;   in Loop: Header=BB6_9212 Depth=3
	v_bfe_u32 v26, v1, 23, 8
	v_and_b32_e32 v0, 0x7fffff, v1
	v_cmp_gt_u32_e64 s[40:41], s85, v26
	v_sub_u32_e32 v1, 0x79, v26
	v_cmp_eq_u32_e32 vcc, 0, v26
	v_cndmask_b32_e64 v1, 0, v1, s[40:41]
	v_mov_b32_e32 v27, 0x78
	v_or_b32_e32 v2, 0x800000, v0
	v_cndmask_b32_e32 v27, v1, v27, vcc
	v_cndmask_b32_e32 v52, v2, v0, vcc
	v_add_u32_e32 v0, 20, v27
	v_lshlrev_b64 v[0:1], v0, -1
	v_add_u32_e32 v2, 19, v27
	v_lshlrev_b64 v[29:30], v2, 1
	v_bfi_b32 v1, v1, 0, 0
	v_bfi_b32 v0, v0, 0, v52
	v_cmp_eq_u64_e64 s[40:41], v[0:1], v[29:30]
	v_lshrrev_b64 v[0:1], v27, v[52:53]
	v_mov_b32_e32 v2, v1
	v_mov_b32_e32 v1, v0
	s_and_saveexec_b64 s[54:55], s[40:41]
; %bb.10396:                            ;   in Loop: Header=BB6_9212 Depth=3
	v_bfe_u32 v1, v0, 20, 1
	v_add_co_u32_e64 v1, s[40:41], v0, v1
	v_add_co_u32_e64 v1, s[40:41], -1, v1
; %bb.10397:                            ;   in Loop: Header=BB6_9212 Depth=3
	s_or_b64 exec, exec, s[54:55]
	v_add_u32_e32 v2, 0xffffff81, v26
	v_mov_b32_e32 v26, 0xffffff82
	v_cndmask_b32_e32 v2, v2, v26, vcc
	v_lshrrev_b32_e32 v26, 23, v0
	v_add3_u32 v27, v27, v2, v26
	v_add_u32_e32 v26, 6, v27
	v_and_b32_e32 v1, 0xfffff, v1
	v_add_u32_e32 v52, v1, v0
	v_cmp_ne_u32_e32 vcc, 0, v26
                                        ; implicit-def: $vgpr0_vgpr1
                                        ; implicit-def: $vgpr2
	s_and_saveexec_b64 s[40:41], vcc
	s_xor_b64 s[40:41], exec, s[40:41]
; %bb.10398:                            ;   in Loop: Header=BB6_9212 Depth=3
	v_cmp_lt_u64_e32 vcc, s[88:89], v[52:53]
	v_add_u32_e32 v0, 7, v27
	v_cndmask_b32_e32 v2, v26, v0, vcc
	v_cndmask_b32_e64 v0, 0, 1, vcc
	v_lshrrev_b64 v[0:1], v0, v[52:53]
; %bb.10399:                            ;   in Loop: Header=BB6_9212 Depth=3
	s_andn2_saveexec_b64 s[40:41], s[40:41]
; %bb.10400:                            ;   in Loop: Header=BB6_9212 Depth=3
	v_mov_b32_e32 v0, v52
	v_mov_b32_e32 v1, v53
	v_bfe_u32 v2, v52, 23, 1
; %bb.10401:                            ;   in Loop: Header=BB6_9212 Depth=3
	s_or_b64 exec, exec, s[40:41]
	v_lshrrev_b64 v[0:1], 20, v[0:1]
	v_cmp_gt_i32_e32 vcc, 16, v2
	v_cndmask_b32_e32 v1, 0, v1, vcc
	v_cndmask_b32_e32 v0, 7, v0, vcc
	v_cmp_ne_u64_e32 vcc, 0, v[0:1]
	v_cmp_ne_u32_e64 s[40:41], 0, v2
	s_or_b64 s[40:41], s[40:41], vcc
                                        ; implicit-def: $vgpr26
	s_and_saveexec_b64 vcc, s[40:41]
	s_xor_b64 s[40:41], exec, vcc
; %bb.10402:                            ;   in Loop: Header=BB6_9212 Depth=3
	v_min_i32_e32 v1, 15, v2
	v_lshl_or_b32 v1, v1, 3, v19
	v_and_or_b32 v26, v0, 7, v1
                                        ; implicit-def: $vgpr19
; %bb.10403:                            ;   in Loop: Header=BB6_9212 Depth=3
	s_andn2_saveexec_b64 s[40:41], s[40:41]
; %bb.10404:                            ;   in Loop: Header=BB6_9212 Depth=3
	v_mov_b32_e32 v26, v19
; %bb.10405:                            ;   in Loop: Header=BB6_9212 Depth=3
	s_or_b64 exec, exec, s[40:41]
.LBB6_10406:                            ;   in Loop: Header=BB6_9212 Depth=3
	s_or_b64 exec, exec, s[52:53]
                                        ; implicit-def: $vgpr19
.LBB6_10407:                            ;   in Loop: Header=BB6_9212 Depth=3
	s_andn2_saveexec_b64 s[40:41], s[50:51]
; %bb.10408:                            ;   in Loop: Header=BB6_9212 Depth=3
	v_or_b32_e32 v26, 0x7e, v19
; %bb.10409:                            ;   in Loop: Header=BB6_9212 Depth=3
	s_or_b64 exec, exec, s[40:41]
                                        ; implicit-def: $vgpr1
.LBB6_10410:                            ;   in Loop: Header=BB6_9212 Depth=3
	s_andn2_saveexec_b64 s[40:41], s[48:49]
; %bb.10411:                            ;   in Loop: Header=BB6_9212 Depth=3
	v_or_b32_sdwa v26, v1, s83 dst_sel:DWORD dst_unused:UNUSED_PAD src0_sel:BYTE_3 src1_sel:DWORD
; %bb.10412:                            ;   in Loop: Header=BB6_9212 Depth=3
	s_or_b64 exec, exec, s[40:41]
	v_and_b32_e32 v0, 0xff, v47
	v_cmp_ne_u16_e64 s[40:41], 0, v0
	s_and_b64 vcc, exec, s[28:29]
	s_mov_b64 s[48:49], -1
                                        ; implicit-def: $vgpr1
	s_cbranch_vccnz .LBB6_10426
; %bb.10413:                            ;   in Loop: Header=BB6_9212 Depth=3
	v_mov_b32_e32 v19, 0
	v_mov_b32_e32 v2, 0
	s_and_saveexec_b64 s[48:49], s[40:41]
	s_cbranch_execz .LBB6_10419
; %bb.10414:                            ;   in Loop: Header=BB6_9212 Depth=3
	v_cmp_ne_u16_e32 vcc, s82, v0
	v_bfrev_b32_e32 v2, 1
	s_and_saveexec_b64 s[50:51], vcc
	s_cbranch_execz .LBB6_10418
; %bb.10415:                            ;   in Loop: Header=BB6_9212 Depth=3
	v_and_b32_e32 v1, 0x7f, v47
	v_cmp_ne_u32_e32 vcc, s83, v1
	v_mov_b32_e32 v2, 0x7f800001
	s_and_saveexec_b64 s[52:53], vcc
	s_cbranch_execz .LBB6_10417
; %bb.10416:                            ;   in Loop: Header=BB6_9212 Depth=3
	v_and_b32_e32 v27, 7, v0
	v_lshrrev_b32_e32 v29, 3, v1
	v_cmp_gt_u32_e32 vcc, 8, v1
	v_ffbh_u32_e32 v1, v27
	v_min_u32_e32 v30, 32, v1
	v_subrev_u32_e32 v1, 28, v30
	v_lshlrev_b64 v[1:2], v1, v[0:1]
	v_sub_u32_e32 v2, 29, v30
	v_and_b32_e32 v1, 7, v1
	v_cndmask_b32_e32 v2, v29, v2, vcc
	v_cndmask_b32_e32 v1, v27, v1, vcc
	v_lshlrev_b32_e32 v27, 24, v47
	v_bfrev_b32_e32 v29, 60
	v_lshlrev_b32_e32 v1, 20, v1
	v_and_b32_e32 v27, 0x80000000, v27
	v_lshl_add_u32 v2, v2, 23, v29
	v_or3_b32 v2, v27, v2, v1
.LBB6_10417:                            ;   in Loop: Header=BB6_9212 Depth=3
	s_or_b64 exec, exec, s[52:53]
.LBB6_10418:                            ;   in Loop: Header=BB6_9212 Depth=3
	s_or_b64 exec, exec, s[50:51]
.LBB6_10419:                            ;   in Loop: Header=BB6_9212 Depth=3
	s_or_b64 exec, exec, s[48:49]
	v_and_b32_e32 v1, 0xff, v33
	v_cmp_ne_u16_e32 vcc, 0, v1
	s_and_saveexec_b64 s[48:49], vcc
	s_cbranch_execz .LBB6_10425
; %bb.10420:                            ;   in Loop: Header=BB6_9212 Depth=3
	v_cmp_ne_u16_e32 vcc, s82, v1
	v_bfrev_b32_e32 v19, 1
	s_and_saveexec_b64 s[50:51], vcc
	s_cbranch_execz .LBB6_10424
; %bb.10421:                            ;   in Loop: Header=BB6_9212 Depth=3
	v_and_b32_e32 v27, 0x7f, v33
	v_cmp_ne_u32_e32 vcc, s83, v27
	v_mov_b32_e32 v19, 0x7f800001
	s_and_saveexec_b64 s[52:53], vcc
	s_cbranch_execz .LBB6_10423
; %bb.10422:                            ;   in Loop: Header=BB6_9212 Depth=3
	v_and_b32_e32 v19, 7, v1
	v_lshrrev_b32_e32 v32, 3, v27
	v_cmp_gt_u32_e32 vcc, 8, v27
	v_ffbh_u32_e32 v27, v19
	v_min_u32_e32 v27, 32, v27
	v_subrev_u32_e32 v29, 28, v27
	v_lshlrev_b64 v[29:30], v29, v[1:2]
	v_sub_u32_e32 v1, 29, v27
	v_and_b32_e32 v27, 7, v29
	v_cndmask_b32_e32 v1, v32, v1, vcc
	v_cndmask_b32_e32 v19, v19, v27, vcc
	v_lshlrev_b32_e32 v27, 24, v33
	v_bfrev_b32_e32 v29, 60
	v_lshlrev_b32_e32 v19, 20, v19
	v_and_b32_e32 v27, 0x80000000, v27
	v_lshl_add_u32 v1, v1, 23, v29
	v_or3_b32 v19, v27, v1, v19
.LBB6_10423:                            ;   in Loop: Header=BB6_9212 Depth=3
	s_or_b64 exec, exec, s[52:53]
.LBB6_10424:                            ;   in Loop: Header=BB6_9212 Depth=3
	s_or_b64 exec, exec, s[50:51]
.LBB6_10425:                            ;   in Loop: Header=BB6_9212 Depth=3
	s_or_b64 exec, exec, s[48:49]
	v_max_f32_e32 v1, v19, v19
	v_max_f32_e32 v2, v2, v2
	;; [unrolled: 1-line block ×3, first 2 shown]
	s_mov_b64 s[48:49], 0
.LBB6_10426:                            ;   in Loop: Header=BB6_9212 Depth=3
	s_and_b64 vcc, exec, s[48:49]
	s_cbranch_vccz .LBB6_10440
; %bb.10427:                            ;   in Loop: Header=BB6_9212 Depth=3
	v_mov_b32_e32 v2, 0
	v_mov_b32_e32 v1, 0
	s_and_saveexec_b64 s[48:49], s[40:41]
	s_cbranch_execz .LBB6_10433
; %bb.10428:                            ;   in Loop: Header=BB6_9212 Depth=3
	v_cmp_ne_u16_e32 vcc, s82, v0
	v_bfrev_b32_e32 v1, 1
	s_and_saveexec_b64 s[40:41], vcc
	s_cbranch_execz .LBB6_10432
; %bb.10429:                            ;   in Loop: Header=BB6_9212 Depth=3
	v_and_b32_e32 v19, 0x7f, v47
	v_cmp_ne_u32_e32 vcc, s83, v19
	v_mov_b32_e32 v1, 0x7f800001
	s_and_saveexec_b64 s[50:51], vcc
	s_cbranch_execz .LBB6_10431
; %bb.10430:                            ;   in Loop: Header=BB6_9212 Depth=3
	v_and_b32_e32 v27, 7, v0
	v_ffbh_u32_e32 v1, v27
	v_lshrrev_b32_e32 v29, 3, v19
	v_cmp_gt_u32_e32 vcc, 8, v19
	v_min_u32_e32 v19, 32, v1
	v_subrev_u32_e32 v1, 28, v19
	v_lshlrev_b64 v[0:1], v1, v[0:1]
	v_sub_u32_e32 v1, 29, v19
	v_and_b32_e32 v0, 7, v0
	v_cndmask_b32_e32 v1, v29, v1, vcc
	v_cndmask_b32_e32 v0, v27, v0, vcc
	v_lshlrev_b32_e32 v19, 24, v47
	v_bfrev_b32_e32 v27, 60
	v_lshlrev_b32_e32 v0, 20, v0
	v_and_b32_e32 v19, 0x80000000, v19
	v_lshl_add_u32 v1, v1, 23, v27
	v_or3_b32 v1, v19, v1, v0
.LBB6_10431:                            ;   in Loop: Header=BB6_9212 Depth=3
	s_or_b64 exec, exec, s[50:51]
.LBB6_10432:                            ;   in Loop: Header=BB6_9212 Depth=3
	s_or_b64 exec, exec, s[40:41]
.LBB6_10433:                            ;   in Loop: Header=BB6_9212 Depth=3
	s_or_b64 exec, exec, s[48:49]
	v_and_b32_e32 v0, 0xff, v33
	v_cmp_ne_u16_e32 vcc, 0, v0
	s_and_saveexec_b64 s[40:41], vcc
	s_cbranch_execz .LBB6_10439
; %bb.10434:                            ;   in Loop: Header=BB6_9212 Depth=3
	v_cmp_ne_u16_e32 vcc, s82, v0
	v_bfrev_b32_e32 v2, 1
	s_and_saveexec_b64 s[48:49], vcc
	s_cbranch_execz .LBB6_10438
; %bb.10435:                            ;   in Loop: Header=BB6_9212 Depth=3
	v_and_b32_e32 v19, 0x7f, v33
	v_cmp_ne_u32_e32 vcc, s83, v19
	v_mov_b32_e32 v2, 0x7f800001
	s_and_saveexec_b64 s[50:51], vcc
	s_cbranch_execz .LBB6_10437
; %bb.10436:                            ;   in Loop: Header=BB6_9212 Depth=3
	v_and_b32_e32 v2, 7, v0
	v_lshrrev_b32_e32 v27, 3, v19
	v_cmp_gt_u32_e32 vcc, 8, v19
	v_ffbh_u32_e32 v19, v2
	v_min_u32_e32 v19, 32, v19
	v_subrev_u32_e32 v29, 28, v19
	v_lshlrev_b64 v[29:30], v29, v[0:1]
	v_sub_u32_e32 v0, 29, v19
	v_and_b32_e32 v19, 7, v29
	v_cndmask_b32_e32 v0, v27, v0, vcc
	v_cndmask_b32_e32 v2, v2, v19, vcc
	v_lshlrev_b32_e32 v19, 24, v33
	v_bfrev_b32_e32 v27, 60
	v_lshlrev_b32_e32 v2, 20, v2
	v_and_b32_e32 v19, 0x80000000, v19
	v_lshl_add_u32 v0, v0, 23, v27
	v_or3_b32 v2, v19, v0, v2
.LBB6_10437:                            ;   in Loop: Header=BB6_9212 Depth=3
	s_or_b64 exec, exec, s[50:51]
.LBB6_10438:                            ;   in Loop: Header=BB6_9212 Depth=3
	s_or_b64 exec, exec, s[48:49]
.LBB6_10439:                            ;   in Loop: Header=BB6_9212 Depth=3
	s_or_b64 exec, exec, s[40:41]
	v_max_f32_e32 v0, v2, v2
	v_max_f32_e32 v1, v1, v1
	v_min_f32_e32 v1, v1, v0
.LBB6_10440:                            ;   in Loop: Header=BB6_9212 Depth=3
	v_and_b32_e32 v52, 0x7f800000, v1
	v_cmp_ne_u64_e32 vcc, s[76:77], v[52:53]
                                        ; implicit-def: $vgpr27
	s_and_saveexec_b64 s[40:41], vcc
	s_xor_b64 s[48:49], exec, s[40:41]
	s_cbranch_execz .LBB6_10458
; %bb.10441:                            ;   in Loop: Header=BB6_9212 Depth=3
	v_and_b32_e32 v52, 0x7fffffff, v1
	v_cmp_gt_u64_e32 vcc, s[78:79], v[52:53]
	v_and_b32_sdwa v19, v1, s82 dst_sel:DWORD dst_unused:UNUSED_PAD src0_sel:BYTE_3 src1_sel:DWORD
                                        ; implicit-def: $vgpr27
	s_and_saveexec_b64 s[40:41], vcc
	s_xor_b64 s[50:51], exec, s[40:41]
	s_cbranch_execz .LBB6_10455
; %bb.10442:                            ;   in Loop: Header=BB6_9212 Depth=3
	v_cmp_ne_u32_e32 vcc, 0, v1
	v_mov_b32_e32 v27, 0
	s_and_saveexec_b64 s[52:53], vcc
	s_cbranch_execz .LBB6_10454
; %bb.10443:                            ;   in Loop: Header=BB6_9212 Depth=3
	v_bfe_u32 v27, v1, 23, 8
	v_and_b32_e32 v0, 0x7fffff, v1
	v_cmp_gt_u32_e64 s[40:41], s85, v27
	v_sub_u32_e32 v1, 0x79, v27
	v_cmp_eq_u32_e32 vcc, 0, v27
	v_cndmask_b32_e64 v1, 0, v1, s[40:41]
	v_mov_b32_e32 v29, 0x78
	v_or_b32_e32 v2, 0x800000, v0
	v_cndmask_b32_e32 v29, v1, v29, vcc
	v_cndmask_b32_e32 v52, v2, v0, vcc
	v_add_u32_e32 v0, 20, v29
	v_lshlrev_b64 v[0:1], v0, -1
	v_add_u32_e32 v2, 19, v29
	v_lshlrev_b64 v[32:33], v2, 1
	v_bfi_b32 v1, v1, 0, 0
	v_bfi_b32 v0, v0, 0, v52
	v_cmp_eq_u64_e64 s[40:41], v[0:1], v[32:33]
	v_lshrrev_b64 v[0:1], v29, v[52:53]
	v_mov_b32_e32 v2, v1
	v_mov_b32_e32 v1, v0
	s_and_saveexec_b64 s[54:55], s[40:41]
; %bb.10444:                            ;   in Loop: Header=BB6_9212 Depth=3
	v_bfe_u32 v1, v0, 20, 1
	v_add_co_u32_e64 v1, s[40:41], v0, v1
	v_add_co_u32_e64 v1, s[40:41], -1, v1
; %bb.10445:                            ;   in Loop: Header=BB6_9212 Depth=3
	s_or_b64 exec, exec, s[54:55]
	v_add_u32_e32 v2, 0xffffff81, v27
	v_mov_b32_e32 v27, 0xffffff82
	v_cndmask_b32_e32 v2, v2, v27, vcc
	v_lshrrev_b32_e32 v27, 23, v0
	v_add3_u32 v29, v29, v2, v27
	v_add_u32_e32 v27, 6, v29
	v_and_b32_e32 v1, 0xfffff, v1
	v_add_u32_e32 v52, v1, v0
	v_cmp_ne_u32_e32 vcc, 0, v27
                                        ; implicit-def: $vgpr0_vgpr1
                                        ; implicit-def: $vgpr2
	s_and_saveexec_b64 s[40:41], vcc
	s_xor_b64 s[40:41], exec, s[40:41]
; %bb.10446:                            ;   in Loop: Header=BB6_9212 Depth=3
	v_cmp_lt_u64_e32 vcc, s[88:89], v[52:53]
	v_add_u32_e32 v0, 7, v29
	v_cndmask_b32_e32 v2, v27, v0, vcc
	v_cndmask_b32_e64 v0, 0, 1, vcc
	v_lshrrev_b64 v[0:1], v0, v[52:53]
; %bb.10447:                            ;   in Loop: Header=BB6_9212 Depth=3
	s_andn2_saveexec_b64 s[40:41], s[40:41]
; %bb.10448:                            ;   in Loop: Header=BB6_9212 Depth=3
	v_mov_b32_e32 v0, v52
	v_mov_b32_e32 v1, v53
	v_bfe_u32 v2, v52, 23, 1
; %bb.10449:                            ;   in Loop: Header=BB6_9212 Depth=3
	s_or_b64 exec, exec, s[40:41]
	v_lshrrev_b64 v[0:1], 20, v[0:1]
	v_cmp_gt_i32_e32 vcc, 16, v2
	v_cndmask_b32_e32 v1, 0, v1, vcc
	v_cndmask_b32_e32 v0, 7, v0, vcc
	v_cmp_ne_u64_e32 vcc, 0, v[0:1]
	v_cmp_ne_u32_e64 s[40:41], 0, v2
	s_or_b64 s[40:41], s[40:41], vcc
                                        ; implicit-def: $vgpr27
	s_and_saveexec_b64 vcc, s[40:41]
	s_xor_b64 s[40:41], exec, vcc
; %bb.10450:                            ;   in Loop: Header=BB6_9212 Depth=3
	v_min_i32_e32 v1, 15, v2
	v_lshl_or_b32 v1, v1, 3, v19
	v_and_or_b32 v27, v0, 7, v1
                                        ; implicit-def: $vgpr19
; %bb.10451:                            ;   in Loop: Header=BB6_9212 Depth=3
	s_andn2_saveexec_b64 s[40:41], s[40:41]
; %bb.10452:                            ;   in Loop: Header=BB6_9212 Depth=3
	v_mov_b32_e32 v27, v19
; %bb.10453:                            ;   in Loop: Header=BB6_9212 Depth=3
	s_or_b64 exec, exec, s[40:41]
.LBB6_10454:                            ;   in Loop: Header=BB6_9212 Depth=3
	s_or_b64 exec, exec, s[52:53]
                                        ; implicit-def: $vgpr19
.LBB6_10455:                            ;   in Loop: Header=BB6_9212 Depth=3
	s_andn2_saveexec_b64 s[40:41], s[50:51]
; %bb.10456:                            ;   in Loop: Header=BB6_9212 Depth=3
	v_or_b32_e32 v27, 0x7e, v19
; %bb.10457:                            ;   in Loop: Header=BB6_9212 Depth=3
	s_or_b64 exec, exec, s[40:41]
                                        ; implicit-def: $vgpr1
.LBB6_10458:                            ;   in Loop: Header=BB6_9212 Depth=3
	s_andn2_saveexec_b64 s[40:41], s[48:49]
; %bb.10459:                            ;   in Loop: Header=BB6_9212 Depth=3
	v_or_b32_sdwa v27, v1, s83 dst_sel:DWORD dst_unused:UNUSED_PAD src0_sel:BYTE_3 src1_sel:DWORD
; %bb.10460:                            ;   in Loop: Header=BB6_9212 Depth=3
	s_or_b64 exec, exec, s[40:41]
	s_waitcnt vmcnt(8)
	v_and_b32_e32 v0, 0xff, v56
	v_cmp_ne_u16_e64 s[40:41], 0, v0
	s_and_b64 vcc, exec, s[28:29]
	s_mov_b64 s[48:49], -1
                                        ; implicit-def: $vgpr1
	s_cbranch_vccnz .LBB6_10474
; %bb.10461:                            ;   in Loop: Header=BB6_9212 Depth=3
	v_mov_b32_e32 v19, 0
	v_mov_b32_e32 v2, 0
	s_and_saveexec_b64 s[48:49], s[40:41]
	s_cbranch_execz .LBB6_10467
; %bb.10462:                            ;   in Loop: Header=BB6_9212 Depth=3
	v_cmp_ne_u16_e32 vcc, s82, v0
	v_bfrev_b32_e32 v2, 1
	s_and_saveexec_b64 s[50:51], vcc
	s_cbranch_execz .LBB6_10466
; %bb.10463:                            ;   in Loop: Header=BB6_9212 Depth=3
	v_and_b32_e32 v1, 0x7f, v56
	v_cmp_ne_u32_e32 vcc, s83, v1
	v_mov_b32_e32 v2, 0x7f800001
	s_and_saveexec_b64 s[52:53], vcc
	s_cbranch_execz .LBB6_10465
; %bb.10464:                            ;   in Loop: Header=BB6_9212 Depth=3
	v_and_b32_e32 v29, 7, v0
	v_lshrrev_b32_e32 v30, 3, v1
	v_cmp_gt_u32_e32 vcc, 8, v1
	v_ffbh_u32_e32 v1, v29
	v_min_u32_e32 v32, 32, v1
	v_subrev_u32_e32 v1, 28, v32
	v_lshlrev_b64 v[1:2], v1, v[0:1]
	v_sub_u32_e32 v2, 29, v32
	v_and_b32_e32 v1, 7, v1
	v_cndmask_b32_e32 v2, v30, v2, vcc
	v_cndmask_b32_e32 v1, v29, v1, vcc
	v_lshlrev_b32_e32 v29, 24, v56
	v_bfrev_b32_e32 v30, 60
	v_lshlrev_b32_e32 v1, 20, v1
	v_and_b32_e32 v29, 0x80000000, v29
	v_lshl_add_u32 v2, v2, 23, v30
	v_or3_b32 v2, v29, v2, v1
.LBB6_10465:                            ;   in Loop: Header=BB6_9212 Depth=3
	s_or_b64 exec, exec, s[52:53]
.LBB6_10466:                            ;   in Loop: Header=BB6_9212 Depth=3
	s_or_b64 exec, exec, s[50:51]
.LBB6_10467:                            ;   in Loop: Header=BB6_9212 Depth=3
	s_or_b64 exec, exec, s[48:49]
	v_and_b32_e32 v1, 0xff, v35
	v_cmp_ne_u16_e32 vcc, 0, v1
	s_and_saveexec_b64 s[48:49], vcc
	s_cbranch_execz .LBB6_10473
; %bb.10468:                            ;   in Loop: Header=BB6_9212 Depth=3
	v_cmp_ne_u16_e32 vcc, s82, v1
	v_bfrev_b32_e32 v19, 1
	s_and_saveexec_b64 s[50:51], vcc
	s_cbranch_execz .LBB6_10472
; %bb.10469:                            ;   in Loop: Header=BB6_9212 Depth=3
	v_and_b32_e32 v29, 0x7f, v35
	v_cmp_ne_u32_e32 vcc, s83, v29
	v_mov_b32_e32 v19, 0x7f800001
	s_and_saveexec_b64 s[52:53], vcc
	s_cbranch_execz .LBB6_10471
; %bb.10470:                            ;   in Loop: Header=BB6_9212 Depth=3
	v_and_b32_e32 v19, 7, v1
	v_lshrrev_b32_e32 v32, 3, v29
	v_cmp_gt_u32_e32 vcc, 8, v29
	v_ffbh_u32_e32 v29, v19
	v_min_u32_e32 v33, 32, v29
	v_subrev_u32_e32 v29, 28, v33
	v_lshlrev_b64 v[29:30], v29, v[1:2]
	v_sub_u32_e32 v1, 29, v33
	v_and_b32_e32 v29, 7, v29
	v_cndmask_b32_e32 v1, v32, v1, vcc
	v_cndmask_b32_e32 v19, v19, v29, vcc
	v_lshlrev_b32_e32 v29, 24, v35
	v_bfrev_b32_e32 v30, 60
	v_lshlrev_b32_e32 v19, 20, v19
	v_and_b32_e32 v29, 0x80000000, v29
	v_lshl_add_u32 v1, v1, 23, v30
	v_or3_b32 v19, v29, v1, v19
.LBB6_10471:                            ;   in Loop: Header=BB6_9212 Depth=3
	s_or_b64 exec, exec, s[52:53]
.LBB6_10472:                            ;   in Loop: Header=BB6_9212 Depth=3
	s_or_b64 exec, exec, s[50:51]
.LBB6_10473:                            ;   in Loop: Header=BB6_9212 Depth=3
	s_or_b64 exec, exec, s[48:49]
	v_max_f32_e32 v1, v19, v19
	v_max_f32_e32 v2, v2, v2
	v_max_f32_e32 v1, v2, v1
	s_mov_b64 s[48:49], 0
.LBB6_10474:                            ;   in Loop: Header=BB6_9212 Depth=3
	s_and_b64 vcc, exec, s[48:49]
	s_cbranch_vccz .LBB6_10488
; %bb.10475:                            ;   in Loop: Header=BB6_9212 Depth=3
	v_mov_b32_e32 v2, 0
	v_mov_b32_e32 v1, 0
	s_and_saveexec_b64 s[48:49], s[40:41]
	s_cbranch_execz .LBB6_10481
; %bb.10476:                            ;   in Loop: Header=BB6_9212 Depth=3
	v_cmp_ne_u16_e32 vcc, s82, v0
	v_bfrev_b32_e32 v1, 1
	s_and_saveexec_b64 s[40:41], vcc
	s_cbranch_execz .LBB6_10480
; %bb.10477:                            ;   in Loop: Header=BB6_9212 Depth=3
	v_and_b32_e32 v19, 0x7f, v56
	v_cmp_ne_u32_e32 vcc, s83, v19
	v_mov_b32_e32 v1, 0x7f800001
	s_and_saveexec_b64 s[50:51], vcc
	s_cbranch_execz .LBB6_10479
; %bb.10478:                            ;   in Loop: Header=BB6_9212 Depth=3
	v_and_b32_e32 v29, 7, v0
	v_ffbh_u32_e32 v1, v29
	v_lshrrev_b32_e32 v30, 3, v19
	v_cmp_gt_u32_e32 vcc, 8, v19
	v_min_u32_e32 v19, 32, v1
	v_subrev_u32_e32 v1, 28, v19
	v_lshlrev_b64 v[0:1], v1, v[0:1]
	v_sub_u32_e32 v1, 29, v19
	v_and_b32_e32 v0, 7, v0
	v_cndmask_b32_e32 v1, v30, v1, vcc
	v_cndmask_b32_e32 v0, v29, v0, vcc
	v_lshlrev_b32_e32 v19, 24, v56
	v_bfrev_b32_e32 v29, 60
	v_lshlrev_b32_e32 v0, 20, v0
	v_and_b32_e32 v19, 0x80000000, v19
	v_lshl_add_u32 v1, v1, 23, v29
	v_or3_b32 v1, v19, v1, v0
.LBB6_10479:                            ;   in Loop: Header=BB6_9212 Depth=3
	s_or_b64 exec, exec, s[50:51]
.LBB6_10480:                            ;   in Loop: Header=BB6_9212 Depth=3
	s_or_b64 exec, exec, s[40:41]
.LBB6_10481:                            ;   in Loop: Header=BB6_9212 Depth=3
	s_or_b64 exec, exec, s[48:49]
	v_and_b32_e32 v0, 0xff, v35
	v_cmp_ne_u16_e32 vcc, 0, v0
	s_and_saveexec_b64 s[40:41], vcc
	s_cbranch_execz .LBB6_10487
; %bb.10482:                            ;   in Loop: Header=BB6_9212 Depth=3
	v_cmp_ne_u16_e32 vcc, s82, v0
	v_bfrev_b32_e32 v2, 1
	s_and_saveexec_b64 s[48:49], vcc
	s_cbranch_execz .LBB6_10486
; %bb.10483:                            ;   in Loop: Header=BB6_9212 Depth=3
	v_and_b32_e32 v19, 0x7f, v35
	v_cmp_ne_u32_e32 vcc, s83, v19
	v_mov_b32_e32 v2, 0x7f800001
	s_and_saveexec_b64 s[50:51], vcc
	s_cbranch_execz .LBB6_10485
; %bb.10484:                            ;   in Loop: Header=BB6_9212 Depth=3
	v_and_b32_e32 v2, 7, v0
	v_lshrrev_b32_e32 v32, 3, v19
	v_cmp_gt_u32_e32 vcc, 8, v19
	v_ffbh_u32_e32 v19, v2
	v_min_u32_e32 v19, 32, v19
	v_subrev_u32_e32 v29, 28, v19
	v_lshlrev_b64 v[29:30], v29, v[0:1]
	v_sub_u32_e32 v0, 29, v19
	v_and_b32_e32 v19, 7, v29
	v_cndmask_b32_e32 v0, v32, v0, vcc
	v_cndmask_b32_e32 v2, v2, v19, vcc
	v_lshlrev_b32_e32 v19, 24, v35
	v_bfrev_b32_e32 v29, 60
	v_lshlrev_b32_e32 v2, 20, v2
	v_and_b32_e32 v19, 0x80000000, v19
	v_lshl_add_u32 v0, v0, 23, v29
	v_or3_b32 v2, v19, v0, v2
.LBB6_10485:                            ;   in Loop: Header=BB6_9212 Depth=3
	s_or_b64 exec, exec, s[50:51]
.LBB6_10486:                            ;   in Loop: Header=BB6_9212 Depth=3
	s_or_b64 exec, exec, s[48:49]
.LBB6_10487:                            ;   in Loop: Header=BB6_9212 Depth=3
	s_or_b64 exec, exec, s[40:41]
	v_max_f32_e32 v0, v2, v2
	v_max_f32_e32 v1, v1, v1
	v_min_f32_e32 v1, v1, v0
.LBB6_10488:                            ;   in Loop: Header=BB6_9212 Depth=3
	v_and_b32_e32 v52, 0x7f800000, v1
	v_cmp_ne_u64_e32 vcc, s[76:77], v[52:53]
                                        ; implicit-def: $vgpr29
	s_and_saveexec_b64 s[40:41], vcc
	s_xor_b64 s[48:49], exec, s[40:41]
	s_cbranch_execz .LBB6_10506
; %bb.10489:                            ;   in Loop: Header=BB6_9212 Depth=3
	v_and_b32_e32 v52, 0x7fffffff, v1
	v_cmp_gt_u64_e32 vcc, s[78:79], v[52:53]
	v_and_b32_sdwa v19, v1, s82 dst_sel:DWORD dst_unused:UNUSED_PAD src0_sel:BYTE_3 src1_sel:DWORD
                                        ; implicit-def: $vgpr29
	s_and_saveexec_b64 s[40:41], vcc
	s_xor_b64 s[50:51], exec, s[40:41]
	s_cbranch_execz .LBB6_10503
; %bb.10490:                            ;   in Loop: Header=BB6_9212 Depth=3
	v_cmp_ne_u32_e32 vcc, 0, v1
	v_mov_b32_e32 v29, 0
	s_and_saveexec_b64 s[52:53], vcc
	s_cbranch_execz .LBB6_10502
; %bb.10491:                            ;   in Loop: Header=BB6_9212 Depth=3
	v_bfe_u32 v29, v1, 23, 8
	v_and_b32_e32 v0, 0x7fffff, v1
	v_cmp_gt_u32_e64 s[40:41], s85, v29
	v_sub_u32_e32 v1, 0x79, v29
	v_cmp_eq_u32_e32 vcc, 0, v29
	v_cndmask_b32_e64 v1, 0, v1, s[40:41]
	v_mov_b32_e32 v30, 0x78
	v_or_b32_e32 v2, 0x800000, v0
	v_cndmask_b32_e32 v30, v1, v30, vcc
	v_cndmask_b32_e32 v52, v2, v0, vcc
	v_add_u32_e32 v0, 20, v30
	v_lshlrev_b64 v[0:1], v0, -1
	v_add_u32_e32 v2, 19, v30
	v_lshlrev_b64 v[32:33], v2, 1
	v_bfi_b32 v1, v1, 0, 0
	v_bfi_b32 v0, v0, 0, v52
	v_cmp_eq_u64_e64 s[40:41], v[0:1], v[32:33]
	v_lshrrev_b64 v[0:1], v30, v[52:53]
	v_mov_b32_e32 v2, v1
	v_mov_b32_e32 v1, v0
	s_and_saveexec_b64 s[54:55], s[40:41]
; %bb.10492:                            ;   in Loop: Header=BB6_9212 Depth=3
	v_bfe_u32 v1, v0, 20, 1
	v_add_co_u32_e64 v1, s[40:41], v0, v1
	v_add_co_u32_e64 v1, s[40:41], -1, v1
; %bb.10493:                            ;   in Loop: Header=BB6_9212 Depth=3
	s_or_b64 exec, exec, s[54:55]
	v_add_u32_e32 v2, 0xffffff81, v29
	v_mov_b32_e32 v29, 0xffffff82
	v_cndmask_b32_e32 v2, v2, v29, vcc
	v_lshrrev_b32_e32 v29, 23, v0
	v_add3_u32 v30, v30, v2, v29
	v_add_u32_e32 v29, 6, v30
	v_and_b32_e32 v1, 0xfffff, v1
	v_add_u32_e32 v52, v1, v0
	v_cmp_ne_u32_e32 vcc, 0, v29
                                        ; implicit-def: $vgpr0_vgpr1
                                        ; implicit-def: $vgpr2
	s_and_saveexec_b64 s[40:41], vcc
	s_xor_b64 s[40:41], exec, s[40:41]
; %bb.10494:                            ;   in Loop: Header=BB6_9212 Depth=3
	v_cmp_lt_u64_e32 vcc, s[88:89], v[52:53]
	v_add_u32_e32 v0, 7, v30
	v_cndmask_b32_e32 v2, v29, v0, vcc
	v_cndmask_b32_e64 v0, 0, 1, vcc
	v_lshrrev_b64 v[0:1], v0, v[52:53]
; %bb.10495:                            ;   in Loop: Header=BB6_9212 Depth=3
	s_andn2_saveexec_b64 s[40:41], s[40:41]
; %bb.10496:                            ;   in Loop: Header=BB6_9212 Depth=3
	v_mov_b32_e32 v0, v52
	v_mov_b32_e32 v1, v53
	v_bfe_u32 v2, v52, 23, 1
; %bb.10497:                            ;   in Loop: Header=BB6_9212 Depth=3
	s_or_b64 exec, exec, s[40:41]
	v_lshrrev_b64 v[0:1], 20, v[0:1]
	v_cmp_gt_i32_e32 vcc, 16, v2
	v_cndmask_b32_e32 v1, 0, v1, vcc
	v_cndmask_b32_e32 v0, 7, v0, vcc
	v_cmp_ne_u64_e32 vcc, 0, v[0:1]
	v_cmp_ne_u32_e64 s[40:41], 0, v2
	s_or_b64 s[40:41], s[40:41], vcc
                                        ; implicit-def: $vgpr29
	s_and_saveexec_b64 vcc, s[40:41]
	s_xor_b64 s[40:41], exec, vcc
; %bb.10498:                            ;   in Loop: Header=BB6_9212 Depth=3
	v_min_i32_e32 v1, 15, v2
	v_lshl_or_b32 v1, v1, 3, v19
	v_and_or_b32 v29, v0, 7, v1
                                        ; implicit-def: $vgpr19
; %bb.10499:                            ;   in Loop: Header=BB6_9212 Depth=3
	s_andn2_saveexec_b64 s[40:41], s[40:41]
; %bb.10500:                            ;   in Loop: Header=BB6_9212 Depth=3
	v_mov_b32_e32 v29, v19
; %bb.10501:                            ;   in Loop: Header=BB6_9212 Depth=3
	s_or_b64 exec, exec, s[40:41]
.LBB6_10502:                            ;   in Loop: Header=BB6_9212 Depth=3
	s_or_b64 exec, exec, s[52:53]
                                        ; implicit-def: $vgpr19
.LBB6_10503:                            ;   in Loop: Header=BB6_9212 Depth=3
	s_andn2_saveexec_b64 s[40:41], s[50:51]
; %bb.10504:                            ;   in Loop: Header=BB6_9212 Depth=3
	v_or_b32_e32 v29, 0x7e, v19
; %bb.10505:                            ;   in Loop: Header=BB6_9212 Depth=3
	s_or_b64 exec, exec, s[40:41]
                                        ; implicit-def: $vgpr1
.LBB6_10506:                            ;   in Loop: Header=BB6_9212 Depth=3
	s_andn2_saveexec_b64 s[40:41], s[48:49]
; %bb.10507:                            ;   in Loop: Header=BB6_9212 Depth=3
	v_or_b32_sdwa v29, v1, s83 dst_sel:DWORD dst_unused:UNUSED_PAD src0_sel:BYTE_3 src1_sel:DWORD
; %bb.10508:                            ;   in Loop: Header=BB6_9212 Depth=3
	s_or_b64 exec, exec, s[40:41]
	s_waitcnt vmcnt(0)
	v_and_b32_e32 v0, 0xff, v44
	v_cmp_ne_u16_e64 s[40:41], 0, v0
	s_and_b64 vcc, exec, s[28:29]
	s_mov_b64 s[48:49], -1
                                        ; implicit-def: $vgpr1
	s_cbranch_vccnz .LBB6_10522
; %bb.10509:                            ;   in Loop: Header=BB6_9212 Depth=3
	v_mov_b32_e32 v19, 0
	v_mov_b32_e32 v2, 0
	s_and_saveexec_b64 s[48:49], s[40:41]
	s_cbranch_execz .LBB6_10515
; %bb.10510:                            ;   in Loop: Header=BB6_9212 Depth=3
	v_cmp_ne_u16_e32 vcc, s82, v0
	v_bfrev_b32_e32 v2, 1
	s_and_saveexec_b64 s[50:51], vcc
	s_cbranch_execz .LBB6_10514
; %bb.10511:                            ;   in Loop: Header=BB6_9212 Depth=3
	v_and_b32_e32 v1, 0x7f, v44
	v_cmp_ne_u32_e32 vcc, s83, v1
	v_mov_b32_e32 v2, 0x7f800001
	s_and_saveexec_b64 s[52:53], vcc
	s_cbranch_execz .LBB6_10513
; %bb.10512:                            ;   in Loop: Header=BB6_9212 Depth=3
	v_and_b32_e32 v30, 7, v0
	v_lshrrev_b32_e32 v32, 3, v1
	v_cmp_gt_u32_e32 vcc, 8, v1
	v_ffbh_u32_e32 v1, v30
	v_min_u32_e32 v33, 32, v1
	v_subrev_u32_e32 v1, 28, v33
	v_lshlrev_b64 v[1:2], v1, v[0:1]
	v_sub_u32_e32 v2, 29, v33
	v_and_b32_e32 v1, 7, v1
	v_cndmask_b32_e32 v2, v32, v2, vcc
	v_cndmask_b32_e32 v1, v30, v1, vcc
	v_lshlrev_b32_e32 v30, 24, v44
	v_bfrev_b32_e32 v32, 60
	v_lshlrev_b32_e32 v1, 20, v1
	v_and_b32_e32 v30, 0x80000000, v30
	v_lshl_add_u32 v2, v2, 23, v32
	v_or3_b32 v2, v30, v2, v1
.LBB6_10513:                            ;   in Loop: Header=BB6_9212 Depth=3
	s_or_b64 exec, exec, s[52:53]
.LBB6_10514:                            ;   in Loop: Header=BB6_9212 Depth=3
	s_or_b64 exec, exec, s[50:51]
.LBB6_10515:                            ;   in Loop: Header=BB6_9212 Depth=3
	s_or_b64 exec, exec, s[48:49]
	v_and_b32_e32 v1, 0xff, v36
	v_cmp_ne_u16_e32 vcc, 0, v1
	s_and_saveexec_b64 s[48:49], vcc
	s_cbranch_execz .LBB6_10521
; %bb.10516:                            ;   in Loop: Header=BB6_9212 Depth=3
	v_cmp_ne_u16_e32 vcc, s82, v1
	v_bfrev_b32_e32 v19, 1
	s_and_saveexec_b64 s[50:51], vcc
	s_cbranch_execz .LBB6_10520
; %bb.10517:                            ;   in Loop: Header=BB6_9212 Depth=3
	v_and_b32_e32 v30, 0x7f, v36
	v_cmp_ne_u32_e32 vcc, s83, v30
	v_mov_b32_e32 v19, 0x7f800001
	s_and_saveexec_b64 s[52:53], vcc
	s_cbranch_execz .LBB6_10519
; %bb.10518:                            ;   in Loop: Header=BB6_9212 Depth=3
	v_and_b32_e32 v19, 7, v1
	v_lshrrev_b32_e32 v35, 3, v30
	v_cmp_gt_u32_e32 vcc, 8, v30
	v_ffbh_u32_e32 v30, v19
	v_min_u32_e32 v30, 32, v30
	v_subrev_u32_e32 v32, 28, v30
	v_lshlrev_b64 v[32:33], v32, v[1:2]
	v_sub_u32_e32 v1, 29, v30
	v_and_b32_e32 v30, 7, v32
	v_cndmask_b32_e32 v1, v35, v1, vcc
	v_cndmask_b32_e32 v19, v19, v30, vcc
	v_lshlrev_b32_e32 v30, 24, v36
	v_bfrev_b32_e32 v32, 60
	v_lshlrev_b32_e32 v19, 20, v19
	v_and_b32_e32 v30, 0x80000000, v30
	v_lshl_add_u32 v1, v1, 23, v32
	v_or3_b32 v19, v30, v1, v19
.LBB6_10519:                            ;   in Loop: Header=BB6_9212 Depth=3
	s_or_b64 exec, exec, s[52:53]
.LBB6_10520:                            ;   in Loop: Header=BB6_9212 Depth=3
	s_or_b64 exec, exec, s[50:51]
.LBB6_10521:                            ;   in Loop: Header=BB6_9212 Depth=3
	s_or_b64 exec, exec, s[48:49]
	v_max_f32_e32 v1, v19, v19
	v_max_f32_e32 v2, v2, v2
	;; [unrolled: 1-line block ×3, first 2 shown]
	s_mov_b64 s[48:49], 0
.LBB6_10522:                            ;   in Loop: Header=BB6_9212 Depth=3
	s_and_b64 vcc, exec, s[48:49]
	s_cbranch_vccz .LBB6_10536
; %bb.10523:                            ;   in Loop: Header=BB6_9212 Depth=3
	v_mov_b32_e32 v2, 0
	v_mov_b32_e32 v1, 0
	s_and_saveexec_b64 s[48:49], s[40:41]
	s_cbranch_execz .LBB6_10529
; %bb.10524:                            ;   in Loop: Header=BB6_9212 Depth=3
	v_cmp_ne_u16_e32 vcc, s82, v0
	v_bfrev_b32_e32 v1, 1
	s_and_saveexec_b64 s[40:41], vcc
	s_cbranch_execz .LBB6_10528
; %bb.10525:                            ;   in Loop: Header=BB6_9212 Depth=3
	v_and_b32_e32 v19, 0x7f, v44
	v_cmp_ne_u32_e32 vcc, s83, v19
	v_mov_b32_e32 v1, 0x7f800001
	s_and_saveexec_b64 s[50:51], vcc
	s_cbranch_execz .LBB6_10527
; %bb.10526:                            ;   in Loop: Header=BB6_9212 Depth=3
	v_and_b32_e32 v30, 7, v0
	v_ffbh_u32_e32 v1, v30
	v_lshrrev_b32_e32 v32, 3, v19
	v_cmp_gt_u32_e32 vcc, 8, v19
	v_min_u32_e32 v19, 32, v1
	v_subrev_u32_e32 v1, 28, v19
	v_lshlrev_b64 v[0:1], v1, v[0:1]
	v_sub_u32_e32 v1, 29, v19
	v_and_b32_e32 v0, 7, v0
	v_cndmask_b32_e32 v1, v32, v1, vcc
	v_cndmask_b32_e32 v0, v30, v0, vcc
	v_lshlrev_b32_e32 v19, 24, v44
	v_bfrev_b32_e32 v30, 60
	v_lshlrev_b32_e32 v0, 20, v0
	v_and_b32_e32 v19, 0x80000000, v19
	v_lshl_add_u32 v1, v1, 23, v30
	v_or3_b32 v1, v19, v1, v0
.LBB6_10527:                            ;   in Loop: Header=BB6_9212 Depth=3
	s_or_b64 exec, exec, s[50:51]
.LBB6_10528:                            ;   in Loop: Header=BB6_9212 Depth=3
	s_or_b64 exec, exec, s[40:41]
.LBB6_10529:                            ;   in Loop: Header=BB6_9212 Depth=3
	s_or_b64 exec, exec, s[48:49]
	v_and_b32_e32 v0, 0xff, v36
	v_cmp_ne_u16_e32 vcc, 0, v0
	s_and_saveexec_b64 s[40:41], vcc
	s_cbranch_execz .LBB6_10535
; %bb.10530:                            ;   in Loop: Header=BB6_9212 Depth=3
	v_cmp_ne_u16_e32 vcc, s82, v0
	v_bfrev_b32_e32 v2, 1
	s_and_saveexec_b64 s[48:49], vcc
	s_cbranch_execz .LBB6_10534
; %bb.10531:                            ;   in Loop: Header=BB6_9212 Depth=3
	v_and_b32_e32 v19, 0x7f, v36
	v_cmp_ne_u32_e32 vcc, s83, v19
	v_mov_b32_e32 v2, 0x7f800001
	s_and_saveexec_b64 s[50:51], vcc
	s_cbranch_execz .LBB6_10533
; %bb.10532:                            ;   in Loop: Header=BB6_9212 Depth=3
	v_and_b32_e32 v2, 7, v0
	v_lshrrev_b32_e32 v30, 3, v19
	v_cmp_gt_u32_e32 vcc, 8, v19
	v_ffbh_u32_e32 v19, v2
	v_min_u32_e32 v19, 32, v19
	v_subrev_u32_e32 v32, 28, v19
	v_lshlrev_b64 v[32:33], v32, v[0:1]
	v_sub_u32_e32 v0, 29, v19
	v_and_b32_e32 v19, 7, v32
	v_cndmask_b32_e32 v0, v30, v0, vcc
	v_cndmask_b32_e32 v2, v2, v19, vcc
	v_lshlrev_b32_e32 v19, 24, v36
	v_bfrev_b32_e32 v30, 60
	v_lshlrev_b32_e32 v2, 20, v2
	v_and_b32_e32 v19, 0x80000000, v19
	v_lshl_add_u32 v0, v0, 23, v30
	v_or3_b32 v2, v19, v0, v2
.LBB6_10533:                            ;   in Loop: Header=BB6_9212 Depth=3
	s_or_b64 exec, exec, s[50:51]
.LBB6_10534:                            ;   in Loop: Header=BB6_9212 Depth=3
	s_or_b64 exec, exec, s[48:49]
.LBB6_10535:                            ;   in Loop: Header=BB6_9212 Depth=3
	s_or_b64 exec, exec, s[40:41]
	v_max_f32_e32 v0, v2, v2
	v_max_f32_e32 v1, v1, v1
	v_min_f32_e32 v1, v1, v0
.LBB6_10536:                            ;   in Loop: Header=BB6_9212 Depth=3
	v_and_b32_e32 v52, 0x7f800000, v1
	v_cmp_ne_u64_e32 vcc, s[76:77], v[52:53]
                                        ; implicit-def: $vgpr30
	s_and_saveexec_b64 s[40:41], vcc
	s_xor_b64 s[48:49], exec, s[40:41]
	s_cbranch_execz .LBB6_10554
; %bb.10537:                            ;   in Loop: Header=BB6_9212 Depth=3
	v_and_b32_e32 v52, 0x7fffffff, v1
	v_cmp_gt_u64_e32 vcc, s[78:79], v[52:53]
	v_and_b32_sdwa v19, v1, s82 dst_sel:DWORD dst_unused:UNUSED_PAD src0_sel:BYTE_3 src1_sel:DWORD
                                        ; implicit-def: $vgpr30
	s_and_saveexec_b64 s[40:41], vcc
	s_xor_b64 s[50:51], exec, s[40:41]
	s_cbranch_execz .LBB6_10551
; %bb.10538:                            ;   in Loop: Header=BB6_9212 Depth=3
	v_cmp_ne_u32_e32 vcc, 0, v1
	v_mov_b32_e32 v30, 0
	s_and_saveexec_b64 s[52:53], vcc
	s_cbranch_execz .LBB6_10550
; %bb.10539:                            ;   in Loop: Header=BB6_9212 Depth=3
	v_bfe_u32 v30, v1, 23, 8
	v_and_b32_e32 v0, 0x7fffff, v1
	v_cmp_gt_u32_e64 s[40:41], s85, v30
	v_sub_u32_e32 v1, 0x79, v30
	v_cmp_eq_u32_e32 vcc, 0, v30
	v_cndmask_b32_e64 v1, 0, v1, s[40:41]
	v_mov_b32_e32 v32, 0x78
	v_or_b32_e32 v2, 0x800000, v0
	v_cndmask_b32_e32 v32, v1, v32, vcc
	v_cndmask_b32_e32 v52, v2, v0, vcc
	v_add_u32_e32 v0, 20, v32
	v_lshlrev_b64 v[0:1], v0, -1
	v_add_u32_e32 v2, 19, v32
	v_lshlrev_b64 v[35:36], v2, 1
	v_bfi_b32 v1, v1, 0, 0
	v_bfi_b32 v0, v0, 0, v52
	v_cmp_eq_u64_e64 s[40:41], v[0:1], v[35:36]
	v_lshrrev_b64 v[0:1], v32, v[52:53]
	v_mov_b32_e32 v2, v1
	v_mov_b32_e32 v1, v0
	s_and_saveexec_b64 s[54:55], s[40:41]
; %bb.10540:                            ;   in Loop: Header=BB6_9212 Depth=3
	v_bfe_u32 v1, v0, 20, 1
	v_add_co_u32_e64 v1, s[40:41], v0, v1
	v_add_co_u32_e64 v1, s[40:41], -1, v1
; %bb.10541:                            ;   in Loop: Header=BB6_9212 Depth=3
	s_or_b64 exec, exec, s[54:55]
	v_add_u32_e32 v2, 0xffffff81, v30
	v_mov_b32_e32 v30, 0xffffff82
	v_cndmask_b32_e32 v2, v2, v30, vcc
	v_lshrrev_b32_e32 v30, 23, v0
	v_add3_u32 v32, v32, v2, v30
	v_add_u32_e32 v30, 6, v32
	v_and_b32_e32 v1, 0xfffff, v1
	v_add_u32_e32 v52, v1, v0
	v_cmp_ne_u32_e32 vcc, 0, v30
                                        ; implicit-def: $vgpr0_vgpr1
                                        ; implicit-def: $vgpr2
	s_and_saveexec_b64 s[40:41], vcc
	s_xor_b64 s[40:41], exec, s[40:41]
; %bb.10542:                            ;   in Loop: Header=BB6_9212 Depth=3
	v_cmp_lt_u64_e32 vcc, s[88:89], v[52:53]
	v_add_u32_e32 v0, 7, v32
	v_cndmask_b32_e32 v2, v30, v0, vcc
	v_cndmask_b32_e64 v0, 0, 1, vcc
	v_lshrrev_b64 v[0:1], v0, v[52:53]
; %bb.10543:                            ;   in Loop: Header=BB6_9212 Depth=3
	s_andn2_saveexec_b64 s[40:41], s[40:41]
; %bb.10544:                            ;   in Loop: Header=BB6_9212 Depth=3
	v_mov_b32_e32 v0, v52
	v_mov_b32_e32 v1, v53
	v_bfe_u32 v2, v52, 23, 1
; %bb.10545:                            ;   in Loop: Header=BB6_9212 Depth=3
	s_or_b64 exec, exec, s[40:41]
	v_lshrrev_b64 v[0:1], 20, v[0:1]
	v_cmp_gt_i32_e32 vcc, 16, v2
	v_cndmask_b32_e32 v1, 0, v1, vcc
	v_cndmask_b32_e32 v0, 7, v0, vcc
	v_cmp_ne_u64_e32 vcc, 0, v[0:1]
	v_cmp_ne_u32_e64 s[40:41], 0, v2
	s_or_b64 s[40:41], s[40:41], vcc
                                        ; implicit-def: $vgpr30
	s_and_saveexec_b64 vcc, s[40:41]
	s_xor_b64 s[40:41], exec, vcc
; %bb.10546:                            ;   in Loop: Header=BB6_9212 Depth=3
	v_min_i32_e32 v1, 15, v2
	v_lshl_or_b32 v1, v1, 3, v19
	v_and_or_b32 v30, v0, 7, v1
                                        ; implicit-def: $vgpr19
; %bb.10547:                            ;   in Loop: Header=BB6_9212 Depth=3
	s_andn2_saveexec_b64 s[40:41], s[40:41]
; %bb.10548:                            ;   in Loop: Header=BB6_9212 Depth=3
	v_mov_b32_e32 v30, v19
; %bb.10549:                            ;   in Loop: Header=BB6_9212 Depth=3
	s_or_b64 exec, exec, s[40:41]
.LBB6_10550:                            ;   in Loop: Header=BB6_9212 Depth=3
	s_or_b64 exec, exec, s[52:53]
                                        ; implicit-def: $vgpr19
.LBB6_10551:                            ;   in Loop: Header=BB6_9212 Depth=3
	s_andn2_saveexec_b64 s[40:41], s[50:51]
; %bb.10552:                            ;   in Loop: Header=BB6_9212 Depth=3
	v_or_b32_e32 v30, 0x7e, v19
; %bb.10553:                            ;   in Loop: Header=BB6_9212 Depth=3
	s_or_b64 exec, exec, s[40:41]
                                        ; implicit-def: $vgpr1
.LBB6_10554:                            ;   in Loop: Header=BB6_9212 Depth=3
	s_andn2_saveexec_b64 s[40:41], s[48:49]
; %bb.10555:                            ;   in Loop: Header=BB6_9212 Depth=3
	v_or_b32_sdwa v30, v1, s83 dst_sel:DWORD dst_unused:UNUSED_PAD src0_sel:BYTE_3 src1_sel:DWORD
; %bb.10556:                            ;   in Loop: Header=BB6_9212 Depth=3
	s_or_b64 exec, exec, s[40:41]
	v_and_b32_e32 v0, 0xff, v43
	v_cmp_ne_u16_e64 s[40:41], 0, v0
	s_and_b64 vcc, exec, s[28:29]
	s_mov_b64 s[48:49], -1
                                        ; implicit-def: $vgpr1
	s_cbranch_vccnz .LBB6_10570
; %bb.10557:                            ;   in Loop: Header=BB6_9212 Depth=3
	v_mov_b32_e32 v19, 0
	v_mov_b32_e32 v2, 0
	s_and_saveexec_b64 s[48:49], s[40:41]
	s_cbranch_execz .LBB6_10563
; %bb.10558:                            ;   in Loop: Header=BB6_9212 Depth=3
	v_cmp_ne_u16_e32 vcc, s82, v0
	v_bfrev_b32_e32 v2, 1
	s_and_saveexec_b64 s[50:51], vcc
	s_cbranch_execz .LBB6_10562
; %bb.10559:                            ;   in Loop: Header=BB6_9212 Depth=3
	v_and_b32_e32 v1, 0x7f, v43
	v_cmp_ne_u32_e32 vcc, s83, v1
	v_mov_b32_e32 v2, 0x7f800001
	s_and_saveexec_b64 s[52:53], vcc
	s_cbranch_execz .LBB6_10561
; %bb.10560:                            ;   in Loop: Header=BB6_9212 Depth=3
	v_and_b32_e32 v32, 7, v0
	v_lshrrev_b32_e32 v33, 3, v1
	v_cmp_gt_u32_e32 vcc, 8, v1
	v_ffbh_u32_e32 v1, v32
	v_min_u32_e32 v35, 32, v1
	v_subrev_u32_e32 v1, 28, v35
	v_lshlrev_b64 v[1:2], v1, v[0:1]
	v_sub_u32_e32 v2, 29, v35
	v_and_b32_e32 v1, 7, v1
	v_cndmask_b32_e32 v2, v33, v2, vcc
	v_cndmask_b32_e32 v1, v32, v1, vcc
	v_lshlrev_b32_e32 v32, 24, v43
	v_bfrev_b32_e32 v33, 60
	v_lshlrev_b32_e32 v1, 20, v1
	v_and_b32_e32 v32, 0x80000000, v32
	v_lshl_add_u32 v2, v2, 23, v33
	v_or3_b32 v2, v32, v2, v1
.LBB6_10561:                            ;   in Loop: Header=BB6_9212 Depth=3
	s_or_b64 exec, exec, s[52:53]
.LBB6_10562:                            ;   in Loop: Header=BB6_9212 Depth=3
	s_or_b64 exec, exec, s[50:51]
.LBB6_10563:                            ;   in Loop: Header=BB6_9212 Depth=3
	s_or_b64 exec, exec, s[48:49]
	v_and_b32_e32 v1, 0xff, v38
	v_cmp_ne_u16_e32 vcc, 0, v1
	s_and_saveexec_b64 s[48:49], vcc
	s_cbranch_execz .LBB6_10569
; %bb.10564:                            ;   in Loop: Header=BB6_9212 Depth=3
	v_cmp_ne_u16_e32 vcc, s82, v1
	v_bfrev_b32_e32 v19, 1
	s_and_saveexec_b64 s[50:51], vcc
	s_cbranch_execz .LBB6_10568
; %bb.10565:                            ;   in Loop: Header=BB6_9212 Depth=3
	v_and_b32_e32 v32, 0x7f, v38
	v_cmp_ne_u32_e32 vcc, s83, v32
	v_mov_b32_e32 v19, 0x7f800001
	s_and_saveexec_b64 s[52:53], vcc
	s_cbranch_execz .LBB6_10567
; %bb.10566:                            ;   in Loop: Header=BB6_9212 Depth=3
	v_and_b32_e32 v19, 7, v1
	v_lshrrev_b32_e32 v35, 3, v32
	v_cmp_gt_u32_e32 vcc, 8, v32
	v_ffbh_u32_e32 v32, v19
	v_min_u32_e32 v36, 32, v32
	v_subrev_u32_e32 v32, 28, v36
	v_lshlrev_b64 v[32:33], v32, v[1:2]
	v_sub_u32_e32 v1, 29, v36
	v_and_b32_e32 v32, 7, v32
	v_cndmask_b32_e32 v1, v35, v1, vcc
	v_cndmask_b32_e32 v19, v19, v32, vcc
	v_lshlrev_b32_e32 v32, 24, v38
	v_bfrev_b32_e32 v33, 60
	v_lshlrev_b32_e32 v19, 20, v19
	v_and_b32_e32 v32, 0x80000000, v32
	v_lshl_add_u32 v1, v1, 23, v33
	v_or3_b32 v19, v32, v1, v19
.LBB6_10567:                            ;   in Loop: Header=BB6_9212 Depth=3
	s_or_b64 exec, exec, s[52:53]
.LBB6_10568:                            ;   in Loop: Header=BB6_9212 Depth=3
	s_or_b64 exec, exec, s[50:51]
.LBB6_10569:                            ;   in Loop: Header=BB6_9212 Depth=3
	s_or_b64 exec, exec, s[48:49]
	v_max_f32_e32 v1, v19, v19
	v_max_f32_e32 v2, v2, v2
	;; [unrolled: 1-line block ×3, first 2 shown]
	s_mov_b64 s[48:49], 0
.LBB6_10570:                            ;   in Loop: Header=BB6_9212 Depth=3
	s_and_b64 vcc, exec, s[48:49]
	s_cbranch_vccz .LBB6_10584
; %bb.10571:                            ;   in Loop: Header=BB6_9212 Depth=3
	v_mov_b32_e32 v2, 0
	v_mov_b32_e32 v1, 0
	s_and_saveexec_b64 s[48:49], s[40:41]
	s_cbranch_execz .LBB6_10577
; %bb.10572:                            ;   in Loop: Header=BB6_9212 Depth=3
	v_cmp_ne_u16_e32 vcc, s82, v0
	v_bfrev_b32_e32 v1, 1
	s_and_saveexec_b64 s[40:41], vcc
	s_cbranch_execz .LBB6_10576
; %bb.10573:                            ;   in Loop: Header=BB6_9212 Depth=3
	v_and_b32_e32 v19, 0x7f, v43
	v_cmp_ne_u32_e32 vcc, s83, v19
	v_mov_b32_e32 v1, 0x7f800001
	s_and_saveexec_b64 s[50:51], vcc
	s_cbranch_execz .LBB6_10575
; %bb.10574:                            ;   in Loop: Header=BB6_9212 Depth=3
	v_and_b32_e32 v32, 7, v0
	v_ffbh_u32_e32 v1, v32
	v_lshrrev_b32_e32 v33, 3, v19
	v_cmp_gt_u32_e32 vcc, 8, v19
	v_min_u32_e32 v19, 32, v1
	v_subrev_u32_e32 v1, 28, v19
	v_lshlrev_b64 v[0:1], v1, v[0:1]
	v_sub_u32_e32 v1, 29, v19
	v_and_b32_e32 v0, 7, v0
	v_cndmask_b32_e32 v1, v33, v1, vcc
	v_cndmask_b32_e32 v0, v32, v0, vcc
	v_lshlrev_b32_e32 v19, 24, v43
	v_bfrev_b32_e32 v32, 60
	v_lshlrev_b32_e32 v0, 20, v0
	v_and_b32_e32 v19, 0x80000000, v19
	v_lshl_add_u32 v1, v1, 23, v32
	v_or3_b32 v1, v19, v1, v0
.LBB6_10575:                            ;   in Loop: Header=BB6_9212 Depth=3
	s_or_b64 exec, exec, s[50:51]
.LBB6_10576:                            ;   in Loop: Header=BB6_9212 Depth=3
	s_or_b64 exec, exec, s[40:41]
.LBB6_10577:                            ;   in Loop: Header=BB6_9212 Depth=3
	s_or_b64 exec, exec, s[48:49]
	v_and_b32_e32 v0, 0xff, v38
	v_cmp_ne_u16_e32 vcc, 0, v0
	s_and_saveexec_b64 s[40:41], vcc
	s_cbranch_execz .LBB6_10583
; %bb.10578:                            ;   in Loop: Header=BB6_9212 Depth=3
	v_cmp_ne_u16_e32 vcc, s82, v0
	v_bfrev_b32_e32 v2, 1
	s_and_saveexec_b64 s[48:49], vcc
	s_cbranch_execz .LBB6_10582
; %bb.10579:                            ;   in Loop: Header=BB6_9212 Depth=3
	v_and_b32_e32 v19, 0x7f, v38
	v_cmp_ne_u32_e32 vcc, s83, v19
	v_mov_b32_e32 v2, 0x7f800001
	s_and_saveexec_b64 s[50:51], vcc
	s_cbranch_execz .LBB6_10581
; %bb.10580:                            ;   in Loop: Header=BB6_9212 Depth=3
	v_and_b32_e32 v2, 7, v0
	v_lshrrev_b32_e32 v35, 3, v19
	v_cmp_gt_u32_e32 vcc, 8, v19
	v_ffbh_u32_e32 v19, v2
	v_min_u32_e32 v19, 32, v19
	v_subrev_u32_e32 v32, 28, v19
	v_lshlrev_b64 v[32:33], v32, v[0:1]
	v_sub_u32_e32 v0, 29, v19
	v_and_b32_e32 v19, 7, v32
	v_cndmask_b32_e32 v0, v35, v0, vcc
	v_cndmask_b32_e32 v2, v2, v19, vcc
	v_lshlrev_b32_e32 v19, 24, v38
	v_bfrev_b32_e32 v32, 60
	v_lshlrev_b32_e32 v2, 20, v2
	v_and_b32_e32 v19, 0x80000000, v19
	v_lshl_add_u32 v0, v0, 23, v32
	v_or3_b32 v2, v19, v0, v2
.LBB6_10581:                            ;   in Loop: Header=BB6_9212 Depth=3
	s_or_b64 exec, exec, s[50:51]
.LBB6_10582:                            ;   in Loop: Header=BB6_9212 Depth=3
	s_or_b64 exec, exec, s[48:49]
.LBB6_10583:                            ;   in Loop: Header=BB6_9212 Depth=3
	s_or_b64 exec, exec, s[40:41]
	v_max_f32_e32 v0, v2, v2
	v_max_f32_e32 v1, v1, v1
	v_min_f32_e32 v1, v1, v0
.LBB6_10584:                            ;   in Loop: Header=BB6_9212 Depth=3
	v_and_b32_e32 v52, 0x7f800000, v1
	v_cmp_ne_u64_e32 vcc, s[76:77], v[52:53]
                                        ; implicit-def: $vgpr32
	s_and_saveexec_b64 s[40:41], vcc
	s_xor_b64 s[48:49], exec, s[40:41]
	s_cbranch_execz .LBB6_10602
; %bb.10585:                            ;   in Loop: Header=BB6_9212 Depth=3
	v_and_b32_e32 v52, 0x7fffffff, v1
	v_cmp_gt_u64_e32 vcc, s[78:79], v[52:53]
	v_and_b32_sdwa v19, v1, s82 dst_sel:DWORD dst_unused:UNUSED_PAD src0_sel:BYTE_3 src1_sel:DWORD
                                        ; implicit-def: $vgpr32
	s_and_saveexec_b64 s[40:41], vcc
	s_xor_b64 s[50:51], exec, s[40:41]
	s_cbranch_execz .LBB6_10599
; %bb.10586:                            ;   in Loop: Header=BB6_9212 Depth=3
	v_cmp_ne_u32_e32 vcc, 0, v1
	v_mov_b32_e32 v32, 0
	s_and_saveexec_b64 s[52:53], vcc
	s_cbranch_execz .LBB6_10598
; %bb.10587:                            ;   in Loop: Header=BB6_9212 Depth=3
	v_bfe_u32 v32, v1, 23, 8
	v_and_b32_e32 v0, 0x7fffff, v1
	v_cmp_gt_u32_e64 s[40:41], s85, v32
	v_sub_u32_e32 v1, 0x79, v32
	v_cmp_eq_u32_e32 vcc, 0, v32
	v_cndmask_b32_e64 v1, 0, v1, s[40:41]
	v_mov_b32_e32 v33, 0x78
	v_or_b32_e32 v2, 0x800000, v0
	v_cndmask_b32_e32 v33, v1, v33, vcc
	v_cndmask_b32_e32 v52, v2, v0, vcc
	v_add_u32_e32 v0, 20, v33
	v_lshlrev_b64 v[0:1], v0, -1
	v_add_u32_e32 v2, 19, v33
	v_lshlrev_b64 v[35:36], v2, 1
	v_bfi_b32 v1, v1, 0, 0
	v_bfi_b32 v0, v0, 0, v52
	v_cmp_eq_u64_e64 s[40:41], v[0:1], v[35:36]
	v_lshrrev_b64 v[0:1], v33, v[52:53]
	v_mov_b32_e32 v2, v1
	v_mov_b32_e32 v1, v0
	s_and_saveexec_b64 s[54:55], s[40:41]
; %bb.10588:                            ;   in Loop: Header=BB6_9212 Depth=3
	v_bfe_u32 v1, v0, 20, 1
	v_add_co_u32_e64 v1, s[40:41], v0, v1
	v_add_co_u32_e64 v1, s[40:41], -1, v1
; %bb.10589:                            ;   in Loop: Header=BB6_9212 Depth=3
	s_or_b64 exec, exec, s[54:55]
	v_add_u32_e32 v2, 0xffffff81, v32
	v_mov_b32_e32 v32, 0xffffff82
	v_cndmask_b32_e32 v2, v2, v32, vcc
	v_lshrrev_b32_e32 v32, 23, v0
	v_add3_u32 v33, v33, v2, v32
	v_add_u32_e32 v32, 6, v33
	v_and_b32_e32 v1, 0xfffff, v1
	v_add_u32_e32 v52, v1, v0
	v_cmp_ne_u32_e32 vcc, 0, v32
                                        ; implicit-def: $vgpr0_vgpr1
                                        ; implicit-def: $vgpr2
	s_and_saveexec_b64 s[40:41], vcc
	s_xor_b64 s[40:41], exec, s[40:41]
; %bb.10590:                            ;   in Loop: Header=BB6_9212 Depth=3
	v_cmp_lt_u64_e32 vcc, s[88:89], v[52:53]
	v_add_u32_e32 v0, 7, v33
	v_cndmask_b32_e32 v2, v32, v0, vcc
	v_cndmask_b32_e64 v0, 0, 1, vcc
	v_lshrrev_b64 v[0:1], v0, v[52:53]
; %bb.10591:                            ;   in Loop: Header=BB6_9212 Depth=3
	s_andn2_saveexec_b64 s[40:41], s[40:41]
; %bb.10592:                            ;   in Loop: Header=BB6_9212 Depth=3
	v_mov_b32_e32 v0, v52
	v_mov_b32_e32 v1, v53
	v_bfe_u32 v2, v52, 23, 1
; %bb.10593:                            ;   in Loop: Header=BB6_9212 Depth=3
	s_or_b64 exec, exec, s[40:41]
	v_lshrrev_b64 v[0:1], 20, v[0:1]
	v_cmp_gt_i32_e32 vcc, 16, v2
	v_cndmask_b32_e32 v1, 0, v1, vcc
	v_cndmask_b32_e32 v0, 7, v0, vcc
	v_cmp_ne_u64_e32 vcc, 0, v[0:1]
	v_cmp_ne_u32_e64 s[40:41], 0, v2
	s_or_b64 s[40:41], s[40:41], vcc
                                        ; implicit-def: $vgpr32
	s_and_saveexec_b64 vcc, s[40:41]
	s_xor_b64 s[40:41], exec, vcc
; %bb.10594:                            ;   in Loop: Header=BB6_9212 Depth=3
	v_min_i32_e32 v1, 15, v2
	v_lshl_or_b32 v1, v1, 3, v19
	v_and_or_b32 v32, v0, 7, v1
                                        ; implicit-def: $vgpr19
; %bb.10595:                            ;   in Loop: Header=BB6_9212 Depth=3
	s_andn2_saveexec_b64 s[40:41], s[40:41]
; %bb.10596:                            ;   in Loop: Header=BB6_9212 Depth=3
	v_mov_b32_e32 v32, v19
; %bb.10597:                            ;   in Loop: Header=BB6_9212 Depth=3
	s_or_b64 exec, exec, s[40:41]
.LBB6_10598:                            ;   in Loop: Header=BB6_9212 Depth=3
	s_or_b64 exec, exec, s[52:53]
                                        ; implicit-def: $vgpr19
.LBB6_10599:                            ;   in Loop: Header=BB6_9212 Depth=3
	s_andn2_saveexec_b64 s[40:41], s[50:51]
; %bb.10600:                            ;   in Loop: Header=BB6_9212 Depth=3
	v_or_b32_e32 v32, 0x7e, v19
; %bb.10601:                            ;   in Loop: Header=BB6_9212 Depth=3
	s_or_b64 exec, exec, s[40:41]
                                        ; implicit-def: $vgpr1
.LBB6_10602:                            ;   in Loop: Header=BB6_9212 Depth=3
	s_andn2_saveexec_b64 s[40:41], s[48:49]
; %bb.10603:                            ;   in Loop: Header=BB6_9212 Depth=3
	v_or_b32_sdwa v32, v1, s83 dst_sel:DWORD dst_unused:UNUSED_PAD src0_sel:BYTE_3 src1_sel:DWORD
; %bb.10604:                            ;   in Loop: Header=BB6_9212 Depth=3
	s_or_b64 exec, exec, s[40:41]
	v_and_b32_e32 v0, 0xff, v50
	v_cmp_ne_u16_e64 s[40:41], 0, v0
	s_and_b64 vcc, exec, s[28:29]
	s_mov_b64 s[48:49], -1
                                        ; implicit-def: $vgpr1
	s_cbranch_vccnz .LBB6_10618
; %bb.10605:                            ;   in Loop: Header=BB6_9212 Depth=3
	v_mov_b32_e32 v19, 0
	v_mov_b32_e32 v2, 0
	s_and_saveexec_b64 s[48:49], s[40:41]
	s_cbranch_execz .LBB6_10611
; %bb.10606:                            ;   in Loop: Header=BB6_9212 Depth=3
	v_cmp_ne_u16_e32 vcc, s82, v0
	v_bfrev_b32_e32 v2, 1
	s_and_saveexec_b64 s[50:51], vcc
	s_cbranch_execz .LBB6_10610
; %bb.10607:                            ;   in Loop: Header=BB6_9212 Depth=3
	v_and_b32_e32 v1, 0x7f, v50
	v_cmp_ne_u32_e32 vcc, s83, v1
	v_mov_b32_e32 v2, 0x7f800001
	s_and_saveexec_b64 s[52:53], vcc
	s_cbranch_execz .LBB6_10609
; %bb.10608:                            ;   in Loop: Header=BB6_9212 Depth=3
	v_and_b32_e32 v33, 7, v0
	v_lshrrev_b32_e32 v35, 3, v1
	v_cmp_gt_u32_e32 vcc, 8, v1
	v_ffbh_u32_e32 v1, v33
	v_min_u32_e32 v36, 32, v1
	v_subrev_u32_e32 v1, 28, v36
	v_lshlrev_b64 v[1:2], v1, v[0:1]
	v_sub_u32_e32 v2, 29, v36
	v_and_b32_e32 v1, 7, v1
	v_cndmask_b32_e32 v2, v35, v2, vcc
	v_cndmask_b32_e32 v1, v33, v1, vcc
	v_lshlrev_b32_e32 v33, 24, v50
	v_bfrev_b32_e32 v35, 60
	v_lshlrev_b32_e32 v1, 20, v1
	v_and_b32_e32 v33, 0x80000000, v33
	v_lshl_add_u32 v2, v2, 23, v35
	v_or3_b32 v2, v33, v2, v1
.LBB6_10609:                            ;   in Loop: Header=BB6_9212 Depth=3
	s_or_b64 exec, exec, s[52:53]
.LBB6_10610:                            ;   in Loop: Header=BB6_9212 Depth=3
	s_or_b64 exec, exec, s[50:51]
.LBB6_10611:                            ;   in Loop: Header=BB6_9212 Depth=3
	s_or_b64 exec, exec, s[48:49]
	v_and_b32_e32 v1, 0xff, v49
	v_cmp_ne_u16_e32 vcc, 0, v1
	s_and_saveexec_b64 s[48:49], vcc
	s_cbranch_execz .LBB6_10617
; %bb.10612:                            ;   in Loop: Header=BB6_9212 Depth=3
	v_cmp_ne_u16_e32 vcc, s82, v1
	v_bfrev_b32_e32 v19, 1
	s_and_saveexec_b64 s[50:51], vcc
	s_cbranch_execz .LBB6_10616
; %bb.10613:                            ;   in Loop: Header=BB6_9212 Depth=3
	v_and_b32_e32 v33, 0x7f, v49
	v_cmp_ne_u32_e32 vcc, s83, v33
	v_mov_b32_e32 v19, 0x7f800001
	s_and_saveexec_b64 s[52:53], vcc
	s_cbranch_execz .LBB6_10615
; %bb.10614:                            ;   in Loop: Header=BB6_9212 Depth=3
	v_and_b32_e32 v19, 7, v1
	v_lshrrev_b32_e32 v38, 3, v33
	v_cmp_gt_u32_e32 vcc, 8, v33
	v_ffbh_u32_e32 v33, v19
	v_min_u32_e32 v33, 32, v33
	v_subrev_u32_e32 v35, 28, v33
	v_lshlrev_b64 v[35:36], v35, v[1:2]
	v_sub_u32_e32 v1, 29, v33
	v_and_b32_e32 v33, 7, v35
	v_cndmask_b32_e32 v1, v38, v1, vcc
	v_cndmask_b32_e32 v19, v19, v33, vcc
	v_lshlrev_b32_e32 v33, 24, v49
	v_bfrev_b32_e32 v35, 60
	v_lshlrev_b32_e32 v19, 20, v19
	v_and_b32_e32 v33, 0x80000000, v33
	v_lshl_add_u32 v1, v1, 23, v35
	v_or3_b32 v19, v33, v1, v19
.LBB6_10615:                            ;   in Loop: Header=BB6_9212 Depth=3
	s_or_b64 exec, exec, s[52:53]
.LBB6_10616:                            ;   in Loop: Header=BB6_9212 Depth=3
	s_or_b64 exec, exec, s[50:51]
.LBB6_10617:                            ;   in Loop: Header=BB6_9212 Depth=3
	s_or_b64 exec, exec, s[48:49]
	v_max_f32_e32 v1, v19, v19
	v_max_f32_e32 v2, v2, v2
	;; [unrolled: 1-line block ×3, first 2 shown]
	s_mov_b64 s[48:49], 0
.LBB6_10618:                            ;   in Loop: Header=BB6_9212 Depth=3
	s_and_b64 vcc, exec, s[48:49]
	s_cbranch_vccz .LBB6_10632
; %bb.10619:                            ;   in Loop: Header=BB6_9212 Depth=3
	v_mov_b32_e32 v2, 0
	v_mov_b32_e32 v1, 0
	s_and_saveexec_b64 s[48:49], s[40:41]
	s_cbranch_execz .LBB6_10625
; %bb.10620:                            ;   in Loop: Header=BB6_9212 Depth=3
	v_cmp_ne_u16_e32 vcc, s82, v0
	v_bfrev_b32_e32 v1, 1
	s_and_saveexec_b64 s[40:41], vcc
	s_cbranch_execz .LBB6_10624
; %bb.10621:                            ;   in Loop: Header=BB6_9212 Depth=3
	v_and_b32_e32 v19, 0x7f, v50
	v_cmp_ne_u32_e32 vcc, s83, v19
	v_mov_b32_e32 v1, 0x7f800001
	s_and_saveexec_b64 s[50:51], vcc
	s_cbranch_execz .LBB6_10623
; %bb.10622:                            ;   in Loop: Header=BB6_9212 Depth=3
	v_and_b32_e32 v33, 7, v0
	v_ffbh_u32_e32 v1, v33
	v_lshrrev_b32_e32 v35, 3, v19
	v_cmp_gt_u32_e32 vcc, 8, v19
	v_min_u32_e32 v19, 32, v1
	v_subrev_u32_e32 v1, 28, v19
	v_lshlrev_b64 v[0:1], v1, v[0:1]
	v_sub_u32_e32 v1, 29, v19
	v_and_b32_e32 v0, 7, v0
	v_cndmask_b32_e32 v1, v35, v1, vcc
	v_cndmask_b32_e32 v0, v33, v0, vcc
	v_lshlrev_b32_e32 v19, 24, v50
	v_bfrev_b32_e32 v33, 60
	v_lshlrev_b32_e32 v0, 20, v0
	v_and_b32_e32 v19, 0x80000000, v19
	v_lshl_add_u32 v1, v1, 23, v33
	v_or3_b32 v1, v19, v1, v0
.LBB6_10623:                            ;   in Loop: Header=BB6_9212 Depth=3
	s_or_b64 exec, exec, s[50:51]
.LBB6_10624:                            ;   in Loop: Header=BB6_9212 Depth=3
	s_or_b64 exec, exec, s[40:41]
.LBB6_10625:                            ;   in Loop: Header=BB6_9212 Depth=3
	s_or_b64 exec, exec, s[48:49]
	v_and_b32_e32 v0, 0xff, v49
	v_cmp_ne_u16_e32 vcc, 0, v0
	s_and_saveexec_b64 s[40:41], vcc
	s_cbranch_execz .LBB6_10631
; %bb.10626:                            ;   in Loop: Header=BB6_9212 Depth=3
	v_cmp_ne_u16_e32 vcc, s82, v0
	v_bfrev_b32_e32 v2, 1
	s_and_saveexec_b64 s[48:49], vcc
	s_cbranch_execz .LBB6_10630
; %bb.10627:                            ;   in Loop: Header=BB6_9212 Depth=3
	v_and_b32_e32 v19, 0x7f, v49
	v_cmp_ne_u32_e32 vcc, s83, v19
	v_mov_b32_e32 v2, 0x7f800001
	s_and_saveexec_b64 s[50:51], vcc
	s_cbranch_execz .LBB6_10629
; %bb.10628:                            ;   in Loop: Header=BB6_9212 Depth=3
	v_and_b32_e32 v2, 7, v0
	v_lshrrev_b32_e32 v33, 3, v19
	v_cmp_gt_u32_e32 vcc, 8, v19
	v_ffbh_u32_e32 v19, v2
	v_min_u32_e32 v19, 32, v19
	v_subrev_u32_e32 v35, 28, v19
	v_lshlrev_b64 v[35:36], v35, v[0:1]
	v_sub_u32_e32 v0, 29, v19
	v_and_b32_e32 v19, 7, v35
	v_cndmask_b32_e32 v0, v33, v0, vcc
	v_cndmask_b32_e32 v2, v2, v19, vcc
	v_lshlrev_b32_e32 v19, 24, v49
	v_bfrev_b32_e32 v33, 60
	v_lshlrev_b32_e32 v2, 20, v2
	v_and_b32_e32 v19, 0x80000000, v19
	v_lshl_add_u32 v0, v0, 23, v33
	v_or3_b32 v2, v19, v0, v2
.LBB6_10629:                            ;   in Loop: Header=BB6_9212 Depth=3
	s_or_b64 exec, exec, s[50:51]
.LBB6_10630:                            ;   in Loop: Header=BB6_9212 Depth=3
	s_or_b64 exec, exec, s[48:49]
.LBB6_10631:                            ;   in Loop: Header=BB6_9212 Depth=3
	s_or_b64 exec, exec, s[40:41]
	v_max_f32_e32 v0, v2, v2
	v_max_f32_e32 v1, v1, v1
	v_min_f32_e32 v1, v1, v0
.LBB6_10632:                            ;   in Loop: Header=BB6_9212 Depth=3
	v_and_b32_e32 v52, 0x7f800000, v1
	v_cmp_ne_u64_e32 vcc, s[76:77], v[52:53]
                                        ; implicit-def: $vgpr33
	s_and_saveexec_b64 s[40:41], vcc
	s_xor_b64 s[48:49], exec, s[40:41]
	s_cbranch_execz .LBB6_10650
; %bb.10633:                            ;   in Loop: Header=BB6_9212 Depth=3
	v_and_b32_e32 v52, 0x7fffffff, v1
	v_cmp_gt_u64_e32 vcc, s[78:79], v[52:53]
	v_and_b32_sdwa v19, v1, s82 dst_sel:DWORD dst_unused:UNUSED_PAD src0_sel:BYTE_3 src1_sel:DWORD
                                        ; implicit-def: $vgpr33
	s_and_saveexec_b64 s[40:41], vcc
	s_xor_b64 s[50:51], exec, s[40:41]
	s_cbranch_execz .LBB6_10647
; %bb.10634:                            ;   in Loop: Header=BB6_9212 Depth=3
	v_cmp_ne_u32_e32 vcc, 0, v1
	v_mov_b32_e32 v33, 0
	s_and_saveexec_b64 s[52:53], vcc
	s_cbranch_execz .LBB6_10646
; %bb.10635:                            ;   in Loop: Header=BB6_9212 Depth=3
	v_bfe_u32 v33, v1, 23, 8
	v_and_b32_e32 v0, 0x7fffff, v1
	v_cmp_gt_u32_e64 s[40:41], s85, v33
	v_sub_u32_e32 v1, 0x79, v33
	v_cmp_eq_u32_e32 vcc, 0, v33
	v_cndmask_b32_e64 v1, 0, v1, s[40:41]
	v_mov_b32_e32 v35, 0x78
	v_or_b32_e32 v2, 0x800000, v0
	v_cndmask_b32_e32 v35, v1, v35, vcc
	v_cndmask_b32_e32 v52, v2, v0, vcc
	v_add_u32_e32 v0, 20, v35
	v_lshlrev_b64 v[0:1], v0, -1
	v_add_u32_e32 v2, 19, v35
	v_lshlrev_b64 v[49:50], v2, 1
	v_bfi_b32 v1, v1, 0, 0
	v_bfi_b32 v0, v0, 0, v52
	v_cmp_eq_u64_e64 s[40:41], v[0:1], v[49:50]
	v_lshrrev_b64 v[0:1], v35, v[52:53]
	v_mov_b32_e32 v2, v1
	v_mov_b32_e32 v1, v0
	s_and_saveexec_b64 s[54:55], s[40:41]
; %bb.10636:                            ;   in Loop: Header=BB6_9212 Depth=3
	v_bfe_u32 v1, v0, 20, 1
	v_add_co_u32_e64 v1, s[40:41], v0, v1
	v_add_co_u32_e64 v1, s[40:41], -1, v1
; %bb.10637:                            ;   in Loop: Header=BB6_9212 Depth=3
	s_or_b64 exec, exec, s[54:55]
	v_add_u32_e32 v2, 0xffffff81, v33
	v_mov_b32_e32 v33, 0xffffff82
	v_cndmask_b32_e32 v2, v2, v33, vcc
	v_lshrrev_b32_e32 v33, 23, v0
	v_add3_u32 v35, v35, v2, v33
	v_add_u32_e32 v33, 6, v35
	v_and_b32_e32 v1, 0xfffff, v1
	v_add_u32_e32 v52, v1, v0
	v_cmp_ne_u32_e32 vcc, 0, v33
                                        ; implicit-def: $vgpr0_vgpr1
                                        ; implicit-def: $vgpr2
	s_and_saveexec_b64 s[40:41], vcc
	s_xor_b64 s[40:41], exec, s[40:41]
; %bb.10638:                            ;   in Loop: Header=BB6_9212 Depth=3
	v_cmp_lt_u64_e32 vcc, s[88:89], v[52:53]
	v_add_u32_e32 v0, 7, v35
	v_cndmask_b32_e32 v2, v33, v0, vcc
	v_cndmask_b32_e64 v0, 0, 1, vcc
	v_lshrrev_b64 v[0:1], v0, v[52:53]
; %bb.10639:                            ;   in Loop: Header=BB6_9212 Depth=3
	s_andn2_saveexec_b64 s[40:41], s[40:41]
; %bb.10640:                            ;   in Loop: Header=BB6_9212 Depth=3
	v_mov_b32_e32 v0, v52
	v_mov_b32_e32 v1, v53
	v_bfe_u32 v2, v52, 23, 1
; %bb.10641:                            ;   in Loop: Header=BB6_9212 Depth=3
	s_or_b64 exec, exec, s[40:41]
	v_lshrrev_b64 v[0:1], 20, v[0:1]
	v_cmp_gt_i32_e32 vcc, 16, v2
	v_cndmask_b32_e32 v1, 0, v1, vcc
	v_cndmask_b32_e32 v0, 7, v0, vcc
	v_cmp_ne_u64_e32 vcc, 0, v[0:1]
	v_cmp_ne_u32_e64 s[40:41], 0, v2
	s_or_b64 s[40:41], s[40:41], vcc
                                        ; implicit-def: $vgpr33
	s_and_saveexec_b64 vcc, s[40:41]
	s_xor_b64 s[40:41], exec, vcc
; %bb.10642:                            ;   in Loop: Header=BB6_9212 Depth=3
	v_min_i32_e32 v1, 15, v2
	v_lshl_or_b32 v1, v1, 3, v19
	v_and_or_b32 v33, v0, 7, v1
                                        ; implicit-def: $vgpr19
; %bb.10643:                            ;   in Loop: Header=BB6_9212 Depth=3
	s_andn2_saveexec_b64 s[40:41], s[40:41]
; %bb.10644:                            ;   in Loop: Header=BB6_9212 Depth=3
	v_mov_b32_e32 v33, v19
; %bb.10645:                            ;   in Loop: Header=BB6_9212 Depth=3
	s_or_b64 exec, exec, s[40:41]
.LBB6_10646:                            ;   in Loop: Header=BB6_9212 Depth=3
	s_or_b64 exec, exec, s[52:53]
                                        ; implicit-def: $vgpr19
.LBB6_10647:                            ;   in Loop: Header=BB6_9212 Depth=3
	s_andn2_saveexec_b64 s[40:41], s[50:51]
; %bb.10648:                            ;   in Loop: Header=BB6_9212 Depth=3
	v_or_b32_e32 v33, 0x7e, v19
; %bb.10649:                            ;   in Loop: Header=BB6_9212 Depth=3
	s_or_b64 exec, exec, s[40:41]
                                        ; implicit-def: $vgpr1
.LBB6_10650:                            ;   in Loop: Header=BB6_9212 Depth=3
	s_andn2_saveexec_b64 s[40:41], s[48:49]
; %bb.10651:                            ;   in Loop: Header=BB6_9212 Depth=3
	v_or_b32_sdwa v33, v1, s83 dst_sel:DWORD dst_unused:UNUSED_PAD src0_sel:BYTE_3 src1_sel:DWORD
; %bb.10652:                            ;   in Loop: Header=BB6_9212 Depth=3
	s_or_b64 exec, exec, s[40:41]
	v_and_b32_e32 v0, 0xff, v41
	v_cmp_ne_u16_e64 s[40:41], 0, v0
	s_and_b64 vcc, exec, s[28:29]
	s_mov_b64 s[48:49], -1
                                        ; implicit-def: $vgpr1
	s_cbranch_vccnz .LBB6_10666
; %bb.10653:                            ;   in Loop: Header=BB6_9212 Depth=3
	v_mov_b32_e32 v19, 0
	v_mov_b32_e32 v2, 0
	s_and_saveexec_b64 s[48:49], s[40:41]
	s_cbranch_execz .LBB6_10659
; %bb.10654:                            ;   in Loop: Header=BB6_9212 Depth=3
	v_cmp_ne_u16_e32 vcc, s82, v0
	v_bfrev_b32_e32 v2, 1
	s_and_saveexec_b64 s[50:51], vcc
	s_cbranch_execz .LBB6_10658
; %bb.10655:                            ;   in Loop: Header=BB6_9212 Depth=3
	v_and_b32_e32 v1, 0x7f, v41
	v_cmp_ne_u32_e32 vcc, s83, v1
	v_mov_b32_e32 v2, 0x7f800001
	s_and_saveexec_b64 s[52:53], vcc
	s_cbranch_execz .LBB6_10657
; %bb.10656:                            ;   in Loop: Header=BB6_9212 Depth=3
	v_and_b32_e32 v35, 7, v0
	v_lshrrev_b32_e32 v36, 3, v1
	v_cmp_gt_u32_e32 vcc, 8, v1
	v_ffbh_u32_e32 v1, v35
	v_min_u32_e32 v38, 32, v1
	v_subrev_u32_e32 v1, 28, v38
	v_lshlrev_b64 v[1:2], v1, v[0:1]
	v_sub_u32_e32 v2, 29, v38
	v_and_b32_e32 v1, 7, v1
	v_cndmask_b32_e32 v2, v36, v2, vcc
	v_cndmask_b32_e32 v1, v35, v1, vcc
	v_lshlrev_b32_e32 v35, 24, v41
	v_bfrev_b32_e32 v36, 60
	v_lshlrev_b32_e32 v1, 20, v1
	v_and_b32_e32 v35, 0x80000000, v35
	v_lshl_add_u32 v2, v2, 23, v36
	v_or3_b32 v2, v35, v2, v1
.LBB6_10657:                            ;   in Loop: Header=BB6_9212 Depth=3
	s_or_b64 exec, exec, s[52:53]
.LBB6_10658:                            ;   in Loop: Header=BB6_9212 Depth=3
	s_or_b64 exec, exec, s[50:51]
.LBB6_10659:                            ;   in Loop: Header=BB6_9212 Depth=3
	s_or_b64 exec, exec, s[48:49]
	v_and_b32_e32 v1, 0xff, v40
	v_cmp_ne_u16_e32 vcc, 0, v1
	s_and_saveexec_b64 s[48:49], vcc
	s_cbranch_execz .LBB6_10665
; %bb.10660:                            ;   in Loop: Header=BB6_9212 Depth=3
	v_cmp_ne_u16_e32 vcc, s82, v1
	v_bfrev_b32_e32 v19, 1
	s_and_saveexec_b64 s[50:51], vcc
	s_cbranch_execz .LBB6_10664
; %bb.10661:                            ;   in Loop: Header=BB6_9212 Depth=3
	v_and_b32_e32 v35, 0x7f, v40
	v_cmp_ne_u32_e32 vcc, s83, v35
	v_mov_b32_e32 v19, 0x7f800001
	s_and_saveexec_b64 s[52:53], vcc
	s_cbranch_execz .LBB6_10663
; %bb.10662:                            ;   in Loop: Header=BB6_9212 Depth=3
	v_and_b32_e32 v19, 7, v1
	v_lshrrev_b32_e32 v38, 3, v35
	v_cmp_gt_u32_e32 vcc, 8, v35
	v_ffbh_u32_e32 v35, v19
	v_min_u32_e32 v49, 32, v35
	v_subrev_u32_e32 v35, 28, v49
	v_lshlrev_b64 v[35:36], v35, v[1:2]
	v_sub_u32_e32 v1, 29, v49
	v_and_b32_e32 v35, 7, v35
	v_cndmask_b32_e32 v1, v38, v1, vcc
	v_cndmask_b32_e32 v19, v19, v35, vcc
	v_lshlrev_b32_e32 v35, 24, v40
	v_bfrev_b32_e32 v36, 60
	v_lshlrev_b32_e32 v19, 20, v19
	v_and_b32_e32 v35, 0x80000000, v35
	v_lshl_add_u32 v1, v1, 23, v36
	v_or3_b32 v19, v35, v1, v19
.LBB6_10663:                            ;   in Loop: Header=BB6_9212 Depth=3
	s_or_b64 exec, exec, s[52:53]
.LBB6_10664:                            ;   in Loop: Header=BB6_9212 Depth=3
	s_or_b64 exec, exec, s[50:51]
.LBB6_10665:                            ;   in Loop: Header=BB6_9212 Depth=3
	s_or_b64 exec, exec, s[48:49]
	v_max_f32_e32 v1, v19, v19
	v_max_f32_e32 v2, v2, v2
	;; [unrolled: 1-line block ×3, first 2 shown]
	s_mov_b64 s[48:49], 0
.LBB6_10666:                            ;   in Loop: Header=BB6_9212 Depth=3
	s_and_b64 vcc, exec, s[48:49]
	s_cbranch_vccz .LBB6_10680
; %bb.10667:                            ;   in Loop: Header=BB6_9212 Depth=3
	v_mov_b32_e32 v2, 0
	v_mov_b32_e32 v1, 0
	s_and_saveexec_b64 s[48:49], s[40:41]
	s_cbranch_execz .LBB6_10673
; %bb.10668:                            ;   in Loop: Header=BB6_9212 Depth=3
	v_cmp_ne_u16_e32 vcc, s82, v0
	v_bfrev_b32_e32 v1, 1
	s_and_saveexec_b64 s[40:41], vcc
	s_cbranch_execz .LBB6_10672
; %bb.10669:                            ;   in Loop: Header=BB6_9212 Depth=3
	v_and_b32_e32 v19, 0x7f, v41
	v_cmp_ne_u32_e32 vcc, s83, v19
	v_mov_b32_e32 v1, 0x7f800001
	s_and_saveexec_b64 s[50:51], vcc
	s_cbranch_execz .LBB6_10671
; %bb.10670:                            ;   in Loop: Header=BB6_9212 Depth=3
	v_and_b32_e32 v35, 7, v0
	v_ffbh_u32_e32 v1, v35
	v_lshrrev_b32_e32 v36, 3, v19
	v_cmp_gt_u32_e32 vcc, 8, v19
	v_min_u32_e32 v19, 32, v1
	v_subrev_u32_e32 v1, 28, v19
	v_lshlrev_b64 v[0:1], v1, v[0:1]
	v_sub_u32_e32 v1, 29, v19
	v_and_b32_e32 v0, 7, v0
	v_cndmask_b32_e32 v1, v36, v1, vcc
	v_cndmask_b32_e32 v0, v35, v0, vcc
	v_lshlrev_b32_e32 v19, 24, v41
	v_bfrev_b32_e32 v35, 60
	v_lshlrev_b32_e32 v0, 20, v0
	v_and_b32_e32 v19, 0x80000000, v19
	v_lshl_add_u32 v1, v1, 23, v35
	v_or3_b32 v1, v19, v1, v0
.LBB6_10671:                            ;   in Loop: Header=BB6_9212 Depth=3
	s_or_b64 exec, exec, s[50:51]
.LBB6_10672:                            ;   in Loop: Header=BB6_9212 Depth=3
	s_or_b64 exec, exec, s[40:41]
.LBB6_10673:                            ;   in Loop: Header=BB6_9212 Depth=3
	s_or_b64 exec, exec, s[48:49]
	v_and_b32_e32 v0, 0xff, v40
	v_cmp_ne_u16_e32 vcc, 0, v0
	s_and_saveexec_b64 s[40:41], vcc
	s_cbranch_execz .LBB6_10679
; %bb.10674:                            ;   in Loop: Header=BB6_9212 Depth=3
	v_cmp_ne_u16_e32 vcc, s82, v0
	v_bfrev_b32_e32 v2, 1
	s_and_saveexec_b64 s[48:49], vcc
	s_cbranch_execz .LBB6_10678
; %bb.10675:                            ;   in Loop: Header=BB6_9212 Depth=3
	v_and_b32_e32 v19, 0x7f, v40
	v_cmp_ne_u32_e32 vcc, s83, v19
	v_mov_b32_e32 v2, 0x7f800001
	s_and_saveexec_b64 s[50:51], vcc
	s_cbranch_execz .LBB6_10677
; %bb.10676:                            ;   in Loop: Header=BB6_9212 Depth=3
	v_and_b32_e32 v2, 7, v0
	v_lshrrev_b32_e32 v38, 3, v19
	v_cmp_gt_u32_e32 vcc, 8, v19
	v_ffbh_u32_e32 v19, v2
	v_min_u32_e32 v19, 32, v19
	v_subrev_u32_e32 v35, 28, v19
	v_lshlrev_b64 v[35:36], v35, v[0:1]
	v_sub_u32_e32 v0, 29, v19
	v_and_b32_e32 v19, 7, v35
	v_cndmask_b32_e32 v0, v38, v0, vcc
	v_cndmask_b32_e32 v2, v2, v19, vcc
	v_lshlrev_b32_e32 v19, 24, v40
	v_bfrev_b32_e32 v35, 60
	v_lshlrev_b32_e32 v2, 20, v2
	v_and_b32_e32 v19, 0x80000000, v19
	v_lshl_add_u32 v0, v0, 23, v35
	v_or3_b32 v2, v19, v0, v2
.LBB6_10677:                            ;   in Loop: Header=BB6_9212 Depth=3
	s_or_b64 exec, exec, s[50:51]
.LBB6_10678:                            ;   in Loop: Header=BB6_9212 Depth=3
	s_or_b64 exec, exec, s[48:49]
.LBB6_10679:                            ;   in Loop: Header=BB6_9212 Depth=3
	s_or_b64 exec, exec, s[40:41]
	v_max_f32_e32 v0, v2, v2
	v_max_f32_e32 v1, v1, v1
	v_min_f32_e32 v1, v1, v0
.LBB6_10680:                            ;   in Loop: Header=BB6_9212 Depth=3
	v_and_b32_e32 v52, 0x7f800000, v1
	v_cmp_ne_u64_e32 vcc, s[76:77], v[52:53]
                                        ; implicit-def: $vgpr35
	s_and_saveexec_b64 s[40:41], vcc
	s_xor_b64 s[48:49], exec, s[40:41]
	s_cbranch_execz .LBB6_10698
; %bb.10681:                            ;   in Loop: Header=BB6_9212 Depth=3
	v_and_b32_e32 v52, 0x7fffffff, v1
	v_cmp_gt_u64_e32 vcc, s[78:79], v[52:53]
	v_and_b32_sdwa v19, v1, s82 dst_sel:DWORD dst_unused:UNUSED_PAD src0_sel:BYTE_3 src1_sel:DWORD
                                        ; implicit-def: $vgpr35
	s_and_saveexec_b64 s[40:41], vcc
	s_xor_b64 s[50:51], exec, s[40:41]
	s_cbranch_execz .LBB6_10695
; %bb.10682:                            ;   in Loop: Header=BB6_9212 Depth=3
	v_cmp_ne_u32_e32 vcc, 0, v1
	v_mov_b32_e32 v35, 0
	s_and_saveexec_b64 s[52:53], vcc
	s_cbranch_execz .LBB6_10694
; %bb.10683:                            ;   in Loop: Header=BB6_9212 Depth=3
	v_bfe_u32 v35, v1, 23, 8
	v_and_b32_e32 v0, 0x7fffff, v1
	v_cmp_gt_u32_e64 s[40:41], s85, v35
	v_sub_u32_e32 v1, 0x79, v35
	v_cmp_eq_u32_e32 vcc, 0, v35
	v_cndmask_b32_e64 v1, 0, v1, s[40:41]
	v_mov_b32_e32 v36, 0x78
	v_or_b32_e32 v2, 0x800000, v0
	v_cndmask_b32_e32 v36, v1, v36, vcc
	v_cndmask_b32_e32 v52, v2, v0, vcc
	v_add_u32_e32 v0, 20, v36
	v_lshlrev_b64 v[0:1], v0, -1
	v_add_u32_e32 v2, 19, v36
	v_lshlrev_b64 v[49:50], v2, 1
	v_bfi_b32 v1, v1, 0, 0
	v_bfi_b32 v0, v0, 0, v52
	v_cmp_eq_u64_e64 s[40:41], v[0:1], v[49:50]
	v_lshrrev_b64 v[0:1], v36, v[52:53]
	v_mov_b32_e32 v2, v1
	v_mov_b32_e32 v1, v0
	s_and_saveexec_b64 s[54:55], s[40:41]
; %bb.10684:                            ;   in Loop: Header=BB6_9212 Depth=3
	v_bfe_u32 v1, v0, 20, 1
	v_add_co_u32_e64 v1, s[40:41], v0, v1
	v_add_co_u32_e64 v1, s[40:41], -1, v1
; %bb.10685:                            ;   in Loop: Header=BB6_9212 Depth=3
	s_or_b64 exec, exec, s[54:55]
	v_add_u32_e32 v2, 0xffffff81, v35
	v_mov_b32_e32 v35, 0xffffff82
	v_cndmask_b32_e32 v2, v2, v35, vcc
	v_lshrrev_b32_e32 v35, 23, v0
	v_add3_u32 v36, v36, v2, v35
	v_add_u32_e32 v35, 6, v36
	v_and_b32_e32 v1, 0xfffff, v1
	v_add_u32_e32 v52, v1, v0
	v_cmp_ne_u32_e32 vcc, 0, v35
                                        ; implicit-def: $vgpr0_vgpr1
                                        ; implicit-def: $vgpr2
	s_and_saveexec_b64 s[40:41], vcc
	s_xor_b64 s[40:41], exec, s[40:41]
; %bb.10686:                            ;   in Loop: Header=BB6_9212 Depth=3
	v_cmp_lt_u64_e32 vcc, s[88:89], v[52:53]
	v_add_u32_e32 v0, 7, v36
	v_cndmask_b32_e32 v2, v35, v0, vcc
	v_cndmask_b32_e64 v0, 0, 1, vcc
	v_lshrrev_b64 v[0:1], v0, v[52:53]
; %bb.10687:                            ;   in Loop: Header=BB6_9212 Depth=3
	s_andn2_saveexec_b64 s[40:41], s[40:41]
; %bb.10688:                            ;   in Loop: Header=BB6_9212 Depth=3
	v_mov_b32_e32 v0, v52
	v_mov_b32_e32 v1, v53
	v_bfe_u32 v2, v52, 23, 1
; %bb.10689:                            ;   in Loop: Header=BB6_9212 Depth=3
	s_or_b64 exec, exec, s[40:41]
	v_lshrrev_b64 v[0:1], 20, v[0:1]
	v_cmp_gt_i32_e32 vcc, 16, v2
	v_cndmask_b32_e32 v1, 0, v1, vcc
	v_cndmask_b32_e32 v0, 7, v0, vcc
	v_cmp_ne_u64_e32 vcc, 0, v[0:1]
	v_cmp_ne_u32_e64 s[40:41], 0, v2
	s_or_b64 s[40:41], s[40:41], vcc
                                        ; implicit-def: $vgpr35
	s_and_saveexec_b64 vcc, s[40:41]
	s_xor_b64 s[40:41], exec, vcc
; %bb.10690:                            ;   in Loop: Header=BB6_9212 Depth=3
	v_min_i32_e32 v1, 15, v2
	v_lshl_or_b32 v1, v1, 3, v19
	v_and_or_b32 v35, v0, 7, v1
                                        ; implicit-def: $vgpr19
; %bb.10691:                            ;   in Loop: Header=BB6_9212 Depth=3
	s_andn2_saveexec_b64 s[40:41], s[40:41]
; %bb.10692:                            ;   in Loop: Header=BB6_9212 Depth=3
	v_mov_b32_e32 v35, v19
; %bb.10693:                            ;   in Loop: Header=BB6_9212 Depth=3
	s_or_b64 exec, exec, s[40:41]
.LBB6_10694:                            ;   in Loop: Header=BB6_9212 Depth=3
	s_or_b64 exec, exec, s[52:53]
                                        ; implicit-def: $vgpr19
.LBB6_10695:                            ;   in Loop: Header=BB6_9212 Depth=3
	s_andn2_saveexec_b64 s[40:41], s[50:51]
; %bb.10696:                            ;   in Loop: Header=BB6_9212 Depth=3
	v_or_b32_e32 v35, 0x7e, v19
; %bb.10697:                            ;   in Loop: Header=BB6_9212 Depth=3
	s_or_b64 exec, exec, s[40:41]
                                        ; implicit-def: $vgpr1
.LBB6_10698:                            ;   in Loop: Header=BB6_9212 Depth=3
	s_andn2_saveexec_b64 s[40:41], s[48:49]
; %bb.10699:                            ;   in Loop: Header=BB6_9212 Depth=3
	v_or_b32_sdwa v35, v1, s83 dst_sel:DWORD dst_unused:UNUSED_PAD src0_sel:BYTE_3 src1_sel:DWORD
; %bb.10700:                            ;   in Loop: Header=BB6_9212 Depth=3
	s_or_b64 exec, exec, s[40:41]
	v_and_b32_e32 v0, 0xff, v54
	v_cmp_ne_u16_e64 s[40:41], 0, v0
	s_and_b64 vcc, exec, s[28:29]
	s_mov_b64 s[28:29], -1
                                        ; implicit-def: $vgpr2
	s_cbranch_vccnz .LBB6_10714
; %bb.10701:                            ;   in Loop: Header=BB6_9212 Depth=3
	v_mov_b32_e32 v19, 0
	v_mov_b32_e32 v2, 0
	s_and_saveexec_b64 s[28:29], s[40:41]
	s_cbranch_execz .LBB6_10707
; %bb.10702:                            ;   in Loop: Header=BB6_9212 Depth=3
	v_cmp_ne_u16_e32 vcc, s82, v0
	v_bfrev_b32_e32 v2, 1
	s_and_saveexec_b64 s[48:49], vcc
	s_cbranch_execz .LBB6_10706
; %bb.10703:                            ;   in Loop: Header=BB6_9212 Depth=3
	v_and_b32_e32 v1, 0x7f, v54
	v_cmp_ne_u32_e32 vcc, s83, v1
	v_mov_b32_e32 v2, 0x7f800001
	s_and_saveexec_b64 s[50:51], vcc
	s_cbranch_execz .LBB6_10705
; %bb.10704:                            ;   in Loop: Header=BB6_9212 Depth=3
	v_and_b32_e32 v36, 7, v0
	v_lshrrev_b32_e32 v38, 3, v1
	v_cmp_gt_u32_e32 vcc, 8, v1
	v_ffbh_u32_e32 v1, v36
	v_min_u32_e32 v49, 32, v1
	v_subrev_u32_e32 v1, 28, v49
	v_lshlrev_b64 v[1:2], v1, v[0:1]
	v_sub_u32_e32 v2, 29, v49
	v_and_b32_e32 v1, 7, v1
	v_cndmask_b32_e32 v2, v38, v2, vcc
	v_cndmask_b32_e32 v1, v36, v1, vcc
	v_lshlrev_b32_e32 v36, 24, v54
	v_bfrev_b32_e32 v38, 60
	v_lshlrev_b32_e32 v1, 20, v1
	v_and_b32_e32 v36, 0x80000000, v36
	v_lshl_add_u32 v2, v2, 23, v38
	v_or3_b32 v2, v36, v2, v1
.LBB6_10705:                            ;   in Loop: Header=BB6_9212 Depth=3
	s_or_b64 exec, exec, s[50:51]
.LBB6_10706:                            ;   in Loop: Header=BB6_9212 Depth=3
	s_or_b64 exec, exec, s[48:49]
.LBB6_10707:                            ;   in Loop: Header=BB6_9212 Depth=3
	s_or_b64 exec, exec, s[28:29]
	v_and_b32_e32 v1, 0xff, v55
	v_cmp_ne_u16_e32 vcc, 0, v1
	s_and_saveexec_b64 s[28:29], vcc
	s_cbranch_execz .LBB6_10713
; %bb.10708:                            ;   in Loop: Header=BB6_9212 Depth=3
	v_cmp_ne_u16_e32 vcc, s82, v1
	v_bfrev_b32_e32 v19, 1
	s_and_saveexec_b64 s[48:49], vcc
	s_cbranch_execz .LBB6_10712
; %bb.10709:                            ;   in Loop: Header=BB6_9212 Depth=3
	v_and_b32_e32 v36, 0x7f, v55
	v_cmp_ne_u32_e32 vcc, s83, v36
	v_mov_b32_e32 v19, 0x7f800001
	s_and_saveexec_b64 s[50:51], vcc
	s_cbranch_execz .LBB6_10711
; %bb.10710:                            ;   in Loop: Header=BB6_9212 Depth=3
	v_and_b32_e32 v19, 7, v1
	v_lshrrev_b32_e32 v38, 3, v36
	v_cmp_gt_u32_e32 vcc, 8, v36
	v_ffbh_u32_e32 v36, v19
	v_min_u32_e32 v36, 32, v36
	v_subrev_u32_e32 v49, 28, v36
	v_lshlrev_b64 v[49:50], v49, v[1:2]
	v_sub_u32_e32 v1, 29, v36
	v_and_b32_e32 v36, 7, v49
	v_cndmask_b32_e32 v1, v38, v1, vcc
	v_cndmask_b32_e32 v19, v19, v36, vcc
	v_lshlrev_b32_e32 v36, 24, v55
	v_bfrev_b32_e32 v38, 60
	v_lshlrev_b32_e32 v19, 20, v19
	v_and_b32_e32 v36, 0x80000000, v36
	v_lshl_add_u32 v1, v1, 23, v38
	v_or3_b32 v19, v36, v1, v19
.LBB6_10711:                            ;   in Loop: Header=BB6_9212 Depth=3
	s_or_b64 exec, exec, s[50:51]
.LBB6_10712:                            ;   in Loop: Header=BB6_9212 Depth=3
	s_or_b64 exec, exec, s[48:49]
.LBB6_10713:                            ;   in Loop: Header=BB6_9212 Depth=3
	s_or_b64 exec, exec, s[28:29]
	v_max_f32_e32 v1, v19, v19
	v_max_f32_e32 v2, v2, v2
	;; [unrolled: 1-line block ×3, first 2 shown]
	s_mov_b64 s[28:29], 0
.LBB6_10714:                            ;   in Loop: Header=BB6_9212 Depth=3
	s_and_b64 vcc, exec, s[28:29]
	s_cbranch_vccz .LBB6_10728
; %bb.10715:                            ;   in Loop: Header=BB6_9212 Depth=3
	v_mov_b32_e32 v2, 0
	v_mov_b32_e32 v1, 0
	s_and_saveexec_b64 s[28:29], s[40:41]
	s_cbranch_execz .LBB6_10721
; %bb.10716:                            ;   in Loop: Header=BB6_9212 Depth=3
	v_cmp_ne_u16_e32 vcc, s82, v0
	v_bfrev_b32_e32 v1, 1
	s_and_saveexec_b64 s[40:41], vcc
	s_cbranch_execz .LBB6_10720
; %bb.10717:                            ;   in Loop: Header=BB6_9212 Depth=3
	v_and_b32_e32 v19, 0x7f, v54
	v_cmp_ne_u32_e32 vcc, s83, v19
	v_mov_b32_e32 v1, 0x7f800001
	s_and_saveexec_b64 s[48:49], vcc
	s_cbranch_execz .LBB6_10719
; %bb.10718:                            ;   in Loop: Header=BB6_9212 Depth=3
	v_and_b32_e32 v36, 7, v0
	v_ffbh_u32_e32 v1, v36
	v_lshrrev_b32_e32 v38, 3, v19
	v_cmp_gt_u32_e32 vcc, 8, v19
	v_min_u32_e32 v19, 32, v1
	v_subrev_u32_e32 v1, 28, v19
	v_lshlrev_b64 v[0:1], v1, v[0:1]
	v_sub_u32_e32 v1, 29, v19
	v_and_b32_e32 v0, 7, v0
	v_cndmask_b32_e32 v1, v38, v1, vcc
	v_cndmask_b32_e32 v0, v36, v0, vcc
	v_lshlrev_b32_e32 v19, 24, v54
	v_bfrev_b32_e32 v36, 60
	v_lshlrev_b32_e32 v0, 20, v0
	v_and_b32_e32 v19, 0x80000000, v19
	v_lshl_add_u32 v1, v1, 23, v36
	v_or3_b32 v1, v19, v1, v0
.LBB6_10719:                            ;   in Loop: Header=BB6_9212 Depth=3
	s_or_b64 exec, exec, s[48:49]
.LBB6_10720:                            ;   in Loop: Header=BB6_9212 Depth=3
	s_or_b64 exec, exec, s[40:41]
.LBB6_10721:                            ;   in Loop: Header=BB6_9212 Depth=3
	s_or_b64 exec, exec, s[28:29]
	v_and_b32_e32 v0, 0xff, v55
	v_cmp_ne_u16_e32 vcc, 0, v0
	s_and_saveexec_b64 s[28:29], vcc
	s_cbranch_execz .LBB6_10727
; %bb.10722:                            ;   in Loop: Header=BB6_9212 Depth=3
	v_cmp_ne_u16_e32 vcc, s82, v0
	v_bfrev_b32_e32 v2, 1
	s_and_saveexec_b64 s[40:41], vcc
	s_cbranch_execz .LBB6_10726
; %bb.10723:                            ;   in Loop: Header=BB6_9212 Depth=3
	v_and_b32_e32 v19, 0x7f, v55
	v_cmp_ne_u32_e32 vcc, s83, v19
	v_mov_b32_e32 v2, 0x7f800001
	s_and_saveexec_b64 s[48:49], vcc
	s_cbranch_execz .LBB6_10725
; %bb.10724:                            ;   in Loop: Header=BB6_9212 Depth=3
	v_and_b32_e32 v2, 7, v0
	v_lshrrev_b32_e32 v36, 3, v19
	v_cmp_gt_u32_e32 vcc, 8, v19
	v_ffbh_u32_e32 v19, v2
	v_min_u32_e32 v19, 32, v19
	v_subrev_u32_e32 v38, 28, v19
	v_lshlrev_b64 v[49:50], v38, v[0:1]
	v_sub_u32_e32 v0, 29, v19
	v_and_b32_e32 v19, 7, v49
	v_cndmask_b32_e32 v0, v36, v0, vcc
	v_cndmask_b32_e32 v2, v2, v19, vcc
	v_lshlrev_b32_e32 v19, 24, v55
	v_bfrev_b32_e32 v36, 60
	v_lshlrev_b32_e32 v2, 20, v2
	v_and_b32_e32 v19, 0x80000000, v19
	v_lshl_add_u32 v0, v0, 23, v36
	v_or3_b32 v2, v19, v0, v2
.LBB6_10725:                            ;   in Loop: Header=BB6_9212 Depth=3
	s_or_b64 exec, exec, s[48:49]
.LBB6_10726:                            ;   in Loop: Header=BB6_9212 Depth=3
	s_or_b64 exec, exec, s[40:41]
.LBB6_10727:                            ;   in Loop: Header=BB6_9212 Depth=3
	s_or_b64 exec, exec, s[28:29]
	v_max_f32_e32 v0, v2, v2
	v_max_f32_e32 v1, v1, v1
	v_min_f32_e32 v2, v1, v0
.LBB6_10728:                            ;   in Loop: Header=BB6_9212 Depth=3
	v_and_b32_e32 v52, 0x7f800000, v2
	v_cmp_ne_u64_e32 vcc, s[76:77], v[52:53]
                                        ; implicit-def: $vgpr1
	s_and_saveexec_b64 s[28:29], vcc
	s_xor_b64 s[40:41], exec, s[28:29]
	s_cbranch_execz .LBB6_10746
; %bb.10729:                            ;   in Loop: Header=BB6_9212 Depth=3
	v_and_b32_e32 v52, 0x7fffffff, v2
	v_cmp_gt_u64_e32 vcc, s[78:79], v[52:53]
	v_and_b32_sdwa v19, v2, s82 dst_sel:DWORD dst_unused:UNUSED_PAD src0_sel:BYTE_3 src1_sel:DWORD
                                        ; implicit-def: $vgpr1
	s_and_saveexec_b64 s[28:29], vcc
	s_xor_b64 s[48:49], exec, s[28:29]
	s_cbranch_execz .LBB6_10743
; %bb.10730:                            ;   in Loop: Header=BB6_9212 Depth=3
	v_cmp_ne_u32_e32 vcc, 0, v2
	v_mov_b32_e32 v1, 0
	s_and_saveexec_b64 s[50:51], vcc
	s_cbranch_execz .LBB6_10742
; %bb.10731:                            ;   in Loop: Header=BB6_9212 Depth=3
	v_bfe_u32 v36, v2, 23, 8
	v_cmp_gt_u32_e64 s[28:29], s85, v36
	v_sub_u32_e32 v1, 0x79, v36
	v_and_b32_e32 v0, 0x7fffff, v2
	v_cmp_eq_u32_e32 vcc, 0, v36
	v_cndmask_b32_e64 v1, 0, v1, s[28:29]
	v_mov_b32_e32 v38, 0x78
	v_or_b32_e32 v2, 0x800000, v0
	v_cndmask_b32_e32 v38, v1, v38, vcc
	v_cndmask_b32_e32 v52, v2, v0, vcc
	v_add_u32_e32 v0, 20, v38
	v_lshlrev_b64 v[0:1], v0, -1
	v_add_u32_e32 v2, 19, v38
	v_lshlrev_b64 v[49:50], v2, 1
	v_bfi_b32 v1, v1, 0, 0
	v_bfi_b32 v0, v0, 0, v52
	v_cmp_eq_u64_e64 s[28:29], v[0:1], v[49:50]
	v_lshrrev_b64 v[0:1], v38, v[52:53]
	v_mov_b32_e32 v2, v1
	v_mov_b32_e32 v1, v0
	s_and_saveexec_b64 s[52:53], s[28:29]
; %bb.10732:                            ;   in Loop: Header=BB6_9212 Depth=3
	v_bfe_u32 v1, v0, 20, 1
	v_add_co_u32_e64 v1, s[28:29], v0, v1
	v_add_co_u32_e64 v1, s[28:29], -1, v1
; %bb.10733:                            ;   in Loop: Header=BB6_9212 Depth=3
	s_or_b64 exec, exec, s[52:53]
	v_add_u32_e32 v2, 0xffffff81, v36
	v_mov_b32_e32 v36, 0xffffff82
	v_cndmask_b32_e32 v2, v2, v36, vcc
	v_lshrrev_b32_e32 v36, 23, v0
	v_add3_u32 v38, v38, v2, v36
	v_add_u32_e32 v36, 6, v38
	v_and_b32_e32 v1, 0xfffff, v1
	v_add_u32_e32 v52, v1, v0
	v_cmp_ne_u32_e32 vcc, 0, v36
                                        ; implicit-def: $vgpr0_vgpr1
                                        ; implicit-def: $vgpr2
	s_and_saveexec_b64 s[28:29], vcc
	s_xor_b64 s[28:29], exec, s[28:29]
; %bb.10734:                            ;   in Loop: Header=BB6_9212 Depth=3
	v_cmp_lt_u64_e32 vcc, s[88:89], v[52:53]
	v_add_u32_e32 v0, 7, v38
	v_cndmask_b32_e32 v2, v36, v0, vcc
	v_cndmask_b32_e64 v0, 0, 1, vcc
	v_lshrrev_b64 v[0:1], v0, v[52:53]
; %bb.10735:                            ;   in Loop: Header=BB6_9212 Depth=3
	s_andn2_saveexec_b64 s[28:29], s[28:29]
; %bb.10736:                            ;   in Loop: Header=BB6_9212 Depth=3
	v_mov_b32_e32 v0, v52
	v_mov_b32_e32 v1, v53
	v_bfe_u32 v2, v52, 23, 1
; %bb.10737:                            ;   in Loop: Header=BB6_9212 Depth=3
	s_or_b64 exec, exec, s[28:29]
	v_lshrrev_b64 v[0:1], 20, v[0:1]
	v_cmp_gt_i32_e32 vcc, 16, v2
	v_cndmask_b32_e32 v1, 0, v1, vcc
	v_cndmask_b32_e32 v0, 7, v0, vcc
	v_cmp_ne_u64_e32 vcc, 0, v[0:1]
	v_cmp_ne_u32_e64 s[28:29], 0, v2
	s_or_b64 s[28:29], s[28:29], vcc
                                        ; implicit-def: $vgpr1
	s_and_saveexec_b64 vcc, s[28:29]
	s_xor_b64 s[28:29], exec, vcc
; %bb.10738:                            ;   in Loop: Header=BB6_9212 Depth=3
	v_min_i32_e32 v1, 15, v2
	v_lshl_or_b32 v1, v1, 3, v19
	v_and_or_b32 v1, v0, 7, v1
                                        ; implicit-def: $vgpr19
; %bb.10739:                            ;   in Loop: Header=BB6_9212 Depth=3
	s_andn2_saveexec_b64 s[28:29], s[28:29]
; %bb.10740:                            ;   in Loop: Header=BB6_9212 Depth=3
	v_mov_b32_e32 v1, v19
; %bb.10741:                            ;   in Loop: Header=BB6_9212 Depth=3
	s_or_b64 exec, exec, s[28:29]
.LBB6_10742:                            ;   in Loop: Header=BB6_9212 Depth=3
	s_or_b64 exec, exec, s[50:51]
                                        ; implicit-def: $vgpr19
.LBB6_10743:                            ;   in Loop: Header=BB6_9212 Depth=3
	s_andn2_saveexec_b64 s[28:29], s[48:49]
; %bb.10744:                            ;   in Loop: Header=BB6_9212 Depth=3
	v_or_b32_e32 v1, 0x7e, v19
; %bb.10745:                            ;   in Loop: Header=BB6_9212 Depth=3
	s_or_b64 exec, exec, s[28:29]
                                        ; implicit-def: $vgpr2
.LBB6_10746:                            ;   in Loop: Header=BB6_9212 Depth=3
	s_andn2_saveexec_b64 s[28:29], s[40:41]
	s_cbranch_execz .LBB6_9211
; %bb.10747:                            ;   in Loop: Header=BB6_9212 Depth=3
	v_or_b32_sdwa v1, v2, s83 dst_sel:DWORD dst_unused:UNUSED_PAD src0_sel:BYTE_3 src1_sel:DWORD
	s_branch .LBB6_9211
.LBB6_10748:                            ;   in Loop: Header=BB6_5595 Depth=2
	s_or_b64 exec, exec, s[46:47]
	buffer_load_dword v7, off, s[0:3], s33 offset:292 ; 4-byte Folded Reload
	buffer_load_dword v3, off, s[0:3], s33 offset:296 ; 4-byte Folded Reload
	;; [unrolled: 1-line block ×5, first 2 shown]
.LBB6_10749:                            ;   in Loop: Header=BB6_5595 Depth=2
	s_or_b64 exec, exec, s[42:43]
	s_waitcnt vmcnt(0)
	v_lshlrev_b32_e32 v0, 11, v1
	v_cmp_ne_u32_e32 vcc, v3, v0
	s_and_b64 exec, exec, vcc
	s_cbranch_execz .LBB6_10803
; %bb.10750:                            ;   in Loop: Header=BB6_5595 Depth=2
	v_lshlrev_b32_e32 v1, 6, v4
	v_sub_u32_e32 v1, v2, v1
	v_lshlrev_b32_e32 v2, 6, v15
	v_sub_u32_e32 v1, v1, v2
	v_add_u32_e32 v0, v0, v1
	v_sub_u32_e32 v12, v3, v0
	v_cmp_lt_i32_e32 vcc, 0, v12
	s_and_b64 exec, exec, vcc
	s_cbranch_execz .LBB6_10803
; %bb.10751:                            ;   in Loop: Header=BB6_5595 Depth=2
	s_trap 2
	ds_read_b128 v[2:5], v0
	v_add_u32_e32 v0, v0, v7
	v_ashrrev_i32_e32 v1, 31, v0
	s_bitcmp1_b32 s8, 0
	s_mov_b64 s[46:47], 0
	s_waitcnt lgkmcnt(0)
	v_add_co_u32_e32 v2, vcc, v2, v0
	v_addc_co_u32_e32 v3, vcc, v3, v1, vcc
	v_add_co_u32_e32 v4, vcc, v4, v0
	v_addc_co_u32_e32 v5, vcc, v5, v1, vcc
	v_mov_b32_e32 v9, v3
	v_mov_b32_e32 v11, v5
	s_cselect_b64 s[38:39], -1, 0
	v_mov_b32_e32 v8, v2
	v_mov_b32_e32 v10, v4
.LBB6_10752:                            ;   Parent Loop BB6_47 Depth=1
                                        ;     Parent Loop BB6_5595 Depth=2
                                        ; =>    This Loop Header: Depth=3
                                        ;         Child Loop BB6_10801 Depth 4
	flat_load_ubyte v6, v[10:11] glc slc
	flat_load_ubyte v7, v[8:9] glc slc
	s_mov_b64 s[48:49], -1
	s_and_b64 vcc, exec, s[38:39]
                                        ; implicit-def: $vgpr0
	s_waitcnt vmcnt(0) lgkmcnt(0)
	v_cmp_ne_u16_e64 s[40:41], 0, v6
	v_cmp_ne_u16_e64 s[28:29], s82, v6
	v_and_b32_sdwa v1, sext(v6), s84 dst_sel:DWORD dst_unused:UNUSED_PAD src0_sel:BYTE_0 src1_sel:DWORD
	v_cmp_ne_u16_e64 s[42:43], 0, v7
	s_cbranch_vccz .LBB6_10766
; %bb.10753:                            ;   in Loop: Header=BB6_10752 Depth=3
	v_mov_b32_e32 v13, 0
	v_mov_b32_e32 v14, 0
	s_and_saveexec_b64 s[48:49], s[42:43]
	s_cbranch_execz .LBB6_10759
; %bb.10754:                            ;   in Loop: Header=BB6_10752 Depth=3
	v_cmp_ne_u16_e32 vcc, s82, v7
	v_bfrev_b32_e32 v14, 1
	s_and_saveexec_b64 s[50:51], vcc
	s_cbranch_execz .LBB6_10758
; %bb.10755:                            ;   in Loop: Header=BB6_10752 Depth=3
	v_and_b32_e32 v0, 0xffff, v7
	v_and_b32_e32 v15, 0x7f, v0
	v_cmp_ne_u32_e32 vcc, s83, v15
	v_mov_b32_e32 v14, 0x7f800001
	s_and_saveexec_b64 s[52:53], vcc
	s_cbranch_execz .LBB6_10757
; %bb.10756:                            ;   in Loop: Header=BB6_10752 Depth=3
	v_and_b32_e32 v16, 7, v0
	v_ffbh_u32_e32 v14, v16
	v_min_u32_e32 v18, 32, v14
	v_subrev_u32_e32 v14, 28, v18
	v_lshrrev_b32_e32 v17, 3, v15
	v_cmp_gt_u32_e32 vcc, 8, v15
	v_lshlrev_b64 v[14:15], v14, v[0:1]
	v_sub_u32_e32 v0, 29, v18
	v_and_b32_e32 v14, 7, v14
	v_cndmask_b32_e32 v0, v17, v0, vcc
	v_cndmask_b32_e32 v14, v16, v14, vcc
	v_lshlrev_b32_e32 v15, 24, v7
	v_bfrev_b32_e32 v16, 60
	v_lshlrev_b32_e32 v14, 20, v14
	v_and_b32_e32 v15, 0x80000000, v15
	v_lshl_add_u32 v0, v0, 23, v16
	v_or3_b32 v14, v15, v0, v14
.LBB6_10757:                            ;   in Loop: Header=BB6_10752 Depth=3
	s_or_b64 exec, exec, s[52:53]
.LBB6_10758:                            ;   in Loop: Header=BB6_10752 Depth=3
	s_or_b64 exec, exec, s[50:51]
.LBB6_10759:                            ;   in Loop: Header=BB6_10752 Depth=3
	s_or_b64 exec, exec, s[48:49]
	s_and_saveexec_b64 s[48:49], s[40:41]
	s_cbranch_execz .LBB6_10765
; %bb.10760:                            ;   in Loop: Header=BB6_10752 Depth=3
	v_bfrev_b32_e32 v13, 1
	s_and_saveexec_b64 s[50:51], s[28:29]
	s_cbranch_execz .LBB6_10764
; %bb.10761:                            ;   in Loop: Header=BB6_10752 Depth=3
	v_and_b32_e32 v0, 0xffff, v6
	v_and_b32_e32 v15, 0x7f, v0
	v_cmp_ne_u32_e32 vcc, s83, v15
	v_mov_b32_e32 v13, 0x7f800001
	s_and_saveexec_b64 s[52:53], vcc
	s_cbranch_execz .LBB6_10763
; %bb.10762:                            ;   in Loop: Header=BB6_10752 Depth=3
	v_and_b32_e32 v13, 7, v0
	v_lshrrev_b32_e32 v17, 3, v15
	v_cmp_gt_u32_e32 vcc, 8, v15
	v_ffbh_u32_e32 v15, v13
	v_min_u32_e32 v18, 32, v15
	v_subrev_u32_e32 v15, 28, v18
	v_lshlrev_b64 v[15:16], v15, v[0:1]
	v_sub_u32_e32 v0, 29, v18
	v_and_b32_e32 v15, 7, v15
	v_cndmask_b32_e32 v13, v13, v15, vcc
	v_cndmask_b32_e32 v0, v17, v0, vcc
	v_lshlrev_b32_e32 v13, 20, v13
	v_lshl_or_b32 v0, v0, 23, v13
	v_add_u32_e32 v0, 0x3c000000, v0
	v_or_b32_e32 v13, v0, v1
.LBB6_10763:                            ;   in Loop: Header=BB6_10752 Depth=3
	s_or_b64 exec, exec, s[52:53]
.LBB6_10764:                            ;   in Loop: Header=BB6_10752 Depth=3
	s_or_b64 exec, exec, s[50:51]
.LBB6_10765:                            ;   in Loop: Header=BB6_10752 Depth=3
	s_or_b64 exec, exec, s[48:49]
	v_max_f32_e32 v0, v13, v13
	v_max_f32_e32 v13, v14, v14
	;; [unrolled: 1-line block ×3, first 2 shown]
	s_mov_b64 s[48:49], 0
.LBB6_10766:                            ;   in Loop: Header=BB6_10752 Depth=3
	s_and_b64 vcc, exec, s[48:49]
	s_cbranch_vccz .LBB6_10780
; %bb.10767:                            ;   in Loop: Header=BB6_10752 Depth=3
	v_mov_b32_e32 v13, 0
	v_mov_b32_e32 v14, 0
	s_and_saveexec_b64 s[48:49], s[42:43]
	s_cbranch_execz .LBB6_10773
; %bb.10768:                            ;   in Loop: Header=BB6_10752 Depth=3
	v_cmp_ne_u16_e32 vcc, s82, v7
	v_bfrev_b32_e32 v14, 1
	s_and_saveexec_b64 s[42:43], vcc
	s_cbranch_execz .LBB6_10772
; %bb.10769:                            ;   in Loop: Header=BB6_10752 Depth=3
	v_and_b32_e32 v0, 0xffff, v7
	v_and_b32_e32 v15, 0x7f, v0
	v_cmp_ne_u32_e32 vcc, s83, v15
	v_mov_b32_e32 v14, 0x7f800001
	s_and_saveexec_b64 s[50:51], vcc
	s_cbranch_execz .LBB6_10771
; %bb.10770:                            ;   in Loop: Header=BB6_10752 Depth=3
	v_and_b32_e32 v16, 7, v0
	v_ffbh_u32_e32 v14, v16
	v_min_u32_e32 v18, 32, v14
	v_subrev_u32_e32 v14, 28, v18
	v_lshrrev_b32_e32 v17, 3, v15
	v_cmp_gt_u32_e32 vcc, 8, v15
	v_lshlrev_b64 v[14:15], v14, v[0:1]
	v_sub_u32_e32 v0, 29, v18
	v_and_b32_e32 v14, 7, v14
	v_cndmask_b32_e32 v0, v17, v0, vcc
	v_cndmask_b32_e32 v14, v16, v14, vcc
	v_lshlrev_b32_e32 v7, 24, v7
	v_bfrev_b32_e32 v15, 60
	v_lshlrev_b32_e32 v14, 20, v14
	v_and_b32_e32 v7, 0x80000000, v7
	v_lshl_add_u32 v0, v0, 23, v15
	v_or3_b32 v14, v7, v0, v14
.LBB6_10771:                            ;   in Loop: Header=BB6_10752 Depth=3
	s_or_b64 exec, exec, s[50:51]
.LBB6_10772:                            ;   in Loop: Header=BB6_10752 Depth=3
	s_or_b64 exec, exec, s[42:43]
.LBB6_10773:                            ;   in Loop: Header=BB6_10752 Depth=3
	s_or_b64 exec, exec, s[48:49]
	s_and_saveexec_b64 s[42:43], s[40:41]
	s_cbranch_execz .LBB6_10779
; %bb.10774:                            ;   in Loop: Header=BB6_10752 Depth=3
	v_bfrev_b32_e32 v13, 1
	s_and_saveexec_b64 s[40:41], s[28:29]
	s_cbranch_execz .LBB6_10778
; %bb.10775:                            ;   in Loop: Header=BB6_10752 Depth=3
	v_and_b32_e32 v0, 0xffff, v6
	v_and_b32_e32 v6, 0x7f, v0
	v_cmp_ne_u32_e32 vcc, s83, v6
	v_mov_b32_e32 v13, 0x7f800001
	s_and_saveexec_b64 s[28:29], vcc
	s_cbranch_execz .LBB6_10777
; %bb.10776:                            ;   in Loop: Header=BB6_10752 Depth=3
	v_and_b32_e32 v13, 7, v0
	v_lshrrev_b32_e32 v15, 3, v6
	v_cmp_gt_u32_e32 vcc, 8, v6
	v_ffbh_u32_e32 v6, v13
	v_min_u32_e32 v16, 32, v6
	v_subrev_u32_e32 v6, 28, v16
	v_lshlrev_b64 v[6:7], v6, v[0:1]
	v_sub_u32_e32 v0, 29, v16
	v_and_b32_e32 v6, 7, v6
	v_cndmask_b32_e32 v6, v13, v6, vcc
	v_cndmask_b32_e32 v0, v15, v0, vcc
	v_lshlrev_b32_e32 v6, 20, v6
	v_lshl_or_b32 v0, v0, 23, v6
	v_add_u32_e32 v0, 0x3c000000, v0
	v_or_b32_e32 v13, v0, v1
.LBB6_10777:                            ;   in Loop: Header=BB6_10752 Depth=3
	s_or_b64 exec, exec, s[28:29]
.LBB6_10778:                            ;   in Loop: Header=BB6_10752 Depth=3
	s_or_b64 exec, exec, s[40:41]
.LBB6_10779:                            ;   in Loop: Header=BB6_10752 Depth=3
	s_or_b64 exec, exec, s[42:43]
	v_max_f32_e32 v0, v13, v13
	v_max_f32_e32 v1, v14, v14
	v_min_f32_e32 v0, v1, v0
.LBB6_10780:                            ;   in Loop: Header=BB6_10752 Depth=3
	v_and_b32_e32 v52, 0x7f800000, v0
	v_cmp_ne_u64_e32 vcc, s[76:77], v[52:53]
                                        ; implicit-def: $vgpr1
	s_and_saveexec_b64 s[28:29], vcc
	s_xor_b64 s[40:41], exec, s[28:29]
	s_cbranch_execz .LBB6_10798
; %bb.10781:                            ;   in Loop: Header=BB6_10752 Depth=3
	v_and_b32_e32 v52, 0x7fffffff, v0
	v_cmp_gt_u64_e32 vcc, s[78:79], v[52:53]
	v_and_b32_sdwa v13, v0, s82 dst_sel:DWORD dst_unused:UNUSED_PAD src0_sel:BYTE_3 src1_sel:DWORD
                                        ; implicit-def: $vgpr1
	s_and_saveexec_b64 s[28:29], vcc
	s_xor_b64 s[42:43], exec, s[28:29]
	s_cbranch_execz .LBB6_10795
; %bb.10782:                            ;   in Loop: Header=BB6_10752 Depth=3
	v_cmp_ne_u32_e32 vcc, 0, v0
	v_mov_b32_e32 v1, 0
	s_and_saveexec_b64 s[48:49], vcc
	s_cbranch_execz .LBB6_10794
; %bb.10783:                            ;   in Loop: Header=BB6_10752 Depth=3
	v_bfe_u32 v14, v0, 23, 8
	v_and_b32_e32 v1, 0x7fffff, v0
	v_cmp_gt_u32_e64 s[28:29], s85, v14
	v_sub_u32_e32 v0, 0x79, v14
	v_cmp_eq_u32_e32 vcc, 0, v14
	v_cndmask_b32_e64 v0, 0, v0, s[28:29]
	v_mov_b32_e32 v7, 0x78
	v_cndmask_b32_e32 v15, v0, v7, vcc
	v_or_b32_e32 v6, 0x800000, v1
	v_add_u32_e32 v0, 20, v15
	v_cndmask_b32_e32 v52, v6, v1, vcc
	v_lshlrev_b64 v[0:1], v0, -1
	v_add_u32_e32 v6, 19, v15
	v_lshlrev_b64 v[6:7], v6, 1
	v_bfi_b32 v1, v1, 0, 0
	v_bfi_b32 v0, v0, 0, v52
	v_cmp_eq_u64_e64 s[28:29], v[0:1], v[6:7]
	v_lshrrev_b64 v[0:1], v15, v[52:53]
	v_mov_b32_e32 v7, v1
	v_mov_b32_e32 v6, v0
	s_and_saveexec_b64 s[50:51], s[28:29]
; %bb.10784:                            ;   in Loop: Header=BB6_10752 Depth=3
	v_bfe_u32 v1, v0, 20, 1
	v_add_co_u32_e64 v1, s[28:29], v0, v1
	v_add_co_u32_e64 v6, s[28:29], -1, v1
; %bb.10785:                            ;   in Loop: Header=BB6_10752 Depth=3
	s_or_b64 exec, exec, s[50:51]
	v_add_u32_e32 v1, 0xffffff81, v14
	v_mov_b32_e32 v7, 0xffffff82
	v_cndmask_b32_e32 v1, v1, v7, vcc
	v_lshrrev_b32_e32 v7, 23, v0
	v_add3_u32 v14, v15, v1, v7
	v_add_u32_e32 v7, 6, v14
	v_and_b32_e32 v1, 0xfffff, v6
	v_add_u32_e32 v52, v1, v0
	v_cmp_ne_u32_e32 vcc, 0, v7
                                        ; implicit-def: $vgpr0_vgpr1
                                        ; implicit-def: $vgpr6
	s_and_saveexec_b64 s[28:29], vcc
	s_xor_b64 s[28:29], exec, s[28:29]
; %bb.10786:                            ;   in Loop: Header=BB6_10752 Depth=3
	v_cmp_lt_u64_e32 vcc, s[88:89], v[52:53]
	v_add_u32_e32 v0, 7, v14
	v_cndmask_b32_e32 v6, v7, v0, vcc
	v_cndmask_b32_e64 v0, 0, 1, vcc
	v_lshrrev_b64 v[0:1], v0, v[52:53]
; %bb.10787:                            ;   in Loop: Header=BB6_10752 Depth=3
	s_andn2_saveexec_b64 s[28:29], s[28:29]
; %bb.10788:                            ;   in Loop: Header=BB6_10752 Depth=3
	v_mov_b32_e32 v0, v52
	v_mov_b32_e32 v1, v53
	v_bfe_u32 v6, v52, 23, 1
; %bb.10789:                            ;   in Loop: Header=BB6_10752 Depth=3
	s_or_b64 exec, exec, s[28:29]
	v_lshrrev_b64 v[0:1], 20, v[0:1]
	v_cmp_gt_i32_e32 vcc, 16, v6
	v_cndmask_b32_e32 v1, 0, v1, vcc
	v_cndmask_b32_e32 v0, 7, v0, vcc
	v_cmp_ne_u64_e32 vcc, 0, v[0:1]
	v_cmp_ne_u32_e64 s[28:29], 0, v6
	s_or_b64 s[28:29], s[28:29], vcc
                                        ; implicit-def: $vgpr1
	s_and_saveexec_b64 vcc, s[28:29]
	s_xor_b64 s[28:29], exec, vcc
; %bb.10790:                            ;   in Loop: Header=BB6_10752 Depth=3
	v_min_i32_e32 v1, 15, v6
	v_lshl_or_b32 v1, v1, 3, v13
	v_and_or_b32 v1, v0, 7, v1
                                        ; implicit-def: $vgpr13
; %bb.10791:                            ;   in Loop: Header=BB6_10752 Depth=3
	s_andn2_saveexec_b64 s[28:29], s[28:29]
; %bb.10792:                            ;   in Loop: Header=BB6_10752 Depth=3
	v_mov_b32_e32 v1, v13
; %bb.10793:                            ;   in Loop: Header=BB6_10752 Depth=3
	s_or_b64 exec, exec, s[28:29]
.LBB6_10794:                            ;   in Loop: Header=BB6_10752 Depth=3
	s_or_b64 exec, exec, s[48:49]
                                        ; implicit-def: $vgpr13
.LBB6_10795:                            ;   in Loop: Header=BB6_10752 Depth=3
	s_andn2_saveexec_b64 s[28:29], s[42:43]
; %bb.10796:                            ;   in Loop: Header=BB6_10752 Depth=3
	v_or_b32_e32 v1, 0x7e, v13
; %bb.10797:                            ;   in Loop: Header=BB6_10752 Depth=3
	s_or_b64 exec, exec, s[28:29]
                                        ; implicit-def: $vgpr0
.LBB6_10798:                            ;   in Loop: Header=BB6_10752 Depth=3
	s_andn2_saveexec_b64 s[28:29], s[40:41]
; %bb.10799:                            ;   in Loop: Header=BB6_10752 Depth=3
	v_or_b32_sdwa v1, v0, s83 dst_sel:DWORD dst_unused:UNUSED_PAD src0_sel:BYTE_3 src1_sel:DWORD
; %bb.10800:                            ;   in Loop: Header=BB6_10752 Depth=3
	s_or_b64 exec, exec, s[28:29]
	s_mov_b64 s[48:49], 0
	s_mov_b64 s[42:43], -1
.LBB6_10801:                            ;   Parent Loop BB6_47 Depth=1
                                        ;     Parent Loop BB6_5595 Depth=2
                                        ;       Parent Loop BB6_10752 Depth=3
                                        ; =>      This Inner Loop Header: Depth=4
	s_cmp_eq_u32 s48, 1
	s_cselect_b64 vcc, -1, 0
	v_cndmask_b32_e32 v6, v2, v4, vcc
	v_cndmask_b32_e32 v7, v3, v5, vcc
	v_add_co_u32_e64 v0, s[28:29], 64, v6
	s_cmp_eq_u32 s48, 0
	flat_store_byte v[6:7], v1 glc slc
	v_addc_co_u32_e64 v6, s[28:29], 0, v7, s[28:29]
	s_cselect_b64 s[28:29], -1, 0
	s_and_b64 s[40:41], exec, s[42:43]
	s_mov_b64 s[48:49], 1
	s_mov_b64 s[42:43], 0
	v_cndmask_b32_e32 v5, v5, v6, vcc
	v_cndmask_b32_e32 v4, v4, v0, vcc
	v_cndmask_b32_e64 v3, v3, v6, s[28:29]
	v_cndmask_b32_e64 v2, v2, v0, s[28:29]
	s_mov_b64 vcc, s[40:41]
	s_cbranch_vccnz .LBB6_10801
; %bb.10802:                            ;   in Loop: Header=BB6_10752 Depth=3
	buffer_load_dword v0, off, s[0:3], s33 offset:244 ; 4-byte Folded Reload
	buffer_load_dword v1, off, s[0:3], s33 offset:248 ; 4-byte Folded Reload
	;; [unrolled: 1-line block ×3, first 2 shown]
	s_waitcnt vmcnt(0)
	v_add_co_u32_e32 v8, vcc, v8, v0
	v_addc_co_u32_e32 v9, vcc, v9, v1, vcc
	v_add_co_u32_e32 v10, vcc, v10, v0
	v_addc_co_u32_e32 v11, vcc, v11, v1, vcc
	buffer_load_dword v1, off, s[0:3], s33 offset:236 ; 4-byte Folded Reload
	buffer_load_dword v0, off, s[0:3], s33 offset:188 ; 4-byte Folded Reload
	s_waitcnt vmcnt(0)
	v_add_co_u32_e32 v2, vcc, v2, v1
	v_addc_co_u32_e32 v3, vcc, v3, v6, vcc
	v_sub_u32_e32 v12, v12, v0
	v_cmp_gt_i32_e32 vcc, 1, v12
	s_or_b64 s[46:47], vcc, s[46:47]
	v_add_co_u32_e32 v4, vcc, v4, v1
	v_addc_co_u32_e32 v5, vcc, v5, v6, vcc
	s_andn2_b64 exec, exec, s[46:47]
	s_cbranch_execnz .LBB6_10752
.LBB6_10803:                            ;   in Loop: Header=BB6_5595 Depth=2
	s_or_b64 exec, exec, s[44:45]
; %bb.16565:                            ;   in Loop: Header=BB6_5595 Depth=2
	s_getpc_b64 s[98:99]
.Lpost_getpc19:
	s_add_u32 s98, s98, (.LBB6_15934-.Lpost_getpc19)&4294967295
	s_addc_u32 s99, s99, (.LBB6_15934-.Lpost_getpc19)>>32
	s_setpc_b64 s[98:99]
.LBB6_10804:                            ;   in Loop: Header=BB6_5595 Depth=2
	s_mov_b64 s[40:41], -1
	s_and_saveexec_b64 s[28:29], s[22:23]
	s_cbranch_execz .LBB6_10806
; %bb.10805:                            ;   in Loop: Header=BB6_5595 Depth=2
	ds_read_b32 v0, v0 offset:720
	s_waitcnt lgkmcnt(0)
	v_and_b32_e32 v0, 15, v0
	v_cmp_eq_u32_e32 vcc, 0, v0
	s_orn2_b64 s[40:41], vcc, exec
.LBB6_10806:                            ;   in Loop: Header=BB6_5595 Depth=2
	s_or_b64 exec, exec, s[28:29]
	s_mov_b64 s[28:29], exec
	buffer_load_dword v5, off, s[0:3], s33 offset:340 ; 4-byte Folded Reload
	buffer_load_dword v6, off, s[0:3], s33 offset:344 ; 4-byte Folded Reload
	s_and_b64 s[42:43], s[28:29], s[18:19]
	s_mov_b64 exec, s[42:43]
	s_cbranch_execz .LBB6_10808
; %bb.10807:                            ;   in Loop: Header=BB6_5595 Depth=2
	ds_read_b32 v0, v0 offset:784
	s_waitcnt lgkmcnt(0)
	v_and_b32_e32 v0, 15, v0
	v_cmp_eq_u32_e32 vcc, 0, v0
	s_and_b64 s[42:43], s[40:41], vcc
	s_andn2_b64 s[40:41], s[40:41], exec
	s_and_b64 s[42:43], s[42:43], exec
	s_or_b64 s[40:41], s[40:41], s[42:43]
.LBB6_10808:                            ;   in Loop: Header=BB6_5595 Depth=2
	s_or_b64 exec, exec, s[28:29]
	buffer_load_dword v4, off, s[0:3], s33 offset:320 ; 4-byte Folded Reload
	buffer_load_dword v2, off, s[0:3], s33 offset:256 ; 4-byte Folded Reload
	s_xor_b64 s[40:41], s[40:41], -1
	v_cndmask_b32_e64 v0, 0, 1, s[40:41]
	s_mov_b64 s[28:29], -1
	s_waitcnt vmcnt(0)
	v_mov_b32_e32 v3, 0
	v_cmp_ne_u32_e32 vcc, 0, v0
	s_cbranch_vccz .LBB6_10810
; %bb.10809:                            ;   in Loop: Header=BB6_5595 Depth=2
	s_and_saveexec_b64 s[44:45], s[28:29]
	s_cbranch_execnz .LBB6_14341
; %bb.16567:                            ;   in Loop: Header=BB6_5595 Depth=2
	s_getpc_b64 s[98:99]
.Lpost_getpc20:
	s_add_u32 s98, s98, (.LBB6_15933-.Lpost_getpc20)&4294967295
	s_addc_u32 s99, s99, (.LBB6_15933-.Lpost_getpc20)>>32
	s_setpc_b64 s[98:99]
.LBB6_10810:                            ;   in Loop: Header=BB6_5595 Depth=2
	buffer_load_dword v1, off, s[0:3], s33 offset:320 ; 4-byte Folded Reload
	s_waitcnt vmcnt(0)
	v_ashrrev_i32_e32 v0, 31, v1
	v_lshrrev_b32_e32 v0, 20, v0
	v_add_u32_e32 v0, v1, v0
	v_ashrrev_i32_e32 v1, 12, v0
	buffer_load_dword v0, off, s[0:3], s33 offset:300 ; 4-byte Folded Reload
	s_waitcnt vmcnt(0)
	v_sub_u32_e32 v28, v1, v0
	v_cmp_lt_i32_e32 vcc, 0, v28
	s_and_saveexec_b64 s[42:43], vcc
	s_cbranch_execz .LBB6_13630
; %bb.10811:                            ;   in Loop: Header=BB6_5595 Depth=2
	buffer_store_dword v1, off, s[0:3], s33 offset:308 ; 4-byte Folded Spill
	s_trap 2
	buffer_load_dword v2, off, s[0:3], s33 offset:304 ; 4-byte Folded Reload
	ds_read_b64 v[0:1], v0
	s_bitcmp1_b32 s8, 0
	s_mov_b64 s[44:45], 0
	s_cselect_b64 s[46:47], -1, 0
	s_waitcnt vmcnt(0)
	v_add_co_u32_e32 v4, vcc, v5, v2
	v_addc_co_u32_e32 v5, vcc, 0, v6, vcc
	s_waitcnt lgkmcnt(0)
	v_add_co_u32_e32 v29, vcc, v0, v2
	v_addc_co_u32_e32 v30, vcc, 0, v1, vcc
	buffer_load_dword v0, off, s[0:3], s33 offset:332 ; 4-byte Folded Reload
	buffer_load_dword v1, off, s[0:3], s33 offset:336 ; 4-byte Folded Reload
	s_waitcnt vmcnt(1)
	v_add_co_u32_e32 v6, vcc, v0, v2
	s_waitcnt vmcnt(0)
	v_addc_co_u32_e32 v7, vcc, 0, v1, vcc
	s_branch .LBB6_10813
.LBB6_10812:                            ;   in Loop: Header=BB6_10813 Depth=3
	s_or_b64 exec, exec, s[28:29]
	v_lshl_or_b32 v1, v24, 8, v25
	v_lshl_or_b32 v2, v35, 8, v34
	v_lshlrev_b32_e32 v10, 16, v42
	v_lshlrev_b32_e32 v11, 24, v20
	;; [unrolled: 1-line block ×4, first 2 shown]
	v_or3_b32 v35, v1, v10, v11
	v_or3_b32 v34, v2, v14, v15
	v_lshl_or_b32 v1, v47, 8, v21
	v_lshlrev_b32_e32 v2, 16, v40
	v_lshlrev_b32_e32 v10, 24, v41
	v_or3_b32 v36, v1, v2, v10
	v_lshl_or_b32 v1, v61, 8, v60
	v_lshlrev_b32_e32 v2, 24, v18
	v_lshlrev_b32_e32 v10, 16, v58
	v_or3_b32 v37, v1, v10, v2
	buffer_load_dword v1, off, s[0:3], s33 offset:148 ; 4-byte Folded Reload
	buffer_load_dword v2, off, s[0:3], s33 offset:156 ; 4-byte Folded Reload
	v_lshlrev_b32_e32 v10, 24, v27
	buffer_load_dword v11, off, s[0:3], s33 offset:136 ; 4-byte Folded Reload
	buffer_load_dword v14, off, s[0:3], s33 offset:140 ; 4-byte Folded Reload
	v_lshlrev_b32_e32 v0, 24, v0
	s_waitcnt vmcnt(3)
	v_lshl_or_b32 v1, v1, 8, v49
	s_waitcnt vmcnt(2)
	v_lshlrev_b32_e32 v2, 16, v2
	v_or3_b32 v41, v1, v2, v10
	buffer_load_dword v1, off, s[0:3], s33 offset:144 ; 4-byte Folded Reload
	buffer_load_dword v10, off, s[0:3], s33 offset:292 ; 4-byte Folded Reload
	s_waitcnt vmcnt(2)
	v_lshl_or_b32 v11, v14, 8, v11
	v_lshlrev_b32_e32 v2, 24, v43
	s_waitcnt vmcnt(1)
	v_lshlrev_b32_e32 v1, 16, v1
	v_or3_b32 v40, v11, v1, v2
	buffer_load_dword v2, off, s[0:3], s33 offset:296 ; 4-byte Folded Reload
	v_lshl_or_b32 v1, v48, 8, v33
	s_waitcnt vmcnt(1)
	v_lshlrev_b32_e32 v10, 24, v10
	s_waitcnt vmcnt(0)
	v_lshlrev_b32_e32 v2, 16, v2
	v_or3_b32 v42, v1, v2, v10
	buffer_load_dword v1, off, s[0:3], s33 offset:172 ; 4-byte Folded Reload
	buffer_load_dword v2, off, s[0:3], s33 offset:168 ; 4-byte Folded Reload
	;; [unrolled: 1-line block ×4, first 2 shown]
	s_waitcnt vmcnt(3)
	v_lshlrev_b32_e32 v1, 24, v1
	s_waitcnt vmcnt(2)
	v_lshlrev_b32_e32 v2, 16, v2
	s_waitcnt vmcnt(0)
	v_lshl_or_b32 v10, v11, 8, v10
	v_or3_b32 v43, v10, v2, v1
	buffer_load_dword v1, off, s[0:3], s33 offset:104 ; 4-byte Folded Reload
	buffer_load_dword v2, off, s[0:3], s33 offset:176 ; 4-byte Folded Reload
	v_lshlrev_b32_e32 v10, 24, v50
	s_waitcnt vmcnt(0)
	v_lshl_or_b32 v1, v1, 8, v2
	v_lshlrev_b32_e32 v2, 16, v44
	v_or3_b32 v25, v1, v2, v10
	buffer_load_dword v1, off, s[0:3], s33 offset:152 ; 4-byte Folded Reload
	v_lshlrev_b32_e32 v2, 16, v26
	v_lshlrev_b32_e32 v10, 24, v54
	s_waitcnt vmcnt(0)
	v_lshl_or_b32 v1, v32, 8, v1
	v_or3_b32 v24, v1, v2, v10
	buffer_load_dword v2, off, s[0:3], s33 offset:120 ; 4-byte Folded Reload
	v_lshl_or_b32 v1, v52, 8, v51
	v_lshlrev_b32_e32 v10, 24, v45
	s_waitcnt vmcnt(0)
	v_lshlrev_b32_e32 v2, 16, v2
	v_or3_b32 v26, v1, v2, v10
	buffer_load_dword v1, off, s[0:3], s33 offset:132 ; 4-byte Folded Reload
	buffer_load_dword v2, off, s[0:3], s33 offset:128 ; 4-byte Folded Reload
	;; [unrolled: 1-line block ×3, first 2 shown]
	s_waitcnt vmcnt(2)
	v_lshlrev_b32_e32 v1, 24, v1
	s_waitcnt vmcnt(1)
	v_lshlrev_b32_e32 v2, 16, v2
	s_waitcnt vmcnt(0)
	v_lshl_or_b32 v10, v10, 8, v46
	v_or3_b32 v27, v10, v2, v1
	v_lshl_or_b32 v1, v16, 8, v17
	v_lshlrev_b32_e32 v2, 16, v57
	v_lshlrev_b32_e32 v10, 24, v12
	v_or3_b32 v11, v1, v2, v10
	v_lshl_or_b32 v1, v22, 8, v19
	v_lshlrev_b32_e32 v2, 16, v23
	v_lshlrev_b32_e32 v10, 24, v56
	;; [unrolled: 4-line block ×3, first 2 shown]
	v_or3_b32 v12, v1, v2, v12
	v_lshlrev_b32_e32 v1, 16, v8
	v_lshl_or_b32 v2, v3, 8, v9
	v_or3_b32 v13, v2, v1, v0
	global_store_dwordx4 v[6:7], v[24:27], off glc slc
	global_store_dwordx4 v[6:7], v[40:43], off offset:1024 glc slc
	global_store_dwordx4 v[6:7], v[34:37], off offset:2048 glc slc
	;; [unrolled: 1-line block ×3, first 2 shown]
	buffer_load_dword v0, off, s[0:3], s33 offset:192 ; 4-byte Folded Reload
	buffer_load_dword v48, off, s[0:3], s33 offset:92 ; 4-byte Folded Reload
	s_waitcnt vmcnt(1)
	v_add_co_u32_e32 v4, vcc, v4, v0
	v_addc_co_u32_e32 v5, vcc, 0, v5, vcc
	v_add_co_u32_e32 v29, vcc, v29, v0
	v_addc_co_u32_e32 v30, vcc, 0, v30, vcc
	s_waitcnt vmcnt(0)
	v_sub_u32_e32 v28, v28, v48
	v_cmp_gt_i32_e32 vcc, 1, v28
	s_or_b64 s[44:45], vcc, s[44:45]
	v_add_co_u32_e32 v6, vcc, v6, v0
	v_addc_co_u32_e32 v7, vcc, 0, v7, vcc
	s_andn2_b64 exec, exec, s[44:45]
	s_cbranch_execz .LBB6_13629
.LBB6_10813:                            ;   Parent Loop BB6_47 Depth=1
                                        ;     Parent Loop BB6_5595 Depth=2
                                        ; =>    This Inner Loop Header: Depth=3
	global_load_dwordx4 v[48:51], v[4:5], off glc slc
	global_load_dwordx4 v[32:35], v[4:5], off offset:1024 glc slc
	global_load_dwordx4 v[20:23], v[4:5], off offset:2048 glc slc
	;; [unrolled: 1-line block ×3, first 2 shown]
	global_load_dwordx4 v[36:39], v[29:30], off glc slc
	global_load_dwordx4 v[24:27], v[29:30], off offset:1024 glc slc
	global_load_dwordx4 v[16:19], v[29:30], off offset:2048 glc slc
	;; [unrolled: 1-line block ×3, first 2 shown]
	s_mov_b64 s[40:41], -1
	s_and_b64 vcc, exec, s[46:47]
                                        ; implicit-def: $vgpr0
	s_waitcnt vmcnt(7)
	v_cmp_ne_u16_sdwa s[28:29], v48, v53 src0_sel:BYTE_0 src1_sel:DWORD
	s_cbranch_vccz .LBB6_10827
; %bb.10814:                            ;   in Loop: Header=BB6_10813 Depth=3
	v_mov_b32_e32 v1, 0
	v_mov_b32_e32 v0, 0
	s_and_saveexec_b64 s[40:41], s[28:29]
	s_cbranch_execz .LBB6_10820
; %bb.10815:                            ;   in Loop: Header=BB6_10813 Depth=3
	v_cmp_ne_u16_sdwa vcc, v48, s82 src0_sel:BYTE_0 src1_sel:DWORD
	v_bfrev_b32_e32 v0, 1
	s_and_saveexec_b64 s[38:39], vcc
	s_cbranch_execz .LBB6_10819
; %bb.10816:                            ;   in Loop: Header=BB6_10813 Depth=3
	v_and_b32_e32 v2, 0x7f, v48
	v_cmp_ne_u32_e32 vcc, s83, v2
	v_mov_b32_e32 v0, 0x7f800001
	s_and_saveexec_b64 s[48:49], vcc
	s_cbranch_execz .LBB6_10818
; %bb.10817:                            ;   in Loop: Header=BB6_10813 Depth=3
	v_and_b32_e32 v0, 7, v48
	v_ffbh_u32_e32 v0, v0
	v_min_u32_e32 v0, 32, v0
	v_lshrrev_b32_e32 v3, 3, v2
	v_cmp_gt_u32_e32 vcc, 8, v2
	v_subrev_u32_e32 v2, 28, v0
	v_sub_u32_e32 v0, 29, v0
	v_cndmask_b32_e32 v2, 0, v2, vcc
	v_cndmask_b32_e32 v0, v3, v0, vcc
	v_lshlrev_b64 v[2:3], v2, v[48:49]
	v_lshlrev_b32_e32 v3, 24, v48
	v_lshlrev_b32_e32 v2, 20, v2
	v_bfrev_b32_e32 v31, 60
	v_and_b32_e32 v2, 0x700000, v2
	v_and_b32_e32 v3, 0x80000000, v3
	v_lshl_add_u32 v0, v0, 23, v31
	v_or3_b32 v0, v3, v0, v2
.LBB6_10818:                            ;   in Loop: Header=BB6_10813 Depth=3
	s_or_b64 exec, exec, s[48:49]
.LBB6_10819:                            ;   in Loop: Header=BB6_10813 Depth=3
	s_or_b64 exec, exec, s[38:39]
.LBB6_10820:                            ;   in Loop: Header=BB6_10813 Depth=3
	s_or_b64 exec, exec, s[40:41]
	s_waitcnt vmcnt(3)
	v_cmp_ne_u16_sdwa vcc, v36, v53 src0_sel:BYTE_0 src1_sel:DWORD
	s_and_saveexec_b64 s[40:41], vcc
	s_cbranch_execz .LBB6_10826
; %bb.10821:                            ;   in Loop: Header=BB6_10813 Depth=3
	v_cmp_ne_u16_sdwa vcc, v36, s82 src0_sel:BYTE_0 src1_sel:DWORD
	v_bfrev_b32_e32 v1, 1
	s_and_saveexec_b64 s[38:39], vcc
	s_cbranch_execz .LBB6_10825
; %bb.10822:                            ;   in Loop: Header=BB6_10813 Depth=3
	v_and_b32_e32 v2, 0x7f, v36
	v_cmp_ne_u32_e32 vcc, s83, v2
	v_mov_b32_e32 v1, 0x7f800001
	s_and_saveexec_b64 s[48:49], vcc
	s_cbranch_execz .LBB6_10824
; %bb.10823:                            ;   in Loop: Header=BB6_10813 Depth=3
	v_and_b32_e32 v1, 7, v36
	v_ffbh_u32_e32 v1, v1
	v_min_u32_e32 v1, 32, v1
	v_lshrrev_b32_e32 v3, 3, v2
	v_cmp_gt_u32_e32 vcc, 8, v2
	v_subrev_u32_e32 v2, 28, v1
	v_sub_u32_e32 v1, 29, v1
	v_cndmask_b32_e32 v3, v3, v1, vcc
	v_cndmask_b32_e32 v1, 0, v2, vcc
	v_lshlrev_b64 v[1:2], v1, v[36:37]
	v_lshlrev_b32_e32 v2, 24, v36
	v_lshlrev_b32_e32 v1, 20, v1
	v_bfrev_b32_e32 v31, 60
	v_and_b32_e32 v1, 0x700000, v1
	v_and_b32_e32 v2, 0x80000000, v2
	v_lshl_add_u32 v3, v3, 23, v31
	v_or3_b32 v1, v2, v3, v1
.LBB6_10824:                            ;   in Loop: Header=BB6_10813 Depth=3
	s_or_b64 exec, exec, s[48:49]
.LBB6_10825:                            ;   in Loop: Header=BB6_10813 Depth=3
	s_or_b64 exec, exec, s[38:39]
.LBB6_10826:                            ;   in Loop: Header=BB6_10813 Depth=3
	s_or_b64 exec, exec, s[40:41]
	v_max_f32_e32 v1, v1, v1
	v_max_f32_e32 v0, v0, v0
	v_max_f32_e32 v0, v0, v1
	s_mov_b64 s[40:41], 0
.LBB6_10827:                            ;   in Loop: Header=BB6_10813 Depth=3
	s_and_b64 vcc, exec, s[40:41]
	s_cbranch_vccz .LBB6_10841
; %bb.10828:                            ;   in Loop: Header=BB6_10813 Depth=3
	v_mov_b32_e32 v1, 0
	v_mov_b32_e32 v0, 0
	s_and_saveexec_b64 s[40:41], s[28:29]
	s_cbranch_execz .LBB6_10834
; %bb.10829:                            ;   in Loop: Header=BB6_10813 Depth=3
	v_cmp_ne_u16_sdwa vcc, v48, s82 src0_sel:BYTE_0 src1_sel:DWORD
	v_bfrev_b32_e32 v0, 1
	s_and_saveexec_b64 s[28:29], vcc
	s_cbranch_execz .LBB6_10833
; %bb.10830:                            ;   in Loop: Header=BB6_10813 Depth=3
	v_and_b32_e32 v2, 0x7f, v48
	v_cmp_ne_u32_e32 vcc, s83, v2
	v_mov_b32_e32 v0, 0x7f800001
	s_and_saveexec_b64 s[38:39], vcc
	s_cbranch_execz .LBB6_10832
; %bb.10831:                            ;   in Loop: Header=BB6_10813 Depth=3
	v_and_b32_e32 v0, 7, v48
	v_ffbh_u32_e32 v0, v0
	v_min_u32_e32 v0, 32, v0
	v_lshrrev_b32_e32 v3, 3, v2
	v_cmp_gt_u32_e32 vcc, 8, v2
	v_subrev_u32_e32 v2, 28, v0
	v_sub_u32_e32 v0, 29, v0
	v_cndmask_b32_e32 v2, 0, v2, vcc
	v_cndmask_b32_e32 v0, v3, v0, vcc
	v_lshlrev_b64 v[2:3], v2, v[48:49]
	v_lshlrev_b32_e32 v3, 24, v48
	v_lshlrev_b32_e32 v2, 20, v2
	v_bfrev_b32_e32 v31, 60
	v_and_b32_e32 v2, 0x700000, v2
	v_and_b32_e32 v3, 0x80000000, v3
	v_lshl_add_u32 v0, v0, 23, v31
	v_or3_b32 v0, v3, v0, v2
.LBB6_10832:                            ;   in Loop: Header=BB6_10813 Depth=3
	s_or_b64 exec, exec, s[38:39]
.LBB6_10833:                            ;   in Loop: Header=BB6_10813 Depth=3
	s_or_b64 exec, exec, s[28:29]
.LBB6_10834:                            ;   in Loop: Header=BB6_10813 Depth=3
	s_or_b64 exec, exec, s[40:41]
	s_waitcnt vmcnt(3)
	v_cmp_ne_u16_sdwa s[40:41], v36, v53 src0_sel:BYTE_0 src1_sel:DWORD
	s_and_saveexec_b64 s[28:29], s[40:41]
	s_cbranch_execz .LBB6_10840
; %bb.10835:                            ;   in Loop: Header=BB6_10813 Depth=3
	v_cmp_ne_u16_sdwa vcc, v36, s82 src0_sel:BYTE_0 src1_sel:DWORD
	v_bfrev_b32_e32 v1, 1
	s_and_saveexec_b64 s[40:41], vcc
	s_cbranch_execz .LBB6_10839
; %bb.10836:                            ;   in Loop: Header=BB6_10813 Depth=3
	v_and_b32_e32 v2, 0x7f, v36
	v_cmp_ne_u32_e32 vcc, s83, v2
	v_mov_b32_e32 v1, 0x7f800001
	s_and_saveexec_b64 s[38:39], vcc
	s_cbranch_execz .LBB6_10838
; %bb.10837:                            ;   in Loop: Header=BB6_10813 Depth=3
	v_and_b32_e32 v1, 7, v36
	v_ffbh_u32_e32 v1, v1
	v_min_u32_e32 v1, 32, v1
	v_lshrrev_b32_e32 v3, 3, v2
	v_cmp_gt_u32_e32 vcc, 8, v2
	v_subrev_u32_e32 v2, 28, v1
	v_sub_u32_e32 v1, 29, v1
	v_cndmask_b32_e32 v3, v3, v1, vcc
	v_cndmask_b32_e32 v1, 0, v2, vcc
	v_lshlrev_b64 v[1:2], v1, v[36:37]
	v_lshlrev_b32_e32 v2, 24, v36
	v_lshlrev_b32_e32 v1, 20, v1
	v_bfrev_b32_e32 v31, 60
	v_and_b32_e32 v1, 0x700000, v1
	v_and_b32_e32 v2, 0x80000000, v2
	v_lshl_add_u32 v3, v3, 23, v31
	v_or3_b32 v1, v2, v3, v1
.LBB6_10838:                            ;   in Loop: Header=BB6_10813 Depth=3
	s_or_b64 exec, exec, s[38:39]
.LBB6_10839:                            ;   in Loop: Header=BB6_10813 Depth=3
	s_or_b64 exec, exec, s[40:41]
.LBB6_10840:                            ;   in Loop: Header=BB6_10813 Depth=3
	s_or_b64 exec, exec, s[28:29]
	v_max_f32_e32 v1, v1, v1
	v_max_f32_e32 v0, v0, v0
	v_min_f32_e32 v0, v0, v1
.LBB6_10841:                            ;   in Loop: Header=BB6_10813 Depth=3
	v_and_b32_e32 v52, 0x7f800000, v0
	v_cmp_ne_u64_e32 vcc, s[76:77], v[52:53]
                                        ; implicit-def: $vgpr46
	s_and_saveexec_b64 s[28:29], vcc
	s_xor_b64 s[40:41], exec, s[28:29]
	s_cbranch_execz .LBB6_10855
; %bb.10842:                            ;   in Loop: Header=BB6_10813 Depth=3
	v_and_b32_e32 v52, 0x7fffffff, v0
	v_cmp_gt_u64_e32 vcc, s[78:79], v[52:53]
	v_and_b32_sdwa v3, v0, s82 dst_sel:DWORD dst_unused:UNUSED_PAD src0_sel:BYTE_3 src1_sel:DWORD
                                        ; implicit-def: $vgpr46
	s_and_saveexec_b64 s[28:29], vcc
	s_xor_b64 s[38:39], exec, s[28:29]
	s_cbranch_execz .LBB6_10852
; %bb.10843:                            ;   in Loop: Header=BB6_10813 Depth=3
	v_mov_b32_e32 v46, 0
	v_cmp_ne_u32_e32 vcc, 0, v0
	s_and_saveexec_b64 s[48:49], vcc
	s_cbranch_execz .LBB6_10851
; %bb.10844:                            ;   in Loop: Header=BB6_10813 Depth=3
	v_bfe_u32 v31, v0, 23, 8
	v_and_b32_e32 v1, 0x7fffff, v0
	v_cmp_gt_u32_e64 s[28:29], s85, v31
	v_sub_u32_e32 v0, 0x79, v31
	v_cmp_eq_u32_e32 vcc, 0, v31
	v_cndmask_b32_e64 v0, 0, v0, s[28:29]
	v_mov_b32_e32 v52, 0x78
	v_cndmask_b32_e32 v54, v0, v52, vcc
	v_or_b32_e32 v2, 0x800000, v1
	v_add_u32_e32 v0, 20, v54
	v_cndmask_b32_e32 v52, v2, v1, vcc
	v_lshlrev_b64 v[0:1], v0, -1
	v_add_u32_e32 v2, 19, v54
	v_lshlrev_b64 v[40:41], v2, 1
	v_bfi_b32 v1, v1, 0, 0
	v_bfi_b32 v0, v0, 0, v52
	v_cmp_eq_u64_e64 s[28:29], v[0:1], v[40:41]
	v_lshrrev_b64 v[0:1], v54, v[52:53]
	v_mov_b32_e32 v2, v1
	v_mov_b32_e32 v1, v0
	s_and_saveexec_b64 s[50:51], s[28:29]
; %bb.10845:                            ;   in Loop: Header=BB6_10813 Depth=3
	v_bfe_u32 v1, v0, 20, 1
	v_add_co_u32_e64 v1, s[28:29], v0, v1
	v_add_co_u32_e64 v1, s[28:29], -1, v1
; %bb.10846:                            ;   in Loop: Header=BB6_10813 Depth=3
	s_or_b64 exec, exec, s[50:51]
	v_add_u32_e32 v2, 0xffffff81, v31
	v_mov_b32_e32 v31, 0xffffff82
	v_cndmask_b32_e32 v2, v2, v31, vcc
	v_lshrrev_b32_e32 v31, 23, v0
	v_add3_u32 v54, v54, v2, v31
	v_add_u32_e32 v31, 6, v54
	v_and_b32_e32 v1, 0xfffff, v1
	v_add_u32_e32 v52, v1, v0
	v_cmp_ne_u32_e32 vcc, 0, v31
                                        ; implicit-def: $vgpr0_vgpr1
                                        ; implicit-def: $vgpr2
	s_and_saveexec_b64 s[28:29], vcc
	s_xor_b64 s[28:29], exec, s[28:29]
; %bb.10847:                            ;   in Loop: Header=BB6_10813 Depth=3
	v_cmp_lt_u64_e32 vcc, s[88:89], v[52:53]
	v_add_u32_e32 v0, 7, v54
	v_cndmask_b32_e32 v2, v31, v0, vcc
	v_cndmask_b32_e64 v0, 0, 1, vcc
	v_lshrrev_b64 v[0:1], v0, v[52:53]
; %bb.10848:                            ;   in Loop: Header=BB6_10813 Depth=3
	s_andn2_saveexec_b64 s[28:29], s[28:29]
; %bb.10849:                            ;   in Loop: Header=BB6_10813 Depth=3
	v_mov_b32_e32 v0, v52
	v_bfe_u32 v2, v52, 23, 1
	v_mov_b32_e32 v1, v53
; %bb.10850:                            ;   in Loop: Header=BB6_10813 Depth=3
	s_or_b64 exec, exec, s[28:29]
	v_lshrrev_b64 v[0:1], 20, v[0:1]
	v_cmp_gt_i32_e32 vcc, 16, v2
	v_cndmask_b32_e32 v1, 0, v1, vcc
	v_cndmask_b32_e32 v0, 7, v0, vcc
	v_cmp_eq_u64_e64 s[28:29], 0, v[0:1]
	v_min_i32_e32 v1, 15, v2
	v_lshlrev_b32_e32 v1, 3, v1
	v_cmp_eq_u32_e32 vcc, 0, v2
	v_and_b32_e32 v1, 0xf8, v1
	v_and_or_b32 v0, v0, 7, v1
	s_and_b64 s[28:29], vcc, s[28:29]
	v_cndmask_b32_e64 v0, v0, 0, s[28:29]
	v_or_b32_e32 v46, v0, v3
.LBB6_10851:                            ;   in Loop: Header=BB6_10813 Depth=3
	s_or_b64 exec, exec, s[48:49]
                                        ; implicit-def: $vgpr3
.LBB6_10852:                            ;   in Loop: Header=BB6_10813 Depth=3
	s_andn2_saveexec_b64 s[28:29], s[38:39]
; %bb.10853:                            ;   in Loop: Header=BB6_10813 Depth=3
	v_or_b32_e32 v46, 0x7e, v3
; %bb.10854:                            ;   in Loop: Header=BB6_10813 Depth=3
	s_or_b64 exec, exec, s[28:29]
                                        ; implicit-def: $vgpr0
.LBB6_10855:                            ;   in Loop: Header=BB6_10813 Depth=3
	s_andn2_saveexec_b64 s[28:29], s[40:41]
; %bb.10856:                            ;   in Loop: Header=BB6_10813 Depth=3
	v_or_b32_sdwa v46, v0, s83 dst_sel:DWORD dst_unused:UNUSED_PAD src0_sel:BYTE_3 src1_sel:DWORD
; %bb.10857:                            ;   in Loop: Header=BB6_10813 Depth=3
	s_or_b64 exec, exec, s[28:29]
	v_lshrrev_b16_e32 v2, 8, v48
	s_waitcnt vmcnt(3)
	v_lshrrev_b16_e32 v0, 8, v36
	v_cmp_ne_u16_e64 s[28:29], 0, v2
	s_mov_b64 s[40:41], -1
	s_and_b64 vcc, exec, s[46:47]
                                        ; implicit-def: $vgpr1
	s_cbranch_vccz .LBB6_10871
; %bb.10858:                            ;   in Loop: Header=BB6_10813 Depth=3
	v_mov_b32_e32 v3, 0
	v_mov_b32_e32 v1, 0
	s_and_saveexec_b64 s[40:41], s[28:29]
	s_cbranch_execz .LBB6_10864
; %bb.10859:                            ;   in Loop: Header=BB6_10813 Depth=3
	v_cmp_ne_u16_e32 vcc, s82, v2
	v_bfrev_b32_e32 v1, 1
	s_and_saveexec_b64 s[38:39], vcc
	s_cbranch_execz .LBB6_10863
; %bb.10860:                            ;   in Loop: Header=BB6_10813 Depth=3
	v_and_b32_e32 v31, 0x7f, v2
	v_cmp_ne_u32_e32 vcc, s83, v31
	v_mov_b32_e32 v1, 0x7f800001
	s_and_saveexec_b64 s[48:49], vcc
	s_cbranch_execz .LBB6_10862
; %bb.10861:                            ;   in Loop: Header=BB6_10813 Depth=3
	v_and_b32_e32 v1, 7, v2
	v_lshrrev_b32_e32 v52, 3, v31
	v_cmp_gt_u32_e32 vcc, 8, v31
	v_ffbh_u32_e32 v31, v1
	v_min_u32_e32 v31, 32, v31
	v_subrev_u32_e32 v54, 28, v31
	v_lshlrev_b64 v[54:55], v54, v[2:3]
	v_sub_u32_e32 v31, 29, v31
	v_and_b32_e32 v54, 7, v54
	v_cndmask_b32_e32 v31, v52, v31, vcc
	v_cndmask_b32_e32 v1, v1, v54, vcc
	v_lshlrev_b32_e32 v52, 16, v48
	v_bfrev_b32_e32 v54, 60
	v_lshlrev_b32_e32 v1, 20, v1
	v_and_b32_e32 v52, 0x80000000, v52
	v_lshl_add_u32 v31, v31, 23, v54
	v_or3_b32 v1, v52, v31, v1
.LBB6_10862:                            ;   in Loop: Header=BB6_10813 Depth=3
	s_or_b64 exec, exec, s[48:49]
.LBB6_10863:                            ;   in Loop: Header=BB6_10813 Depth=3
	s_or_b64 exec, exec, s[38:39]
.LBB6_10864:                            ;   in Loop: Header=BB6_10813 Depth=3
	s_or_b64 exec, exec, s[40:41]
	v_cmp_ne_u16_e32 vcc, 0, v0
	s_and_saveexec_b64 s[40:41], vcc
	s_cbranch_execz .LBB6_10870
; %bb.10865:                            ;   in Loop: Header=BB6_10813 Depth=3
	v_cmp_ne_u16_e32 vcc, s82, v0
	v_bfrev_b32_e32 v3, 1
	s_and_saveexec_b64 s[38:39], vcc
	s_cbranch_execz .LBB6_10869
; %bb.10866:                            ;   in Loop: Header=BB6_10813 Depth=3
	v_and_b32_e32 v31, 0x7f, v0
	v_cmp_ne_u32_e32 vcc, s83, v31
	v_mov_b32_e32 v3, 0x7f800001
	s_and_saveexec_b64 s[48:49], vcc
	s_cbranch_execz .LBB6_10868
; %bb.10867:                            ;   in Loop: Header=BB6_10813 Depth=3
	v_and_b32_e32 v3, 7, v0
	v_lshrrev_b32_e32 v52, 3, v31
	v_cmp_gt_u32_e32 vcc, 8, v31
	v_ffbh_u32_e32 v31, v3
	v_min_u32_e32 v31, 32, v31
	v_subrev_u32_e32 v54, 28, v31
	v_lshlrev_b64 v[54:55], v54, v[0:1]
	v_sub_u32_e32 v31, 29, v31
	v_and_b32_e32 v54, 7, v54
	v_cndmask_b32_e32 v31, v52, v31, vcc
	v_cndmask_b32_e32 v3, v3, v54, vcc
	v_lshlrev_b32_e32 v52, 16, v36
	v_bfrev_b32_e32 v54, 60
	v_lshlrev_b32_e32 v3, 20, v3
	v_and_b32_e32 v52, 0x80000000, v52
	v_lshl_add_u32 v31, v31, 23, v54
	v_or3_b32 v3, v52, v31, v3
.LBB6_10868:                            ;   in Loop: Header=BB6_10813 Depth=3
	s_or_b64 exec, exec, s[48:49]
.LBB6_10869:                            ;   in Loop: Header=BB6_10813 Depth=3
	s_or_b64 exec, exec, s[38:39]
.LBB6_10870:                            ;   in Loop: Header=BB6_10813 Depth=3
	s_or_b64 exec, exec, s[40:41]
	v_max_f32_e32 v3, v3, v3
	v_max_f32_e32 v1, v1, v1
	;; [unrolled: 1-line block ×3, first 2 shown]
	s_mov_b64 s[40:41], 0
.LBB6_10871:                            ;   in Loop: Header=BB6_10813 Depth=3
	s_and_b64 vcc, exec, s[40:41]
	s_cbranch_vccz .LBB6_10885
; %bb.10872:                            ;   in Loop: Header=BB6_10813 Depth=3
	v_mov_b32_e32 v3, 0
	v_mov_b32_e32 v1, 0
	s_and_saveexec_b64 s[40:41], s[28:29]
	s_cbranch_execz .LBB6_10878
; %bb.10873:                            ;   in Loop: Header=BB6_10813 Depth=3
	v_cmp_ne_u16_e32 vcc, s82, v2
	v_bfrev_b32_e32 v1, 1
	s_and_saveexec_b64 s[28:29], vcc
	s_cbranch_execz .LBB6_10877
; %bb.10874:                            ;   in Loop: Header=BB6_10813 Depth=3
	v_and_b32_e32 v31, 0x7f, v2
	v_cmp_ne_u32_e32 vcc, s83, v31
	v_mov_b32_e32 v1, 0x7f800001
	s_and_saveexec_b64 s[38:39], vcc
	s_cbranch_execz .LBB6_10876
; %bb.10875:                            ;   in Loop: Header=BB6_10813 Depth=3
	v_and_b32_e32 v52, 7, v2
	v_ffbh_u32_e32 v1, v52
	v_lshrrev_b32_e32 v54, 3, v31
	v_cmp_gt_u32_e32 vcc, 8, v31
	v_min_u32_e32 v31, 32, v1
	v_subrev_u32_e32 v1, 28, v31
	v_lshlrev_b64 v[1:2], v1, v[2:3]
	v_sub_u32_e32 v2, 29, v31
	v_and_b32_e32 v1, 7, v1
	v_cndmask_b32_e32 v2, v54, v2, vcc
	v_cndmask_b32_e32 v1, v52, v1, vcc
	v_lshlrev_b32_e32 v31, 16, v48
	v_bfrev_b32_e32 v52, 60
	v_lshlrev_b32_e32 v1, 20, v1
	v_and_b32_e32 v31, 0x80000000, v31
	v_lshl_add_u32 v2, v2, 23, v52
	v_or3_b32 v1, v31, v2, v1
.LBB6_10876:                            ;   in Loop: Header=BB6_10813 Depth=3
	s_or_b64 exec, exec, s[38:39]
.LBB6_10877:                            ;   in Loop: Header=BB6_10813 Depth=3
	s_or_b64 exec, exec, s[28:29]
.LBB6_10878:                            ;   in Loop: Header=BB6_10813 Depth=3
	s_or_b64 exec, exec, s[40:41]
	v_cmp_ne_u16_e32 vcc, 0, v0
	s_and_saveexec_b64 s[28:29], vcc
	s_cbranch_execz .LBB6_10884
; %bb.10879:                            ;   in Loop: Header=BB6_10813 Depth=3
	v_cmp_ne_u16_e32 vcc, s82, v0
	v_bfrev_b32_e32 v3, 1
	s_and_saveexec_b64 s[40:41], vcc
	s_cbranch_execz .LBB6_10883
; %bb.10880:                            ;   in Loop: Header=BB6_10813 Depth=3
	v_and_b32_e32 v2, 0x7f, v0
	v_cmp_ne_u32_e32 vcc, s83, v2
	v_mov_b32_e32 v3, 0x7f800001
	s_and_saveexec_b64 s[38:39], vcc
	s_cbranch_execz .LBB6_10882
; %bb.10881:                            ;   in Loop: Header=BB6_10813 Depth=3
	v_and_b32_e32 v31, 7, v0
	v_lshrrev_b32_e32 v52, 3, v2
	v_cmp_gt_u32_e32 vcc, 8, v2
	v_ffbh_u32_e32 v2, v31
	v_min_u32_e32 v54, 32, v2
	v_subrev_u32_e32 v2, 28, v54
	v_lshlrev_b64 v[2:3], v2, v[0:1]
	v_sub_u32_e32 v0, 29, v54
	v_and_b32_e32 v2, 7, v2
	v_cndmask_b32_e32 v0, v52, v0, vcc
	v_cndmask_b32_e32 v2, v31, v2, vcc
	v_lshlrev_b32_e32 v3, 16, v36
	v_bfrev_b32_e32 v31, 60
	v_lshlrev_b32_e32 v2, 20, v2
	v_and_b32_e32 v3, 0x80000000, v3
	v_lshl_add_u32 v0, v0, 23, v31
	v_or3_b32 v3, v3, v0, v2
.LBB6_10882:                            ;   in Loop: Header=BB6_10813 Depth=3
	s_or_b64 exec, exec, s[38:39]
.LBB6_10883:                            ;   in Loop: Header=BB6_10813 Depth=3
	s_or_b64 exec, exec, s[40:41]
.LBB6_10884:                            ;   in Loop: Header=BB6_10813 Depth=3
	s_or_b64 exec, exec, s[28:29]
	v_max_f32_e32 v0, v3, v3
	v_max_f32_e32 v1, v1, v1
	v_min_f32_e32 v1, v1, v0
.LBB6_10885:                            ;   in Loop: Header=BB6_10813 Depth=3
	v_and_b32_e32 v52, 0x7f800000, v1
	v_cmp_ne_u64_e32 vcc, s[76:77], v[52:53]
                                        ; implicit-def: $vgpr47
	s_and_saveexec_b64 s[28:29], vcc
	s_xor_b64 s[40:41], exec, s[28:29]
	s_cbranch_execz .LBB6_10899
; %bb.10886:                            ;   in Loop: Header=BB6_10813 Depth=3
	v_and_b32_e32 v52, 0x7fffffff, v1
	v_cmp_gt_u64_e32 vcc, s[78:79], v[52:53]
	v_and_b32_sdwa v3, v1, s82 dst_sel:DWORD dst_unused:UNUSED_PAD src0_sel:BYTE_3 src1_sel:DWORD
                                        ; implicit-def: $vgpr47
	s_and_saveexec_b64 s[28:29], vcc
	s_xor_b64 s[38:39], exec, s[28:29]
	s_cbranch_execz .LBB6_10896
; %bb.10887:                            ;   in Loop: Header=BB6_10813 Depth=3
	v_mov_b32_e32 v47, 0
	v_cmp_ne_u32_e32 vcc, 0, v1
	s_and_saveexec_b64 s[48:49], vcc
	s_cbranch_execz .LBB6_10895
; %bb.10888:                            ;   in Loop: Header=BB6_10813 Depth=3
	v_bfe_u32 v31, v1, 23, 8
	v_and_b32_e32 v0, 0x7fffff, v1
	v_cmp_gt_u32_e64 s[28:29], s85, v31
	v_sub_u32_e32 v1, 0x79, v31
	v_cmp_eq_u32_e32 vcc, 0, v31
	v_cndmask_b32_e64 v1, 0, v1, s[28:29]
	v_mov_b32_e32 v52, 0x78
	v_or_b32_e32 v2, 0x800000, v0
	v_cndmask_b32_e32 v54, v1, v52, vcc
	v_cndmask_b32_e32 v52, v2, v0, vcc
	v_add_u32_e32 v0, 20, v54
	v_lshlrev_b64 v[0:1], v0, -1
	v_add_u32_e32 v2, 19, v54
	v_lshlrev_b64 v[40:41], v2, 1
	v_bfi_b32 v1, v1, 0, 0
	v_bfi_b32 v0, v0, 0, v52
	v_cmp_eq_u64_e64 s[28:29], v[0:1], v[40:41]
	v_lshrrev_b64 v[0:1], v54, v[52:53]
	v_mov_b32_e32 v2, v1
	v_mov_b32_e32 v1, v0
	s_and_saveexec_b64 s[50:51], s[28:29]
; %bb.10889:                            ;   in Loop: Header=BB6_10813 Depth=3
	v_bfe_u32 v1, v0, 20, 1
	v_add_co_u32_e64 v1, s[28:29], v0, v1
	v_add_co_u32_e64 v1, s[28:29], -1, v1
; %bb.10890:                            ;   in Loop: Header=BB6_10813 Depth=3
	s_or_b64 exec, exec, s[50:51]
	v_add_u32_e32 v2, 0xffffff81, v31
	v_mov_b32_e32 v31, 0xffffff82
	v_cndmask_b32_e32 v2, v2, v31, vcc
	v_lshrrev_b32_e32 v31, 23, v0
	v_add3_u32 v54, v54, v2, v31
	v_add_u32_e32 v31, 6, v54
	v_and_b32_e32 v1, 0xfffff, v1
	v_add_u32_e32 v52, v1, v0
	v_cmp_ne_u32_e32 vcc, 0, v31
                                        ; implicit-def: $vgpr0_vgpr1
                                        ; implicit-def: $vgpr2
	s_and_saveexec_b64 s[28:29], vcc
	s_xor_b64 s[28:29], exec, s[28:29]
; %bb.10891:                            ;   in Loop: Header=BB6_10813 Depth=3
	v_cmp_lt_u64_e32 vcc, s[88:89], v[52:53]
	v_add_u32_e32 v0, 7, v54
	v_cndmask_b32_e32 v2, v31, v0, vcc
	v_cndmask_b32_e64 v0, 0, 1, vcc
	v_lshrrev_b64 v[0:1], v0, v[52:53]
; %bb.10892:                            ;   in Loop: Header=BB6_10813 Depth=3
	s_andn2_saveexec_b64 s[28:29], s[28:29]
; %bb.10893:                            ;   in Loop: Header=BB6_10813 Depth=3
	v_mov_b32_e32 v0, v52
	v_bfe_u32 v2, v52, 23, 1
	v_mov_b32_e32 v1, v53
; %bb.10894:                            ;   in Loop: Header=BB6_10813 Depth=3
	s_or_b64 exec, exec, s[28:29]
	v_lshrrev_b64 v[0:1], 20, v[0:1]
	v_cmp_gt_i32_e32 vcc, 16, v2
	v_cndmask_b32_e32 v1, 0, v1, vcc
	v_cndmask_b32_e32 v0, 7, v0, vcc
	v_cmp_eq_u64_e64 s[28:29], 0, v[0:1]
	v_min_i32_e32 v1, 15, v2
	v_lshlrev_b32_e32 v1, 3, v1
	v_cmp_eq_u32_e32 vcc, 0, v2
	v_and_b32_e32 v1, 0xf8, v1
	v_and_or_b32 v0, v0, 7, v1
	s_and_b64 s[28:29], vcc, s[28:29]
	v_cndmask_b32_e64 v0, v0, 0, s[28:29]
	v_or_b32_e32 v47, v0, v3
.LBB6_10895:                            ;   in Loop: Header=BB6_10813 Depth=3
	s_or_b64 exec, exec, s[48:49]
                                        ; implicit-def: $vgpr3
.LBB6_10896:                            ;   in Loop: Header=BB6_10813 Depth=3
	s_andn2_saveexec_b64 s[28:29], s[38:39]
; %bb.10897:                            ;   in Loop: Header=BB6_10813 Depth=3
	v_or_b32_e32 v47, 0x7e, v3
; %bb.10898:                            ;   in Loop: Header=BB6_10813 Depth=3
	s_or_b64 exec, exec, s[28:29]
                                        ; implicit-def: $vgpr1
.LBB6_10899:                            ;   in Loop: Header=BB6_10813 Depth=3
	s_andn2_saveexec_b64 s[28:29], s[40:41]
; %bb.10900:                            ;   in Loop: Header=BB6_10813 Depth=3
	v_or_b32_sdwa v47, v1, s83 dst_sel:DWORD dst_unused:UNUSED_PAD src0_sel:BYTE_3 src1_sel:DWORD
; %bb.10901:                            ;   in Loop: Header=BB6_10813 Depth=3
	s_or_b64 exec, exec, s[28:29]
	v_lshrrev_b32_e32 v2, 16, v48
	v_lshrrev_b32_e32 v0, 16, v36
	v_cmp_ne_u16_sdwa s[28:29], v2, v53 src0_sel:BYTE_0 src1_sel:DWORD
	s_mov_b64 s[40:41], -1
	s_and_b64 vcc, exec, s[46:47]
                                        ; implicit-def: $vgpr1
	s_cbranch_vccz .LBB6_10915
; %bb.10902:                            ;   in Loop: Header=BB6_10813 Depth=3
	v_mov_b32_e32 v3, 0
	v_mov_b32_e32 v1, 0
	s_and_saveexec_b64 s[40:41], s[28:29]
	s_cbranch_execz .LBB6_10908
; %bb.10903:                            ;   in Loop: Header=BB6_10813 Depth=3
	v_cmp_ne_u16_sdwa vcc, v2, s82 src0_sel:BYTE_0 src1_sel:DWORD
	v_bfrev_b32_e32 v1, 1
	s_and_saveexec_b64 s[38:39], vcc
	s_cbranch_execz .LBB6_10907
; %bb.10904:                            ;   in Loop: Header=BB6_10813 Depth=3
	v_bfe_u32 v31, v48, 16, 7
	v_cmp_ne_u32_e32 vcc, s83, v31
	v_mov_b32_e32 v1, 0x7f800001
	s_and_saveexec_b64 s[48:49], vcc
	s_cbranch_execz .LBB6_10906
; %bb.10905:                            ;   in Loop: Header=BB6_10813 Depth=3
	v_and_b32_e32 v1, 7, v2
	v_lshrrev_b32_e32 v52, 3, v31
	v_cmp_gt_u32_e32 vcc, 8, v31
	v_ffbh_u32_e32 v31, v1
	v_min_u32_e32 v31, 32, v31
	v_subrev_u32_e32 v54, 28, v31
	v_lshlrev_b64 v[54:55], v54, v[2:3]
	v_sub_u32_e32 v31, 29, v31
	v_and_b32_e32 v54, 7, v54
	v_cndmask_b32_e32 v31, v52, v31, vcc
	v_cndmask_b32_e32 v1, v1, v54, vcc
	v_lshlrev_b32_e32 v52, 24, v2
	v_bfrev_b32_e32 v54, 60
	v_lshlrev_b32_e32 v1, 20, v1
	v_and_b32_e32 v52, 0x80000000, v52
	v_lshl_add_u32 v31, v31, 23, v54
	v_or3_b32 v1, v52, v31, v1
.LBB6_10906:                            ;   in Loop: Header=BB6_10813 Depth=3
	s_or_b64 exec, exec, s[48:49]
.LBB6_10907:                            ;   in Loop: Header=BB6_10813 Depth=3
	s_or_b64 exec, exec, s[38:39]
.LBB6_10908:                            ;   in Loop: Header=BB6_10813 Depth=3
	s_or_b64 exec, exec, s[40:41]
	v_cmp_ne_u16_sdwa vcc, v0, v53 src0_sel:BYTE_0 src1_sel:DWORD
	s_and_saveexec_b64 s[40:41], vcc
	s_cbranch_execz .LBB6_10914
; %bb.10909:                            ;   in Loop: Header=BB6_10813 Depth=3
	v_cmp_ne_u16_sdwa vcc, v0, s82 src0_sel:BYTE_0 src1_sel:DWORD
	v_bfrev_b32_e32 v3, 1
	s_and_saveexec_b64 s[38:39], vcc
	s_cbranch_execz .LBB6_10913
; %bb.10910:                            ;   in Loop: Header=BB6_10813 Depth=3
	v_bfe_u32 v31, v36, 16, 7
	v_cmp_ne_u32_e32 vcc, s83, v31
	v_mov_b32_e32 v3, 0x7f800001
	s_and_saveexec_b64 s[48:49], vcc
	s_cbranch_execz .LBB6_10912
; %bb.10911:                            ;   in Loop: Header=BB6_10813 Depth=3
	v_and_b32_e32 v3, 7, v0
	v_lshrrev_b32_e32 v52, 3, v31
	v_cmp_gt_u32_e32 vcc, 8, v31
	v_ffbh_u32_e32 v31, v3
	v_min_u32_e32 v31, 32, v31
	v_subrev_u32_e32 v54, 28, v31
	v_lshlrev_b64 v[54:55], v54, v[0:1]
	v_sub_u32_e32 v31, 29, v31
	v_and_b32_e32 v54, 7, v54
	v_cndmask_b32_e32 v31, v52, v31, vcc
	v_cndmask_b32_e32 v3, v3, v54, vcc
	v_lshlrev_b32_e32 v52, 24, v0
	v_bfrev_b32_e32 v54, 60
	v_lshlrev_b32_e32 v3, 20, v3
	v_and_b32_e32 v52, 0x80000000, v52
	v_lshl_add_u32 v31, v31, 23, v54
	v_or3_b32 v3, v52, v31, v3
.LBB6_10912:                            ;   in Loop: Header=BB6_10813 Depth=3
	s_or_b64 exec, exec, s[48:49]
.LBB6_10913:                            ;   in Loop: Header=BB6_10813 Depth=3
	s_or_b64 exec, exec, s[38:39]
.LBB6_10914:                            ;   in Loop: Header=BB6_10813 Depth=3
	s_or_b64 exec, exec, s[40:41]
	v_max_f32_e32 v3, v3, v3
	v_max_f32_e32 v1, v1, v1
	;; [unrolled: 1-line block ×3, first 2 shown]
	s_mov_b64 s[40:41], 0
.LBB6_10915:                            ;   in Loop: Header=BB6_10813 Depth=3
	s_and_b64 vcc, exec, s[40:41]
	s_cbranch_vccz .LBB6_10929
; %bb.10916:                            ;   in Loop: Header=BB6_10813 Depth=3
	v_mov_b32_e32 v3, 0
	v_mov_b32_e32 v1, 0
	s_and_saveexec_b64 s[40:41], s[28:29]
	s_cbranch_execz .LBB6_10922
; %bb.10917:                            ;   in Loop: Header=BB6_10813 Depth=3
	v_cmp_ne_u16_sdwa vcc, v2, s82 src0_sel:BYTE_0 src1_sel:DWORD
	v_bfrev_b32_e32 v1, 1
	s_and_saveexec_b64 s[28:29], vcc
	s_cbranch_execz .LBB6_10921
; %bb.10918:                            ;   in Loop: Header=BB6_10813 Depth=3
	v_bfe_u32 v31, v48, 16, 7
	v_cmp_ne_u32_e32 vcc, s83, v31
	v_mov_b32_e32 v1, 0x7f800001
	s_and_saveexec_b64 s[38:39], vcc
	s_cbranch_execz .LBB6_10920
; %bb.10919:                            ;   in Loop: Header=BB6_10813 Depth=3
	v_and_b32_e32 v1, 7, v2
	v_lshrrev_b32_e32 v52, 3, v31
	v_cmp_gt_u32_e32 vcc, 8, v31
	v_ffbh_u32_e32 v31, v1
	v_min_u32_e32 v31, 32, v31
	v_subrev_u32_e32 v54, 28, v31
	v_lshlrev_b64 v[54:55], v54, v[2:3]
	v_sub_u32_e32 v31, 29, v31
	v_and_b32_e32 v54, 7, v54
	v_cndmask_b32_e32 v31, v52, v31, vcc
	v_cndmask_b32_e32 v1, v1, v54, vcc
	v_lshlrev_b32_e32 v2, 24, v2
	v_bfrev_b32_e32 v52, 60
	v_lshlrev_b32_e32 v1, 20, v1
	v_and_b32_e32 v2, 0x80000000, v2
	v_lshl_add_u32 v31, v31, 23, v52
	v_or3_b32 v1, v2, v31, v1
.LBB6_10920:                            ;   in Loop: Header=BB6_10813 Depth=3
	s_or_b64 exec, exec, s[38:39]
.LBB6_10921:                            ;   in Loop: Header=BB6_10813 Depth=3
	s_or_b64 exec, exec, s[28:29]
.LBB6_10922:                            ;   in Loop: Header=BB6_10813 Depth=3
	s_or_b64 exec, exec, s[40:41]
	v_cmp_ne_u16_sdwa s[40:41], v0, v53 src0_sel:BYTE_0 src1_sel:DWORD
	s_and_saveexec_b64 s[28:29], s[40:41]
	s_cbranch_execz .LBB6_10928
; %bb.10923:                            ;   in Loop: Header=BB6_10813 Depth=3
	v_cmp_ne_u16_sdwa vcc, v0, s82 src0_sel:BYTE_0 src1_sel:DWORD
	v_bfrev_b32_e32 v3, 1
	s_and_saveexec_b64 s[40:41], vcc
	s_cbranch_execz .LBB6_10927
; %bb.10924:                            ;   in Loop: Header=BB6_10813 Depth=3
	v_bfe_u32 v2, v36, 16, 7
	v_cmp_ne_u32_e32 vcc, s83, v2
	v_mov_b32_e32 v3, 0x7f800001
	s_and_saveexec_b64 s[38:39], vcc
	s_cbranch_execz .LBB6_10926
; %bb.10925:                            ;   in Loop: Header=BB6_10813 Depth=3
	v_and_b32_e32 v31, 7, v0
	v_lshrrev_b32_e32 v52, 3, v2
	v_cmp_gt_u32_e32 vcc, 8, v2
	v_ffbh_u32_e32 v2, v31
	v_min_u32_e32 v54, 32, v2
	v_subrev_u32_e32 v2, 28, v54
	v_lshlrev_b64 v[2:3], v2, v[0:1]
	v_sub_u32_e32 v3, 29, v54
	v_and_b32_e32 v2, 7, v2
	v_cndmask_b32_e32 v3, v52, v3, vcc
	v_cndmask_b32_e32 v2, v31, v2, vcc
	v_lshlrev_b32_e32 v0, 24, v0
	v_bfrev_b32_e32 v31, 60
	v_lshlrev_b32_e32 v2, 20, v2
	v_and_b32_e32 v0, 0x80000000, v0
	v_lshl_add_u32 v3, v3, 23, v31
	v_or3_b32 v3, v0, v3, v2
.LBB6_10926:                            ;   in Loop: Header=BB6_10813 Depth=3
	s_or_b64 exec, exec, s[38:39]
.LBB6_10927:                            ;   in Loop: Header=BB6_10813 Depth=3
	s_or_b64 exec, exec, s[40:41]
.LBB6_10928:                            ;   in Loop: Header=BB6_10813 Depth=3
	s_or_b64 exec, exec, s[28:29]
	v_max_f32_e32 v0, v3, v3
	v_max_f32_e32 v1, v1, v1
	v_min_f32_e32 v1, v1, v0
.LBB6_10929:                            ;   in Loop: Header=BB6_10813 Depth=3
	v_and_b32_e32 v52, 0x7f800000, v1
	v_cmp_ne_u64_e32 vcc, s[76:77], v[52:53]
                                        ; implicit-def: $vgpr56
	s_and_saveexec_b64 s[28:29], vcc
	s_xor_b64 s[40:41], exec, s[28:29]
	s_cbranch_execz .LBB6_10943
; %bb.10930:                            ;   in Loop: Header=BB6_10813 Depth=3
	v_and_b32_e32 v52, 0x7fffffff, v1
	v_cmp_gt_u64_e32 vcc, s[78:79], v[52:53]
	v_and_b32_sdwa v3, v1, s82 dst_sel:DWORD dst_unused:UNUSED_PAD src0_sel:BYTE_3 src1_sel:DWORD
                                        ; implicit-def: $vgpr56
	s_and_saveexec_b64 s[28:29], vcc
	s_xor_b64 s[38:39], exec, s[28:29]
	s_cbranch_execz .LBB6_10940
; %bb.10931:                            ;   in Loop: Header=BB6_10813 Depth=3
	v_mov_b32_e32 v56, 0
	v_cmp_ne_u32_e32 vcc, 0, v1
	s_and_saveexec_b64 s[48:49], vcc
	s_cbranch_execz .LBB6_10939
; %bb.10932:                            ;   in Loop: Header=BB6_10813 Depth=3
	v_bfe_u32 v31, v1, 23, 8
	v_and_b32_e32 v0, 0x7fffff, v1
	v_cmp_gt_u32_e64 s[28:29], s85, v31
	v_sub_u32_e32 v1, 0x79, v31
	v_cmp_eq_u32_e32 vcc, 0, v31
	v_cndmask_b32_e64 v1, 0, v1, s[28:29]
	v_mov_b32_e32 v52, 0x78
	v_or_b32_e32 v2, 0x800000, v0
	v_cndmask_b32_e32 v54, v1, v52, vcc
	v_cndmask_b32_e32 v52, v2, v0, vcc
	v_add_u32_e32 v0, 20, v54
	v_lshlrev_b64 v[0:1], v0, -1
	v_add_u32_e32 v2, 19, v54
	v_lshlrev_b64 v[40:41], v2, 1
	v_bfi_b32 v1, v1, 0, 0
	v_bfi_b32 v0, v0, 0, v52
	v_cmp_eq_u64_e64 s[28:29], v[0:1], v[40:41]
	v_lshrrev_b64 v[0:1], v54, v[52:53]
	v_mov_b32_e32 v2, v1
	v_mov_b32_e32 v1, v0
	s_and_saveexec_b64 s[50:51], s[28:29]
; %bb.10933:                            ;   in Loop: Header=BB6_10813 Depth=3
	v_bfe_u32 v1, v0, 20, 1
	v_add_co_u32_e64 v1, s[28:29], v0, v1
	v_add_co_u32_e64 v1, s[28:29], -1, v1
; %bb.10934:                            ;   in Loop: Header=BB6_10813 Depth=3
	s_or_b64 exec, exec, s[50:51]
	v_add_u32_e32 v2, 0xffffff81, v31
	v_mov_b32_e32 v31, 0xffffff82
	v_cndmask_b32_e32 v2, v2, v31, vcc
	v_lshrrev_b32_e32 v31, 23, v0
	v_add3_u32 v54, v54, v2, v31
	v_add_u32_e32 v31, 6, v54
	v_and_b32_e32 v1, 0xfffff, v1
	v_add_u32_e32 v52, v1, v0
	v_cmp_ne_u32_e32 vcc, 0, v31
                                        ; implicit-def: $vgpr0_vgpr1
                                        ; implicit-def: $vgpr2
	s_and_saveexec_b64 s[28:29], vcc
	s_xor_b64 s[28:29], exec, s[28:29]
; %bb.10935:                            ;   in Loop: Header=BB6_10813 Depth=3
	v_cmp_lt_u64_e32 vcc, s[88:89], v[52:53]
	v_add_u32_e32 v0, 7, v54
	v_cndmask_b32_e32 v2, v31, v0, vcc
	v_cndmask_b32_e64 v0, 0, 1, vcc
	v_lshrrev_b64 v[0:1], v0, v[52:53]
; %bb.10936:                            ;   in Loop: Header=BB6_10813 Depth=3
	s_andn2_saveexec_b64 s[28:29], s[28:29]
; %bb.10937:                            ;   in Loop: Header=BB6_10813 Depth=3
	v_mov_b32_e32 v0, v52
	v_bfe_u32 v2, v52, 23, 1
	v_mov_b32_e32 v1, v53
; %bb.10938:                            ;   in Loop: Header=BB6_10813 Depth=3
	s_or_b64 exec, exec, s[28:29]
	v_lshrrev_b64 v[0:1], 20, v[0:1]
	v_cmp_gt_i32_e32 vcc, 16, v2
	v_cndmask_b32_e32 v1, 0, v1, vcc
	v_cndmask_b32_e32 v0, 7, v0, vcc
	v_cmp_eq_u64_e64 s[28:29], 0, v[0:1]
	v_min_i32_e32 v1, 15, v2
	v_lshlrev_b32_e32 v1, 3, v1
	v_cmp_eq_u32_e32 vcc, 0, v2
	v_and_b32_e32 v1, 0xf8, v1
	v_and_or_b32 v0, v0, 7, v1
	s_and_b64 s[28:29], vcc, s[28:29]
	v_cndmask_b32_e64 v0, v0, 0, s[28:29]
	v_or_b32_e32 v56, v0, v3
.LBB6_10939:                            ;   in Loop: Header=BB6_10813 Depth=3
	s_or_b64 exec, exec, s[48:49]
                                        ; implicit-def: $vgpr3
.LBB6_10940:                            ;   in Loop: Header=BB6_10813 Depth=3
	s_andn2_saveexec_b64 s[28:29], s[38:39]
; %bb.10941:                            ;   in Loop: Header=BB6_10813 Depth=3
	v_or_b32_e32 v56, 0x7e, v3
; %bb.10942:                            ;   in Loop: Header=BB6_10813 Depth=3
	s_or_b64 exec, exec, s[28:29]
                                        ; implicit-def: $vgpr1
.LBB6_10943:                            ;   in Loop: Header=BB6_10813 Depth=3
	s_andn2_saveexec_b64 s[28:29], s[40:41]
; %bb.10944:                            ;   in Loop: Header=BB6_10813 Depth=3
	v_or_b32_sdwa v56, v1, s83 dst_sel:DWORD dst_unused:UNUSED_PAD src0_sel:BYTE_3 src1_sel:DWORD
; %bb.10945:                            ;   in Loop: Header=BB6_10813 Depth=3
	s_or_b64 exec, exec, s[28:29]
	v_lshrrev_b32_e32 v2, 24, v48
	v_lshrrev_b32_e32 v0, 24, v36
	v_cmp_lt_u32_e64 s[28:29], s63, v48
	s_mov_b64 s[40:41], -1
	s_and_b64 vcc, exec, s[46:47]
                                        ; implicit-def: $vgpr1
	s_cbranch_vccz .LBB6_10959
; %bb.10946:                            ;   in Loop: Header=BB6_10813 Depth=3
	v_mov_b32_e32 v3, 0
	v_mov_b32_e32 v1, 0
	s_and_saveexec_b64 s[40:41], s[28:29]
	s_cbranch_execz .LBB6_10952
; %bb.10947:                            ;   in Loop: Header=BB6_10813 Depth=3
	v_cmp_ne_u32_e32 vcc, s82, v2
	v_bfrev_b32_e32 v1, 1
	s_and_saveexec_b64 s[38:39], vcc
	s_cbranch_execz .LBB6_10951
; %bb.10948:                            ;   in Loop: Header=BB6_10813 Depth=3
	v_bfe_u32 v31, v48, 24, 7
	v_cmp_ne_u32_e32 vcc, s83, v31
	v_mov_b32_e32 v1, 0x7f800001
	s_and_saveexec_b64 s[48:49], vcc
	s_cbranch_execz .LBB6_10950
; %bb.10949:                            ;   in Loop: Header=BB6_10813 Depth=3
	v_and_b32_e32 v1, 7, v2
	v_lshrrev_b32_e32 v52, 3, v31
	v_cmp_gt_u32_e32 vcc, 8, v31
	v_ffbh_u32_e32 v31, v1
	v_min_u32_e32 v31, 32, v31
	v_subrev_u32_e32 v54, 28, v31
	v_lshlrev_b64 v[54:55], v54, v[2:3]
	v_sub_u32_e32 v31, 29, v31
	v_and_b32_e32 v54, 7, v54
	v_cndmask_b32_e32 v31, v52, v31, vcc
	v_cndmask_b32_e32 v1, v1, v54, vcc
	v_lshlrev_b32_e32 v52, 24, v2
	v_bfrev_b32_e32 v54, 60
	v_lshlrev_b32_e32 v1, 20, v1
	v_and_b32_e32 v52, 0x80000000, v52
	v_lshl_add_u32 v31, v31, 23, v54
	v_or3_b32 v1, v52, v31, v1
.LBB6_10950:                            ;   in Loop: Header=BB6_10813 Depth=3
	s_or_b64 exec, exec, s[48:49]
.LBB6_10951:                            ;   in Loop: Header=BB6_10813 Depth=3
	s_or_b64 exec, exec, s[38:39]
.LBB6_10952:                            ;   in Loop: Header=BB6_10813 Depth=3
	s_or_b64 exec, exec, s[40:41]
	v_cmp_lt_u32_e32 vcc, s63, v36
	s_and_saveexec_b64 s[40:41], vcc
	s_cbranch_execz .LBB6_10958
; %bb.10953:                            ;   in Loop: Header=BB6_10813 Depth=3
	v_cmp_ne_u32_e32 vcc, s82, v0
	v_bfrev_b32_e32 v3, 1
	s_and_saveexec_b64 s[38:39], vcc
	s_cbranch_execz .LBB6_10957
; %bb.10954:                            ;   in Loop: Header=BB6_10813 Depth=3
	v_bfe_u32 v31, v36, 24, 7
	v_cmp_ne_u32_e32 vcc, s83, v31
	v_mov_b32_e32 v3, 0x7f800001
	s_and_saveexec_b64 s[48:49], vcc
	s_cbranch_execz .LBB6_10956
; %bb.10955:                            ;   in Loop: Header=BB6_10813 Depth=3
	v_and_b32_e32 v3, 7, v0
	v_lshrrev_b32_e32 v52, 3, v31
	v_cmp_gt_u32_e32 vcc, 8, v31
	v_ffbh_u32_e32 v31, v3
	v_min_u32_e32 v31, 32, v31
	v_subrev_u32_e32 v54, 28, v31
	v_lshlrev_b64 v[54:55], v54, v[0:1]
	v_sub_u32_e32 v31, 29, v31
	v_and_b32_e32 v54, 7, v54
	v_cndmask_b32_e32 v31, v52, v31, vcc
	v_cndmask_b32_e32 v3, v3, v54, vcc
	v_lshlrev_b32_e32 v52, 24, v0
	v_bfrev_b32_e32 v54, 60
	v_lshlrev_b32_e32 v3, 20, v3
	v_and_b32_e32 v52, 0x80000000, v52
	v_lshl_add_u32 v31, v31, 23, v54
	v_or3_b32 v3, v52, v31, v3
.LBB6_10956:                            ;   in Loop: Header=BB6_10813 Depth=3
	s_or_b64 exec, exec, s[48:49]
.LBB6_10957:                            ;   in Loop: Header=BB6_10813 Depth=3
	s_or_b64 exec, exec, s[38:39]
.LBB6_10958:                            ;   in Loop: Header=BB6_10813 Depth=3
	s_or_b64 exec, exec, s[40:41]
	v_max_f32_e32 v3, v3, v3
	v_max_f32_e32 v1, v1, v1
	;; [unrolled: 1-line block ×3, first 2 shown]
	s_mov_b64 s[40:41], 0
.LBB6_10959:                            ;   in Loop: Header=BB6_10813 Depth=3
	s_and_b64 vcc, exec, s[40:41]
	s_cbranch_vccz .LBB6_10973
; %bb.10960:                            ;   in Loop: Header=BB6_10813 Depth=3
	v_mov_b32_e32 v3, 0
	v_mov_b32_e32 v1, 0
	s_and_saveexec_b64 s[40:41], s[28:29]
	s_cbranch_execz .LBB6_10966
; %bb.10961:                            ;   in Loop: Header=BB6_10813 Depth=3
	v_cmp_ne_u32_e32 vcc, s82, v2
	v_bfrev_b32_e32 v1, 1
	s_and_saveexec_b64 s[28:29], vcc
	s_cbranch_execz .LBB6_10965
; %bb.10962:                            ;   in Loop: Header=BB6_10813 Depth=3
	v_bfe_u32 v31, v48, 24, 7
	v_cmp_ne_u32_e32 vcc, s83, v31
	v_mov_b32_e32 v1, 0x7f800001
	s_and_saveexec_b64 s[38:39], vcc
	s_cbranch_execz .LBB6_10964
; %bb.10963:                            ;   in Loop: Header=BB6_10813 Depth=3
	v_and_b32_e32 v1, 7, v2
	v_lshrrev_b32_e32 v52, 3, v31
	v_cmp_gt_u32_e32 vcc, 8, v31
	v_ffbh_u32_e32 v31, v1
	v_min_u32_e32 v31, 32, v31
	v_subrev_u32_e32 v54, 28, v31
	v_lshlrev_b64 v[54:55], v54, v[2:3]
	v_sub_u32_e32 v31, 29, v31
	v_and_b32_e32 v54, 7, v54
	v_cndmask_b32_e32 v31, v52, v31, vcc
	v_cndmask_b32_e32 v1, v1, v54, vcc
	v_lshlrev_b32_e32 v2, 24, v2
	v_bfrev_b32_e32 v52, 60
	v_lshlrev_b32_e32 v1, 20, v1
	v_and_b32_e32 v2, 0x80000000, v2
	v_lshl_add_u32 v31, v31, 23, v52
	v_or3_b32 v1, v2, v31, v1
.LBB6_10964:                            ;   in Loop: Header=BB6_10813 Depth=3
	s_or_b64 exec, exec, s[38:39]
.LBB6_10965:                            ;   in Loop: Header=BB6_10813 Depth=3
	s_or_b64 exec, exec, s[28:29]
.LBB6_10966:                            ;   in Loop: Header=BB6_10813 Depth=3
	s_or_b64 exec, exec, s[40:41]
	v_cmp_lt_u32_e32 vcc, s63, v36
	s_and_saveexec_b64 s[28:29], vcc
	s_cbranch_execz .LBB6_10972
; %bb.10967:                            ;   in Loop: Header=BB6_10813 Depth=3
	v_cmp_ne_u32_e32 vcc, s82, v0
	v_bfrev_b32_e32 v3, 1
	s_and_saveexec_b64 s[40:41], vcc
	s_cbranch_execz .LBB6_10971
; %bb.10968:                            ;   in Loop: Header=BB6_10813 Depth=3
	v_bfe_u32 v2, v36, 24, 7
	v_cmp_ne_u32_e32 vcc, s83, v2
	v_mov_b32_e32 v3, 0x7f800001
	s_and_saveexec_b64 s[38:39], vcc
	s_cbranch_execz .LBB6_10970
; %bb.10969:                            ;   in Loop: Header=BB6_10813 Depth=3
	v_and_b32_e32 v31, 7, v0
	v_lshrrev_b32_e32 v52, 3, v2
	v_cmp_gt_u32_e32 vcc, 8, v2
	v_ffbh_u32_e32 v2, v31
	v_min_u32_e32 v54, 32, v2
	v_subrev_u32_e32 v2, 28, v54
	v_lshlrev_b64 v[2:3], v2, v[0:1]
	v_sub_u32_e32 v3, 29, v54
	v_and_b32_e32 v2, 7, v2
	v_cndmask_b32_e32 v3, v52, v3, vcc
	v_cndmask_b32_e32 v2, v31, v2, vcc
	v_lshlrev_b32_e32 v0, 24, v0
	v_bfrev_b32_e32 v31, 60
	v_lshlrev_b32_e32 v2, 20, v2
	v_and_b32_e32 v0, 0x80000000, v0
	v_lshl_add_u32 v3, v3, 23, v31
	v_or3_b32 v3, v0, v3, v2
.LBB6_10970:                            ;   in Loop: Header=BB6_10813 Depth=3
	s_or_b64 exec, exec, s[38:39]
.LBB6_10971:                            ;   in Loop: Header=BB6_10813 Depth=3
	s_or_b64 exec, exec, s[40:41]
.LBB6_10972:                            ;   in Loop: Header=BB6_10813 Depth=3
	s_or_b64 exec, exec, s[28:29]
	v_max_f32_e32 v0, v3, v3
	v_max_f32_e32 v1, v1, v1
	v_min_f32_e32 v1, v1, v0
.LBB6_10973:                            ;   in Loop: Header=BB6_10813 Depth=3
	v_and_b32_e32 v52, 0x7f800000, v1
	v_cmp_ne_u64_e32 vcc, s[76:77], v[52:53]
                                        ; implicit-def: $vgpr57
	s_and_saveexec_b64 s[28:29], vcc
	s_xor_b64 s[40:41], exec, s[28:29]
	s_cbranch_execz .LBB6_10987
; %bb.10974:                            ;   in Loop: Header=BB6_10813 Depth=3
	v_and_b32_e32 v52, 0x7fffffff, v1
	v_cmp_gt_u64_e32 vcc, s[78:79], v[52:53]
	v_and_b32_sdwa v3, v1, s82 dst_sel:DWORD dst_unused:UNUSED_PAD src0_sel:BYTE_3 src1_sel:DWORD
                                        ; implicit-def: $vgpr57
	s_and_saveexec_b64 s[28:29], vcc
	s_xor_b64 s[38:39], exec, s[28:29]
	s_cbranch_execz .LBB6_10984
; %bb.10975:                            ;   in Loop: Header=BB6_10813 Depth=3
	v_mov_b32_e32 v57, 0
	v_cmp_ne_u32_e32 vcc, 0, v1
	s_and_saveexec_b64 s[48:49], vcc
	s_cbranch_execz .LBB6_10983
; %bb.10976:                            ;   in Loop: Header=BB6_10813 Depth=3
	v_bfe_u32 v31, v1, 23, 8
	v_and_b32_e32 v0, 0x7fffff, v1
	v_cmp_gt_u32_e64 s[28:29], s85, v31
	v_sub_u32_e32 v1, 0x79, v31
	v_cmp_eq_u32_e32 vcc, 0, v31
	v_cndmask_b32_e64 v1, 0, v1, s[28:29]
	v_mov_b32_e32 v52, 0x78
	v_or_b32_e32 v2, 0x800000, v0
	v_cndmask_b32_e32 v54, v1, v52, vcc
	v_cndmask_b32_e32 v52, v2, v0, vcc
	v_add_u32_e32 v0, 20, v54
	v_lshlrev_b64 v[0:1], v0, -1
	v_add_u32_e32 v2, 19, v54
	v_lshlrev_b64 v[40:41], v2, 1
	v_bfi_b32 v1, v1, 0, 0
	v_bfi_b32 v0, v0, 0, v52
	v_cmp_eq_u64_e64 s[28:29], v[0:1], v[40:41]
	v_lshrrev_b64 v[0:1], v54, v[52:53]
	v_mov_b32_e32 v2, v1
	v_mov_b32_e32 v1, v0
	s_and_saveexec_b64 s[50:51], s[28:29]
; %bb.10977:                            ;   in Loop: Header=BB6_10813 Depth=3
	v_bfe_u32 v1, v0, 20, 1
	v_add_co_u32_e64 v1, s[28:29], v0, v1
	v_add_co_u32_e64 v1, s[28:29], -1, v1
; %bb.10978:                            ;   in Loop: Header=BB6_10813 Depth=3
	s_or_b64 exec, exec, s[50:51]
	v_add_u32_e32 v2, 0xffffff81, v31
	v_mov_b32_e32 v31, 0xffffff82
	v_cndmask_b32_e32 v2, v2, v31, vcc
	v_lshrrev_b32_e32 v31, 23, v0
	v_add3_u32 v54, v54, v2, v31
	v_add_u32_e32 v31, 6, v54
	v_and_b32_e32 v1, 0xfffff, v1
	v_add_u32_e32 v52, v1, v0
	v_cmp_ne_u32_e32 vcc, 0, v31
                                        ; implicit-def: $vgpr0_vgpr1
                                        ; implicit-def: $vgpr2
	s_and_saveexec_b64 s[28:29], vcc
	s_xor_b64 s[28:29], exec, s[28:29]
; %bb.10979:                            ;   in Loop: Header=BB6_10813 Depth=3
	v_cmp_lt_u64_e32 vcc, s[88:89], v[52:53]
	v_add_u32_e32 v0, 7, v54
	v_cndmask_b32_e32 v2, v31, v0, vcc
	v_cndmask_b32_e64 v0, 0, 1, vcc
	v_lshrrev_b64 v[0:1], v0, v[52:53]
; %bb.10980:                            ;   in Loop: Header=BB6_10813 Depth=3
	s_andn2_saveexec_b64 s[28:29], s[28:29]
; %bb.10981:                            ;   in Loop: Header=BB6_10813 Depth=3
	v_mov_b32_e32 v0, v52
	v_bfe_u32 v2, v52, 23, 1
	v_mov_b32_e32 v1, v53
; %bb.10982:                            ;   in Loop: Header=BB6_10813 Depth=3
	s_or_b64 exec, exec, s[28:29]
	v_lshrrev_b64 v[0:1], 20, v[0:1]
	v_cmp_gt_i32_e32 vcc, 16, v2
	v_cndmask_b32_e32 v1, 0, v1, vcc
	v_cndmask_b32_e32 v0, 7, v0, vcc
	v_cmp_eq_u64_e64 s[28:29], 0, v[0:1]
	v_min_i32_e32 v1, 15, v2
	v_lshlrev_b32_e32 v1, 3, v1
	v_cmp_eq_u32_e32 vcc, 0, v2
	v_and_b32_e32 v1, 0xf8, v1
	v_and_or_b32 v0, v0, 7, v1
	s_and_b64 s[28:29], vcc, s[28:29]
	v_cndmask_b32_e64 v0, v0, 0, s[28:29]
	v_or_b32_e32 v57, v0, v3
.LBB6_10983:                            ;   in Loop: Header=BB6_10813 Depth=3
	s_or_b64 exec, exec, s[48:49]
                                        ; implicit-def: $vgpr3
.LBB6_10984:                            ;   in Loop: Header=BB6_10813 Depth=3
	s_andn2_saveexec_b64 s[28:29], s[38:39]
; %bb.10985:                            ;   in Loop: Header=BB6_10813 Depth=3
	v_or_b32_e32 v57, 0x7e, v3
; %bb.10986:                            ;   in Loop: Header=BB6_10813 Depth=3
	s_or_b64 exec, exec, s[28:29]
                                        ; implicit-def: $vgpr1
.LBB6_10987:                            ;   in Loop: Header=BB6_10813 Depth=3
	s_andn2_saveexec_b64 s[28:29], s[40:41]
; %bb.10988:                            ;   in Loop: Header=BB6_10813 Depth=3
	v_or_b32_sdwa v57, v1, s83 dst_sel:DWORD dst_unused:UNUSED_PAD src0_sel:BYTE_3 src1_sel:DWORD
; %bb.10989:                            ;   in Loop: Header=BB6_10813 Depth=3
	s_or_b64 exec, exec, s[28:29]
	v_mov_b32_e32 v52, v49
	v_mov_b32_e32 v2, v37
	;; [unrolled: 1-line block ×3, first 2 shown]
	v_cmp_ne_u16_sdwa s[28:29], v49, v53 src0_sel:BYTE_0 src1_sel:DWORD
	s_mov_b64 s[40:41], -1
	s_and_b64 vcc, exec, s[46:47]
                                        ; implicit-def: $vgpr0
	s_cbranch_vccz .LBB6_11003
; %bb.10990:                            ;   in Loop: Header=BB6_10813 Depth=3
	v_mov_b32_e32 v1, 0
	v_mov_b32_e32 v0, 0
	s_and_saveexec_b64 s[40:41], s[28:29]
	s_cbranch_execz .LBB6_10996
; %bb.10991:                            ;   in Loop: Header=BB6_10813 Depth=3
	v_cmp_ne_u16_sdwa vcc, v49, s82 src0_sel:BYTE_0 src1_sel:DWORD
	v_bfrev_b32_e32 v0, 1
	s_and_saveexec_b64 s[38:39], vcc
	s_cbranch_execz .LBB6_10995
; %bb.10992:                            ;   in Loop: Header=BB6_10813 Depth=3
	v_and_b32_e32 v31, 0x7f, v49
	v_cmp_ne_u32_e32 vcc, s83, v31
	v_mov_b32_e32 v0, 0x7f800001
	s_and_saveexec_b64 s[48:49], vcc
	s_cbranch_execz .LBB6_10994
; %bb.10993:                            ;   in Loop: Header=BB6_10813 Depth=3
	v_and_b32_e32 v0, 7, v49
	v_ffbh_u32_e32 v0, v0
	v_min_u32_e32 v0, 32, v0
	v_lshrrev_b32_e32 v54, 3, v31
	v_cmp_gt_u32_e32 vcc, 8, v31
	v_subrev_u32_e32 v31, 28, v0
	v_sub_u32_e32 v0, 29, v0
	v_cndmask_b32_e32 v31, 0, v31, vcc
	v_cndmask_b32_e32 v0, v54, v0, vcc
	v_lshlrev_b64 v[54:55], v31, v[52:53]
	v_bfrev_b32_e32 v55, 60
	v_lshlrev_b32_e32 v31, 20, v54
	v_lshlrev_b32_e32 v54, 24, v52
	v_and_b32_e32 v31, 0x700000, v31
	v_and_b32_e32 v54, 0x80000000, v54
	v_lshl_add_u32 v0, v0, 23, v55
	v_or3_b32 v0, v54, v0, v31
.LBB6_10994:                            ;   in Loop: Header=BB6_10813 Depth=3
	s_or_b64 exec, exec, s[48:49]
.LBB6_10995:                            ;   in Loop: Header=BB6_10813 Depth=3
	s_or_b64 exec, exec, s[38:39]
.LBB6_10996:                            ;   in Loop: Header=BB6_10813 Depth=3
	s_or_b64 exec, exec, s[40:41]
	v_cmp_ne_u16_sdwa vcc, v37, v53 src0_sel:BYTE_0 src1_sel:DWORD
	s_and_saveexec_b64 s[40:41], vcc
	s_cbranch_execz .LBB6_11002
; %bb.10997:                            ;   in Loop: Header=BB6_10813 Depth=3
	v_cmp_ne_u16_sdwa vcc, v37, s82 src0_sel:BYTE_0 src1_sel:DWORD
	v_bfrev_b32_e32 v1, 1
	s_and_saveexec_b64 s[38:39], vcc
	s_cbranch_execz .LBB6_11001
; %bb.10998:                            ;   in Loop: Header=BB6_10813 Depth=3
	v_and_b32_e32 v31, 0x7f, v37
	v_cmp_ne_u32_e32 vcc, s83, v31
	v_mov_b32_e32 v1, 0x7f800001
	s_and_saveexec_b64 s[48:49], vcc
	s_cbranch_execz .LBB6_11000
; %bb.10999:                            ;   in Loop: Header=BB6_10813 Depth=3
	v_and_b32_e32 v1, 7, v37
	v_ffbh_u32_e32 v1, v1
	v_min_u32_e32 v1, 32, v1
	v_lshrrev_b32_e32 v54, 3, v31
	v_cmp_gt_u32_e32 vcc, 8, v31
	v_subrev_u32_e32 v31, 28, v1
	v_sub_u32_e32 v1, 29, v1
	v_cndmask_b32_e32 v31, 0, v31, vcc
	v_cndmask_b32_e32 v1, v54, v1, vcc
	v_lshlrev_b64 v[54:55], v31, v[2:3]
	v_bfrev_b32_e32 v55, 60
	v_lshlrev_b32_e32 v31, 20, v54
	v_lshlrev_b32_e32 v54, 24, v2
	v_and_b32_e32 v31, 0x700000, v31
	v_and_b32_e32 v54, 0x80000000, v54
	v_lshl_add_u32 v1, v1, 23, v55
	v_or3_b32 v1, v54, v1, v31
.LBB6_11000:                            ;   in Loop: Header=BB6_10813 Depth=3
	s_or_b64 exec, exec, s[48:49]
.LBB6_11001:                            ;   in Loop: Header=BB6_10813 Depth=3
	s_or_b64 exec, exec, s[38:39]
.LBB6_11002:                            ;   in Loop: Header=BB6_10813 Depth=3
	s_or_b64 exec, exec, s[40:41]
	v_max_f32_e32 v1, v1, v1
	v_max_f32_e32 v0, v0, v0
	;; [unrolled: 1-line block ×3, first 2 shown]
	s_mov_b64 s[40:41], 0
.LBB6_11003:                            ;   in Loop: Header=BB6_10813 Depth=3
	s_and_b64 vcc, exec, s[40:41]
	s_cbranch_vccz .LBB6_11017
; %bb.11004:                            ;   in Loop: Header=BB6_10813 Depth=3
	v_mov_b32_e32 v1, 0
	v_mov_b32_e32 v0, 0
	s_and_saveexec_b64 s[40:41], s[28:29]
	s_cbranch_execz .LBB6_11010
; %bb.11005:                            ;   in Loop: Header=BB6_10813 Depth=3
	v_cmp_ne_u16_sdwa vcc, v49, s82 src0_sel:BYTE_0 src1_sel:DWORD
	v_bfrev_b32_e32 v0, 1
	s_and_saveexec_b64 s[28:29], vcc
	s_cbranch_execz .LBB6_11009
; %bb.11006:                            ;   in Loop: Header=BB6_10813 Depth=3
	v_and_b32_e32 v31, 0x7f, v49
	v_cmp_ne_u32_e32 vcc, s83, v31
	v_mov_b32_e32 v0, 0x7f800001
	s_and_saveexec_b64 s[38:39], vcc
	s_cbranch_execz .LBB6_11008
; %bb.11007:                            ;   in Loop: Header=BB6_10813 Depth=3
	v_and_b32_e32 v0, 7, v49
	v_ffbh_u32_e32 v0, v0
	v_min_u32_e32 v0, 32, v0
	v_lshrrev_b32_e32 v54, 3, v31
	v_cmp_gt_u32_e32 vcc, 8, v31
	v_subrev_u32_e32 v31, 28, v0
	v_sub_u32_e32 v0, 29, v0
	v_cndmask_b32_e32 v31, 0, v31, vcc
	v_cndmask_b32_e32 v0, v54, v0, vcc
	v_lshlrev_b64 v[54:55], v31, v[52:53]
	v_bfrev_b32_e32 v55, 60
	v_lshlrev_b32_e32 v31, 20, v54
	v_lshlrev_b32_e32 v54, 24, v52
	v_and_b32_e32 v31, 0x700000, v31
	v_and_b32_e32 v54, 0x80000000, v54
	v_lshl_add_u32 v0, v0, 23, v55
	v_or3_b32 v0, v54, v0, v31
.LBB6_11008:                            ;   in Loop: Header=BB6_10813 Depth=3
	s_or_b64 exec, exec, s[38:39]
.LBB6_11009:                            ;   in Loop: Header=BB6_10813 Depth=3
	s_or_b64 exec, exec, s[28:29]
.LBB6_11010:                            ;   in Loop: Header=BB6_10813 Depth=3
	s_or_b64 exec, exec, s[40:41]
	v_cmp_ne_u16_sdwa s[40:41], v37, v53 src0_sel:BYTE_0 src1_sel:DWORD
	s_and_saveexec_b64 s[28:29], s[40:41]
	s_cbranch_execz .LBB6_11016
; %bb.11011:                            ;   in Loop: Header=BB6_10813 Depth=3
	v_cmp_ne_u16_sdwa vcc, v37, s82 src0_sel:BYTE_0 src1_sel:DWORD
	v_bfrev_b32_e32 v1, 1
	s_and_saveexec_b64 s[40:41], vcc
	s_cbranch_execz .LBB6_11015
; %bb.11012:                            ;   in Loop: Header=BB6_10813 Depth=3
	v_and_b32_e32 v31, 0x7f, v37
	v_cmp_ne_u32_e32 vcc, s83, v31
	v_mov_b32_e32 v1, 0x7f800001
	s_and_saveexec_b64 s[38:39], vcc
	s_cbranch_execz .LBB6_11014
; %bb.11013:                            ;   in Loop: Header=BB6_10813 Depth=3
	v_and_b32_e32 v1, 7, v37
	v_ffbh_u32_e32 v1, v1
	v_min_u32_e32 v1, 32, v1
	v_lshrrev_b32_e32 v54, 3, v31
	v_cmp_gt_u32_e32 vcc, 8, v31
	v_subrev_u32_e32 v31, 28, v1
	v_sub_u32_e32 v1, 29, v1
	v_cndmask_b32_e32 v31, 0, v31, vcc
	v_cndmask_b32_e32 v1, v54, v1, vcc
	v_lshlrev_b64 v[54:55], v31, v[2:3]
	v_lshlrev_b32_e32 v31, 24, v2
	v_lshlrev_b32_e32 v3, 20, v54
	v_bfrev_b32_e32 v54, 60
	v_and_b32_e32 v3, 0x700000, v3
	v_and_b32_e32 v31, 0x80000000, v31
	v_lshl_add_u32 v1, v1, 23, v54
	v_or3_b32 v1, v31, v1, v3
.LBB6_11014:                            ;   in Loop: Header=BB6_10813 Depth=3
	s_or_b64 exec, exec, s[38:39]
.LBB6_11015:                            ;   in Loop: Header=BB6_10813 Depth=3
	s_or_b64 exec, exec, s[40:41]
.LBB6_11016:                            ;   in Loop: Header=BB6_10813 Depth=3
	s_or_b64 exec, exec, s[28:29]
	v_max_f32_e32 v1, v1, v1
	v_max_f32_e32 v0, v0, v0
	v_min_f32_e32 v0, v0, v1
.LBB6_11017:                            ;   in Loop: Header=BB6_10813 Depth=3
	v_and_b32_e32 v54, 0x7f800000, v0
	v_mov_b32_e32 v55, v53
	v_cmp_ne_u64_e32 vcc, s[76:77], v[54:55]
                                        ; implicit-def: $vgpr42
	s_and_saveexec_b64 s[28:29], vcc
	s_xor_b64 s[40:41], exec, s[28:29]
	s_cbranch_execz .LBB6_11031
; %bb.11018:                            ;   in Loop: Header=BB6_10813 Depth=3
	v_and_b32_e32 v54, 0x7fffffff, v0
	v_mov_b32_e32 v55, v53
	v_cmp_gt_u64_e32 vcc, s[78:79], v[54:55]
	v_and_b32_sdwa v3, v0, s82 dst_sel:DWORD dst_unused:UNUSED_PAD src0_sel:BYTE_3 src1_sel:DWORD
                                        ; implicit-def: $vgpr42
	s_and_saveexec_b64 s[28:29], vcc
	s_xor_b64 s[38:39], exec, s[28:29]
	s_cbranch_execz .LBB6_11028
; %bb.11019:                            ;   in Loop: Header=BB6_10813 Depth=3
	v_mov_b32_e32 v42, 0
	v_cmp_ne_u32_e32 vcc, 0, v0
	s_and_saveexec_b64 s[48:49], vcc
	s_cbranch_execz .LBB6_11027
; %bb.11020:                            ;   in Loop: Header=BB6_10813 Depth=3
	v_bfe_u32 v31, v0, 23, 8
	v_and_b32_e32 v1, 0x7fffff, v0
	v_cmp_gt_u32_e64 s[28:29], s85, v31
	v_sub_u32_e32 v0, 0x79, v31
	v_cmp_eq_u32_e32 vcc, 0, v31
	v_cndmask_b32_e64 v0, 0, v0, s[28:29]
	v_mov_b32_e32 v54, 0x78
	v_or_b32_e32 v55, 0x800000, v1
	v_cndmask_b32_e32 v54, v0, v54, vcc
	v_cndmask_b32_e32 v0, v55, v1, vcc
	v_add_u32_e32 v55, 20, v54
	v_lshlrev_b64 v[40:41], v55, -1
	v_mov_b32_e32 v1, v53
	v_add_u32_e32 v55, 19, v54
	v_bfi_b32 v40, v40, 0, v0
	v_lshlrev_b64 v[42:43], v55, 1
	v_lshrrev_b64 v[0:1], v54, v[0:1]
	v_bfi_b32 v41, v41, 0, 0
	v_cmp_eq_u64_e64 s[28:29], v[40:41], v[42:43]
	v_mov_b32_e32 v45, v1
	v_mov_b32_e32 v44, v0
	s_and_saveexec_b64 s[50:51], s[28:29]
; %bb.11021:                            ;   in Loop: Header=BB6_10813 Depth=3
	v_bfe_u32 v1, v0, 20, 1
	v_add_co_u32_e64 v1, s[28:29], v0, v1
	v_add_co_u32_e64 v44, s[28:29], -1, v1
; %bb.11022:                            ;   in Loop: Header=BB6_10813 Depth=3
	s_or_b64 exec, exec, s[50:51]
	v_add_u32_e32 v1, 0xffffff81, v31
	v_mov_b32_e32 v31, 0xffffff82
	v_cndmask_b32_e32 v1, v1, v31, vcc
	v_lshrrev_b32_e32 v31, 23, v0
	v_add3_u32 v31, v54, v1, v31
	v_add_u32_e32 v1, 6, v31
	v_and_b32_e32 v54, 0xfffff, v44
	v_add_u32_e32 v44, v54, v0
	v_mov_b32_e32 v45, v53
	v_cmp_ne_u32_e32 vcc, 0, v1
                                        ; implicit-def: $vgpr0
	s_and_saveexec_b64 s[28:29], vcc
	s_xor_b64 s[28:29], exec, s[28:29]
; %bb.11023:                            ;   in Loop: Header=BB6_10813 Depth=3
	v_cmp_lt_u64_e32 vcc, s[88:89], v[44:45]
	v_add_u32_e32 v0, 7, v31
	v_cndmask_b32_e32 v0, v1, v0, vcc
	v_cndmask_b32_e64 v1, 0, 1, vcc
	v_lshrrev_b64 v[44:45], v1, v[44:45]
; %bb.11024:                            ;   in Loop: Header=BB6_10813 Depth=3
	s_andn2_saveexec_b64 s[28:29], s[28:29]
; %bb.11025:                            ;   in Loop: Header=BB6_10813 Depth=3
	v_bfe_u32 v0, v44, 23, 1
; %bb.11026:                            ;   in Loop: Header=BB6_10813 Depth=3
	s_or_b64 exec, exec, s[28:29]
	v_lshrrev_b64 v[54:55], 20, v[44:45]
	v_cmp_gt_i32_e32 vcc, 16, v0
	v_cndmask_b32_e32 v55, 0, v55, vcc
	v_cndmask_b32_e32 v54, 7, v54, vcc
	v_cmp_eq_u32_e32 vcc, 0, v0
	v_min_i32_e32 v0, 15, v0
	v_cmp_eq_u64_e64 s[28:29], 0, v[54:55]
	v_lshlrev_b32_e32 v0, 3, v0
	v_and_b32_e32 v0, 0xf8, v0
	v_and_or_b32 v0, v54, 7, v0
	s_and_b64 s[28:29], vcc, s[28:29]
	v_cndmask_b32_e64 v0, v0, 0, s[28:29]
	v_or_b32_e32 v42, v0, v3
.LBB6_11027:                            ;   in Loop: Header=BB6_10813 Depth=3
	s_or_b64 exec, exec, s[48:49]
                                        ; implicit-def: $vgpr3
.LBB6_11028:                            ;   in Loop: Header=BB6_10813 Depth=3
	s_andn2_saveexec_b64 s[28:29], s[38:39]
; %bb.11029:                            ;   in Loop: Header=BB6_10813 Depth=3
	v_or_b32_e32 v42, 0x7e, v3
; %bb.11030:                            ;   in Loop: Header=BB6_10813 Depth=3
	s_or_b64 exec, exec, s[28:29]
                                        ; implicit-def: $vgpr0
.LBB6_11031:                            ;   in Loop: Header=BB6_10813 Depth=3
	s_andn2_saveexec_b64 s[28:29], s[40:41]
; %bb.11032:                            ;   in Loop: Header=BB6_10813 Depth=3
	v_or_b32_sdwa v42, v0, s83 dst_sel:DWORD dst_unused:UNUSED_PAD src0_sel:BYTE_3 src1_sel:DWORD
; %bb.11033:                            ;   in Loop: Header=BB6_10813 Depth=3
	s_or_b64 exec, exec, s[28:29]
	v_lshrrev_b16_e32 v31, 8, v52
	v_lshrrev_b16_e32 v3, 8, v2
	v_cmp_ne_u16_e64 s[28:29], 0, v31
	s_mov_b64 s[40:41], -1
	s_and_b64 vcc, exec, s[46:47]
                                        ; implicit-def: $vgpr0
	s_cbranch_vccz .LBB6_11047
; %bb.11034:                            ;   in Loop: Header=BB6_10813 Depth=3
	v_mov_b32_e32 v1, 0
	v_mov_b32_e32 v0, 0
	s_and_saveexec_b64 s[40:41], s[28:29]
	s_cbranch_execz .LBB6_11040
; %bb.11035:                            ;   in Loop: Header=BB6_10813 Depth=3
	v_cmp_ne_u16_e32 vcc, s82, v31
	v_bfrev_b32_e32 v0, 1
	s_and_saveexec_b64 s[38:39], vcc
	s_cbranch_execz .LBB6_11039
; %bb.11036:                            ;   in Loop: Header=BB6_10813 Depth=3
	v_and_b32_e32 v54, 0x7f, v31
	v_cmp_ne_u32_e32 vcc, s83, v54
	v_mov_b32_e32 v0, 0x7f800001
	s_and_saveexec_b64 s[48:49], vcc
	s_cbranch_execz .LBB6_11038
; %bb.11037:                            ;   in Loop: Header=BB6_10813 Depth=3
	v_and_b32_e32 v0, 7, v31
	v_lshrrev_b32_e32 v40, 3, v54
	v_cmp_gt_u32_e32 vcc, 8, v54
	v_ffbh_u32_e32 v54, v0
	v_min_u32_e32 v41, 32, v54
	v_subrev_u32_e32 v54, 28, v41
	v_lshlrev_b64 v[54:55], v54, v[31:32]
	v_sub_u32_e32 v55, 29, v41
	v_and_b32_e32 v54, 7, v54
	v_cndmask_b32_e32 v55, v40, v55, vcc
	v_cndmask_b32_e32 v0, v0, v54, vcc
	v_lshlrev_b32_e32 v54, 16, v52
	v_bfrev_b32_e32 v40, 60
	v_lshlrev_b32_e32 v0, 20, v0
	v_and_b32_e32 v54, 0x80000000, v54
	v_lshl_add_u32 v55, v55, 23, v40
	v_or3_b32 v0, v54, v55, v0
.LBB6_11038:                            ;   in Loop: Header=BB6_10813 Depth=3
	s_or_b64 exec, exec, s[48:49]
.LBB6_11039:                            ;   in Loop: Header=BB6_10813 Depth=3
	s_or_b64 exec, exec, s[38:39]
.LBB6_11040:                            ;   in Loop: Header=BB6_10813 Depth=3
	s_or_b64 exec, exec, s[40:41]
	v_cmp_ne_u16_e32 vcc, 0, v3
	s_and_saveexec_b64 s[40:41], vcc
	s_cbranch_execz .LBB6_11046
; %bb.11041:                            ;   in Loop: Header=BB6_10813 Depth=3
	v_cmp_ne_u16_e32 vcc, s82, v3
	v_bfrev_b32_e32 v1, 1
	s_and_saveexec_b64 s[38:39], vcc
	s_cbranch_execz .LBB6_11045
; %bb.11042:                            ;   in Loop: Header=BB6_10813 Depth=3
	v_and_b32_e32 v54, 0x7f, v3
	v_cmp_ne_u32_e32 vcc, s83, v54
	v_mov_b32_e32 v1, 0x7f800001
	s_and_saveexec_b64 s[48:49], vcc
	s_cbranch_execz .LBB6_11044
; %bb.11043:                            ;   in Loop: Header=BB6_10813 Depth=3
	v_and_b32_e32 v1, 7, v3
	v_lshrrev_b32_e32 v40, 3, v54
	v_cmp_gt_u32_e32 vcc, 8, v54
	v_ffbh_u32_e32 v54, v1
	v_min_u32_e32 v41, 32, v54
	v_subrev_u32_e32 v54, 28, v41
	v_lshlrev_b64 v[54:55], v54, v[3:4]
	v_sub_u32_e32 v55, 29, v41
	v_and_b32_e32 v54, 7, v54
	v_cndmask_b32_e32 v55, v40, v55, vcc
	v_cndmask_b32_e32 v1, v1, v54, vcc
	v_lshlrev_b32_e32 v54, 16, v2
	v_bfrev_b32_e32 v40, 60
	v_lshlrev_b32_e32 v1, 20, v1
	v_and_b32_e32 v54, 0x80000000, v54
	v_lshl_add_u32 v55, v55, 23, v40
	v_or3_b32 v1, v54, v55, v1
.LBB6_11044:                            ;   in Loop: Header=BB6_10813 Depth=3
	s_or_b64 exec, exec, s[48:49]
.LBB6_11045:                            ;   in Loop: Header=BB6_10813 Depth=3
	s_or_b64 exec, exec, s[38:39]
.LBB6_11046:                            ;   in Loop: Header=BB6_10813 Depth=3
	s_or_b64 exec, exec, s[40:41]
	v_max_f32_e32 v1, v1, v1
	v_max_f32_e32 v0, v0, v0
	;; [unrolled: 1-line block ×3, first 2 shown]
	s_mov_b64 s[40:41], 0
.LBB6_11047:                            ;   in Loop: Header=BB6_10813 Depth=3
	s_and_b64 vcc, exec, s[40:41]
	s_cbranch_vccz .LBB6_11061
; %bb.11048:                            ;   in Loop: Header=BB6_10813 Depth=3
	v_mov_b32_e32 v1, 0
	v_mov_b32_e32 v0, 0
	s_and_saveexec_b64 s[40:41], s[28:29]
	s_cbranch_execz .LBB6_11054
; %bb.11049:                            ;   in Loop: Header=BB6_10813 Depth=3
	v_cmp_ne_u16_e32 vcc, s82, v31
	v_bfrev_b32_e32 v0, 1
	s_and_saveexec_b64 s[28:29], vcc
	s_cbranch_execz .LBB6_11053
; %bb.11050:                            ;   in Loop: Header=BB6_10813 Depth=3
	v_and_b32_e32 v54, 0x7f, v31
	v_cmp_ne_u32_e32 vcc, s83, v54
	v_mov_b32_e32 v0, 0x7f800001
	s_and_saveexec_b64 s[38:39], vcc
	s_cbranch_execz .LBB6_11052
; %bb.11051:                            ;   in Loop: Header=BB6_10813 Depth=3
	v_and_b32_e32 v0, 7, v31
	v_lshrrev_b32_e32 v40, 3, v54
	v_cmp_gt_u32_e32 vcc, 8, v54
	v_ffbh_u32_e32 v54, v0
	v_min_u32_e32 v41, 32, v54
	v_subrev_u32_e32 v54, 28, v41
	v_lshlrev_b64 v[54:55], v54, v[31:32]
	v_sub_u32_e32 v31, 29, v41
	v_and_b32_e32 v54, 7, v54
	v_cndmask_b32_e32 v31, v40, v31, vcc
	v_cndmask_b32_e32 v0, v0, v54, vcc
	v_lshlrev_b32_e32 v52, 16, v52
	v_bfrev_b32_e32 v54, 60
	v_lshlrev_b32_e32 v0, 20, v0
	v_and_b32_e32 v52, 0x80000000, v52
	v_lshl_add_u32 v31, v31, 23, v54
	v_or3_b32 v0, v52, v31, v0
.LBB6_11052:                            ;   in Loop: Header=BB6_10813 Depth=3
	s_or_b64 exec, exec, s[38:39]
.LBB6_11053:                            ;   in Loop: Header=BB6_10813 Depth=3
	s_or_b64 exec, exec, s[28:29]
.LBB6_11054:                            ;   in Loop: Header=BB6_10813 Depth=3
	s_or_b64 exec, exec, s[40:41]
	v_cmp_ne_u16_e32 vcc, 0, v3
	s_and_saveexec_b64 s[28:29], vcc
	s_cbranch_execz .LBB6_11060
; %bb.11055:                            ;   in Loop: Header=BB6_10813 Depth=3
	v_cmp_ne_u16_e32 vcc, s82, v3
	v_bfrev_b32_e32 v1, 1
	s_and_saveexec_b64 s[40:41], vcc
	s_cbranch_execz .LBB6_11059
; %bb.11056:                            ;   in Loop: Header=BB6_10813 Depth=3
	v_and_b32_e32 v31, 0x7f, v3
	v_cmp_ne_u32_e32 vcc, s83, v31
	v_mov_b32_e32 v1, 0x7f800001
	s_and_saveexec_b64 s[38:39], vcc
	s_cbranch_execz .LBB6_11058
; %bb.11057:                            ;   in Loop: Header=BB6_10813 Depth=3
	v_and_b32_e32 v1, 7, v3
	v_lshrrev_b32_e32 v52, 3, v31
	v_cmp_gt_u32_e32 vcc, 8, v31
	v_ffbh_u32_e32 v31, v1
	v_min_u32_e32 v31, 32, v31
	v_subrev_u32_e32 v54, 28, v31
	v_lshlrev_b64 v[54:55], v54, v[3:4]
	v_sub_u32_e32 v3, 29, v31
	v_and_b32_e32 v31, 7, v54
	v_cndmask_b32_e32 v3, v52, v3, vcc
	v_cndmask_b32_e32 v1, v1, v31, vcc
	v_lshlrev_b32_e32 v2, 16, v2
	v_bfrev_b32_e32 v31, 60
	v_lshlrev_b32_e32 v1, 20, v1
	v_and_b32_e32 v2, 0x80000000, v2
	v_lshl_add_u32 v3, v3, 23, v31
	v_or3_b32 v1, v2, v3, v1
.LBB6_11058:                            ;   in Loop: Header=BB6_10813 Depth=3
	s_or_b64 exec, exec, s[38:39]
.LBB6_11059:                            ;   in Loop: Header=BB6_10813 Depth=3
	s_or_b64 exec, exec, s[40:41]
.LBB6_11060:                            ;   in Loop: Header=BB6_10813 Depth=3
	s_or_b64 exec, exec, s[28:29]
	v_max_f32_e32 v1, v1, v1
	v_max_f32_e32 v0, v0, v0
	v_min_f32_e32 v0, v0, v1
.LBB6_11061:                            ;   in Loop: Header=BB6_10813 Depth=3
	v_and_b32_e32 v52, 0x7f800000, v0
	v_cmp_ne_u64_e32 vcc, s[76:77], v[52:53]
                                        ; implicit-def: $vgpr43
	s_and_saveexec_b64 s[28:29], vcc
	s_xor_b64 s[40:41], exec, s[28:29]
	s_cbranch_execz .LBB6_11075
; %bb.11062:                            ;   in Loop: Header=BB6_10813 Depth=3
	v_and_b32_e32 v52, 0x7fffffff, v0
	v_cmp_gt_u64_e32 vcc, s[78:79], v[52:53]
	v_and_b32_sdwa v3, v0, s82 dst_sel:DWORD dst_unused:UNUSED_PAD src0_sel:BYTE_3 src1_sel:DWORD
                                        ; implicit-def: $vgpr43
	s_and_saveexec_b64 s[28:29], vcc
	s_xor_b64 s[38:39], exec, s[28:29]
	s_cbranch_execz .LBB6_11072
; %bb.11063:                            ;   in Loop: Header=BB6_10813 Depth=3
	v_mov_b32_e32 v43, 0
	v_cmp_ne_u32_e32 vcc, 0, v0
	s_and_saveexec_b64 s[48:49], vcc
	s_cbranch_execz .LBB6_11071
; %bb.11064:                            ;   in Loop: Header=BB6_10813 Depth=3
	v_bfe_u32 v31, v0, 23, 8
	v_and_b32_e32 v1, 0x7fffff, v0
	v_cmp_gt_u32_e64 s[28:29], s85, v31
	v_sub_u32_e32 v0, 0x79, v31
	v_cmp_eq_u32_e32 vcc, 0, v31
	v_cndmask_b32_e64 v0, 0, v0, s[28:29]
	v_mov_b32_e32 v52, 0x78
	v_cndmask_b32_e32 v54, v0, v52, vcc
	v_or_b32_e32 v2, 0x800000, v1
	v_add_u32_e32 v0, 20, v54
	v_cndmask_b32_e32 v52, v2, v1, vcc
	v_lshlrev_b64 v[0:1], v0, -1
	v_add_u32_e32 v2, 19, v54
	v_lshlrev_b64 v[40:41], v2, 1
	v_bfi_b32 v1, v1, 0, 0
	v_bfi_b32 v0, v0, 0, v52
	v_cmp_eq_u64_e64 s[28:29], v[0:1], v[40:41]
	v_lshrrev_b64 v[0:1], v54, v[52:53]
	v_mov_b32_e32 v2, v1
	v_mov_b32_e32 v1, v0
	s_and_saveexec_b64 s[50:51], s[28:29]
; %bb.11065:                            ;   in Loop: Header=BB6_10813 Depth=3
	v_bfe_u32 v1, v0, 20, 1
	v_add_co_u32_e64 v1, s[28:29], v0, v1
	v_add_co_u32_e64 v1, s[28:29], -1, v1
; %bb.11066:                            ;   in Loop: Header=BB6_10813 Depth=3
	s_or_b64 exec, exec, s[50:51]
	v_add_u32_e32 v2, 0xffffff81, v31
	v_mov_b32_e32 v31, 0xffffff82
	v_cndmask_b32_e32 v2, v2, v31, vcc
	v_lshrrev_b32_e32 v31, 23, v0
	v_add3_u32 v54, v54, v2, v31
	v_add_u32_e32 v31, 6, v54
	v_and_b32_e32 v1, 0xfffff, v1
	v_add_u32_e32 v52, v1, v0
	v_cmp_ne_u32_e32 vcc, 0, v31
                                        ; implicit-def: $vgpr0_vgpr1
                                        ; implicit-def: $vgpr2
	s_and_saveexec_b64 s[28:29], vcc
	s_xor_b64 s[28:29], exec, s[28:29]
; %bb.11067:                            ;   in Loop: Header=BB6_10813 Depth=3
	v_cmp_lt_u64_e32 vcc, s[88:89], v[52:53]
	v_add_u32_e32 v0, 7, v54
	v_cndmask_b32_e32 v2, v31, v0, vcc
	v_cndmask_b32_e64 v0, 0, 1, vcc
	v_lshrrev_b64 v[0:1], v0, v[52:53]
; %bb.11068:                            ;   in Loop: Header=BB6_10813 Depth=3
	s_andn2_saveexec_b64 s[28:29], s[28:29]
; %bb.11069:                            ;   in Loop: Header=BB6_10813 Depth=3
	v_mov_b32_e32 v0, v52
	v_bfe_u32 v2, v52, 23, 1
	v_mov_b32_e32 v1, v53
; %bb.11070:                            ;   in Loop: Header=BB6_10813 Depth=3
	s_or_b64 exec, exec, s[28:29]
	v_lshrrev_b64 v[0:1], 20, v[0:1]
	v_cmp_gt_i32_e32 vcc, 16, v2
	v_cndmask_b32_e32 v1, 0, v1, vcc
	v_cndmask_b32_e32 v0, 7, v0, vcc
	v_cmp_eq_u64_e64 s[28:29], 0, v[0:1]
	v_min_i32_e32 v1, 15, v2
	v_lshlrev_b32_e32 v1, 3, v1
	v_cmp_eq_u32_e32 vcc, 0, v2
	v_and_b32_e32 v1, 0xf8, v1
	v_and_or_b32 v0, v0, 7, v1
	s_and_b64 s[28:29], vcc, s[28:29]
	v_cndmask_b32_e64 v0, v0, 0, s[28:29]
	v_or_b32_e32 v43, v0, v3
.LBB6_11071:                            ;   in Loop: Header=BB6_10813 Depth=3
	s_or_b64 exec, exec, s[48:49]
                                        ; implicit-def: $vgpr3
.LBB6_11072:                            ;   in Loop: Header=BB6_10813 Depth=3
	s_andn2_saveexec_b64 s[28:29], s[38:39]
; %bb.11073:                            ;   in Loop: Header=BB6_10813 Depth=3
	v_or_b32_e32 v43, 0x7e, v3
; %bb.11074:                            ;   in Loop: Header=BB6_10813 Depth=3
	s_or_b64 exec, exec, s[28:29]
                                        ; implicit-def: $vgpr0
.LBB6_11075:                            ;   in Loop: Header=BB6_10813 Depth=3
	s_andn2_saveexec_b64 s[28:29], s[40:41]
; %bb.11076:                            ;   in Loop: Header=BB6_10813 Depth=3
	v_or_b32_sdwa v43, v0, s83 dst_sel:DWORD dst_unused:UNUSED_PAD src0_sel:BYTE_3 src1_sel:DWORD
; %bb.11077:                            ;   in Loop: Header=BB6_10813 Depth=3
	s_or_b64 exec, exec, s[28:29]
	v_lshrrev_b32_e32 v2, 16, v49
	v_lshrrev_b32_e32 v0, 16, v37
	v_cmp_ne_u16_sdwa s[28:29], v2, v53 src0_sel:BYTE_0 src1_sel:DWORD
	s_mov_b64 s[40:41], -1
	s_and_b64 vcc, exec, s[46:47]
                                        ; implicit-def: $vgpr1
	s_cbranch_vccz .LBB6_11091
; %bb.11078:                            ;   in Loop: Header=BB6_10813 Depth=3
	v_mov_b32_e32 v3, 0
	v_mov_b32_e32 v1, 0
	s_and_saveexec_b64 s[40:41], s[28:29]
	s_cbranch_execz .LBB6_11084
; %bb.11079:                            ;   in Loop: Header=BB6_10813 Depth=3
	v_cmp_ne_u16_sdwa vcc, v2, s82 src0_sel:BYTE_0 src1_sel:DWORD
	v_bfrev_b32_e32 v1, 1
	s_and_saveexec_b64 s[38:39], vcc
	s_cbranch_execz .LBB6_11083
; %bb.11080:                            ;   in Loop: Header=BB6_10813 Depth=3
	v_bfe_u32 v31, v49, 16, 7
	v_cmp_ne_u32_e32 vcc, s83, v31
	v_mov_b32_e32 v1, 0x7f800001
	s_and_saveexec_b64 s[48:49], vcc
	s_cbranch_execz .LBB6_11082
; %bb.11081:                            ;   in Loop: Header=BB6_10813 Depth=3
	v_and_b32_e32 v1, 7, v2
	v_lshrrev_b32_e32 v52, 3, v31
	v_cmp_gt_u32_e32 vcc, 8, v31
	v_ffbh_u32_e32 v31, v1
	v_min_u32_e32 v31, 32, v31
	v_subrev_u32_e32 v54, 28, v31
	v_lshlrev_b64 v[54:55], v54, v[2:3]
	v_sub_u32_e32 v31, 29, v31
	v_and_b32_e32 v54, 7, v54
	v_cndmask_b32_e32 v31, v52, v31, vcc
	v_cndmask_b32_e32 v1, v1, v54, vcc
	v_lshlrev_b32_e32 v52, 24, v2
	v_bfrev_b32_e32 v54, 60
	v_lshlrev_b32_e32 v1, 20, v1
	v_and_b32_e32 v52, 0x80000000, v52
	v_lshl_add_u32 v31, v31, 23, v54
	v_or3_b32 v1, v52, v31, v1
.LBB6_11082:                            ;   in Loop: Header=BB6_10813 Depth=3
	s_or_b64 exec, exec, s[48:49]
.LBB6_11083:                            ;   in Loop: Header=BB6_10813 Depth=3
	s_or_b64 exec, exec, s[38:39]
.LBB6_11084:                            ;   in Loop: Header=BB6_10813 Depth=3
	s_or_b64 exec, exec, s[40:41]
	v_cmp_ne_u16_sdwa vcc, v0, v53 src0_sel:BYTE_0 src1_sel:DWORD
	s_and_saveexec_b64 s[40:41], vcc
	s_cbranch_execz .LBB6_11090
; %bb.11085:                            ;   in Loop: Header=BB6_10813 Depth=3
	v_cmp_ne_u16_sdwa vcc, v0, s82 src0_sel:BYTE_0 src1_sel:DWORD
	v_bfrev_b32_e32 v3, 1
	s_and_saveexec_b64 s[38:39], vcc
	s_cbranch_execz .LBB6_11089
; %bb.11086:                            ;   in Loop: Header=BB6_10813 Depth=3
	v_bfe_u32 v31, v37, 16, 7
	v_cmp_ne_u32_e32 vcc, s83, v31
	v_mov_b32_e32 v3, 0x7f800001
	s_and_saveexec_b64 s[48:49], vcc
	s_cbranch_execz .LBB6_11088
; %bb.11087:                            ;   in Loop: Header=BB6_10813 Depth=3
	v_and_b32_e32 v3, 7, v0
	v_lshrrev_b32_e32 v52, 3, v31
	v_cmp_gt_u32_e32 vcc, 8, v31
	v_ffbh_u32_e32 v31, v3
	v_min_u32_e32 v31, 32, v31
	v_subrev_u32_e32 v54, 28, v31
	v_lshlrev_b64 v[54:55], v54, v[0:1]
	v_sub_u32_e32 v31, 29, v31
	v_and_b32_e32 v54, 7, v54
	v_cndmask_b32_e32 v31, v52, v31, vcc
	v_cndmask_b32_e32 v3, v3, v54, vcc
	v_lshlrev_b32_e32 v52, 24, v0
	v_bfrev_b32_e32 v54, 60
	v_lshlrev_b32_e32 v3, 20, v3
	v_and_b32_e32 v52, 0x80000000, v52
	v_lshl_add_u32 v31, v31, 23, v54
	v_or3_b32 v3, v52, v31, v3
.LBB6_11088:                            ;   in Loop: Header=BB6_10813 Depth=3
	s_or_b64 exec, exec, s[48:49]
.LBB6_11089:                            ;   in Loop: Header=BB6_10813 Depth=3
	s_or_b64 exec, exec, s[38:39]
.LBB6_11090:                            ;   in Loop: Header=BB6_10813 Depth=3
	s_or_b64 exec, exec, s[40:41]
	v_max_f32_e32 v3, v3, v3
	v_max_f32_e32 v1, v1, v1
	;; [unrolled: 1-line block ×3, first 2 shown]
	s_mov_b64 s[40:41], 0
.LBB6_11091:                            ;   in Loop: Header=BB6_10813 Depth=3
	s_and_b64 vcc, exec, s[40:41]
	s_cbranch_vccz .LBB6_11105
; %bb.11092:                            ;   in Loop: Header=BB6_10813 Depth=3
	v_mov_b32_e32 v3, 0
	v_mov_b32_e32 v1, 0
	s_and_saveexec_b64 s[40:41], s[28:29]
	s_cbranch_execz .LBB6_11098
; %bb.11093:                            ;   in Loop: Header=BB6_10813 Depth=3
	v_cmp_ne_u16_sdwa vcc, v2, s82 src0_sel:BYTE_0 src1_sel:DWORD
	v_bfrev_b32_e32 v1, 1
	s_and_saveexec_b64 s[28:29], vcc
	s_cbranch_execz .LBB6_11097
; %bb.11094:                            ;   in Loop: Header=BB6_10813 Depth=3
	v_bfe_u32 v31, v49, 16, 7
	v_cmp_ne_u32_e32 vcc, s83, v31
	v_mov_b32_e32 v1, 0x7f800001
	s_and_saveexec_b64 s[38:39], vcc
	s_cbranch_execz .LBB6_11096
; %bb.11095:                            ;   in Loop: Header=BB6_10813 Depth=3
	v_and_b32_e32 v1, 7, v2
	v_lshrrev_b32_e32 v52, 3, v31
	v_cmp_gt_u32_e32 vcc, 8, v31
	v_ffbh_u32_e32 v31, v1
	v_min_u32_e32 v31, 32, v31
	v_subrev_u32_e32 v54, 28, v31
	v_lshlrev_b64 v[54:55], v54, v[2:3]
	v_sub_u32_e32 v31, 29, v31
	v_and_b32_e32 v54, 7, v54
	v_cndmask_b32_e32 v31, v52, v31, vcc
	v_cndmask_b32_e32 v1, v1, v54, vcc
	v_lshlrev_b32_e32 v2, 24, v2
	v_bfrev_b32_e32 v52, 60
	v_lshlrev_b32_e32 v1, 20, v1
	v_and_b32_e32 v2, 0x80000000, v2
	v_lshl_add_u32 v31, v31, 23, v52
	v_or3_b32 v1, v2, v31, v1
.LBB6_11096:                            ;   in Loop: Header=BB6_10813 Depth=3
	s_or_b64 exec, exec, s[38:39]
.LBB6_11097:                            ;   in Loop: Header=BB6_10813 Depth=3
	s_or_b64 exec, exec, s[28:29]
.LBB6_11098:                            ;   in Loop: Header=BB6_10813 Depth=3
	s_or_b64 exec, exec, s[40:41]
	v_cmp_ne_u16_sdwa s[40:41], v0, v53 src0_sel:BYTE_0 src1_sel:DWORD
	s_and_saveexec_b64 s[28:29], s[40:41]
	s_cbranch_execz .LBB6_11104
; %bb.11099:                            ;   in Loop: Header=BB6_10813 Depth=3
	v_cmp_ne_u16_sdwa vcc, v0, s82 src0_sel:BYTE_0 src1_sel:DWORD
	v_bfrev_b32_e32 v3, 1
	s_and_saveexec_b64 s[40:41], vcc
	s_cbranch_execz .LBB6_11103
; %bb.11100:                            ;   in Loop: Header=BB6_10813 Depth=3
	v_bfe_u32 v2, v37, 16, 7
	v_cmp_ne_u32_e32 vcc, s83, v2
	v_mov_b32_e32 v3, 0x7f800001
	s_and_saveexec_b64 s[38:39], vcc
	s_cbranch_execz .LBB6_11102
; %bb.11101:                            ;   in Loop: Header=BB6_10813 Depth=3
	v_and_b32_e32 v31, 7, v0
	v_lshrrev_b32_e32 v52, 3, v2
	v_cmp_gt_u32_e32 vcc, 8, v2
	v_ffbh_u32_e32 v2, v31
	v_min_u32_e32 v54, 32, v2
	v_subrev_u32_e32 v2, 28, v54
	v_lshlrev_b64 v[2:3], v2, v[0:1]
	v_sub_u32_e32 v3, 29, v54
	v_and_b32_e32 v2, 7, v2
	v_cndmask_b32_e32 v3, v52, v3, vcc
	v_cndmask_b32_e32 v2, v31, v2, vcc
	v_lshlrev_b32_e32 v0, 24, v0
	v_bfrev_b32_e32 v31, 60
	v_lshlrev_b32_e32 v2, 20, v2
	v_and_b32_e32 v0, 0x80000000, v0
	v_lshl_add_u32 v3, v3, 23, v31
	v_or3_b32 v3, v0, v3, v2
.LBB6_11102:                            ;   in Loop: Header=BB6_10813 Depth=3
	s_or_b64 exec, exec, s[38:39]
.LBB6_11103:                            ;   in Loop: Header=BB6_10813 Depth=3
	s_or_b64 exec, exec, s[40:41]
.LBB6_11104:                            ;   in Loop: Header=BB6_10813 Depth=3
	s_or_b64 exec, exec, s[28:29]
	v_max_f32_e32 v0, v3, v3
	v_max_f32_e32 v1, v1, v1
	v_min_f32_e32 v1, v1, v0
.LBB6_11105:                            ;   in Loop: Header=BB6_10813 Depth=3
	v_and_b32_e32 v52, 0x7f800000, v1
	v_cmp_ne_u64_e32 vcc, s[76:77], v[52:53]
                                        ; implicit-def: $vgpr44
	s_and_saveexec_b64 s[28:29], vcc
	s_xor_b64 s[40:41], exec, s[28:29]
	s_cbranch_execz .LBB6_11119
; %bb.11106:                            ;   in Loop: Header=BB6_10813 Depth=3
	v_and_b32_e32 v52, 0x7fffffff, v1
	v_cmp_gt_u64_e32 vcc, s[78:79], v[52:53]
	v_and_b32_sdwa v3, v1, s82 dst_sel:DWORD dst_unused:UNUSED_PAD src0_sel:BYTE_3 src1_sel:DWORD
                                        ; implicit-def: $vgpr44
	s_and_saveexec_b64 s[28:29], vcc
	s_xor_b64 s[38:39], exec, s[28:29]
	s_cbranch_execz .LBB6_11116
; %bb.11107:                            ;   in Loop: Header=BB6_10813 Depth=3
	v_mov_b32_e32 v44, 0
	v_cmp_ne_u32_e32 vcc, 0, v1
	s_and_saveexec_b64 s[48:49], vcc
	s_cbranch_execz .LBB6_11115
; %bb.11108:                            ;   in Loop: Header=BB6_10813 Depth=3
	v_bfe_u32 v31, v1, 23, 8
	v_and_b32_e32 v0, 0x7fffff, v1
	v_cmp_gt_u32_e64 s[28:29], s85, v31
	v_sub_u32_e32 v1, 0x79, v31
	v_cmp_eq_u32_e32 vcc, 0, v31
	v_cndmask_b32_e64 v1, 0, v1, s[28:29]
	v_mov_b32_e32 v52, 0x78
	v_or_b32_e32 v2, 0x800000, v0
	v_cndmask_b32_e32 v54, v1, v52, vcc
	v_cndmask_b32_e32 v52, v2, v0, vcc
	v_add_u32_e32 v0, 20, v54
	v_lshlrev_b64 v[0:1], v0, -1
	v_add_u32_e32 v2, 19, v54
	v_lshlrev_b64 v[40:41], v2, 1
	v_bfi_b32 v1, v1, 0, 0
	v_bfi_b32 v0, v0, 0, v52
	v_cmp_eq_u64_e64 s[28:29], v[0:1], v[40:41]
	v_lshrrev_b64 v[0:1], v54, v[52:53]
	v_mov_b32_e32 v2, v1
	v_mov_b32_e32 v1, v0
	s_and_saveexec_b64 s[50:51], s[28:29]
; %bb.11109:                            ;   in Loop: Header=BB6_10813 Depth=3
	v_bfe_u32 v1, v0, 20, 1
	v_add_co_u32_e64 v1, s[28:29], v0, v1
	v_add_co_u32_e64 v1, s[28:29], -1, v1
; %bb.11110:                            ;   in Loop: Header=BB6_10813 Depth=3
	s_or_b64 exec, exec, s[50:51]
	v_add_u32_e32 v2, 0xffffff81, v31
	v_mov_b32_e32 v31, 0xffffff82
	v_cndmask_b32_e32 v2, v2, v31, vcc
	v_lshrrev_b32_e32 v31, 23, v0
	v_add3_u32 v54, v54, v2, v31
	v_add_u32_e32 v31, 6, v54
	v_and_b32_e32 v1, 0xfffff, v1
	v_add_u32_e32 v52, v1, v0
	v_cmp_ne_u32_e32 vcc, 0, v31
                                        ; implicit-def: $vgpr0_vgpr1
                                        ; implicit-def: $vgpr2
	s_and_saveexec_b64 s[28:29], vcc
	s_xor_b64 s[28:29], exec, s[28:29]
; %bb.11111:                            ;   in Loop: Header=BB6_10813 Depth=3
	v_cmp_lt_u64_e32 vcc, s[88:89], v[52:53]
	v_add_u32_e32 v0, 7, v54
	v_cndmask_b32_e32 v2, v31, v0, vcc
	v_cndmask_b32_e64 v0, 0, 1, vcc
	v_lshrrev_b64 v[0:1], v0, v[52:53]
; %bb.11112:                            ;   in Loop: Header=BB6_10813 Depth=3
	s_andn2_saveexec_b64 s[28:29], s[28:29]
; %bb.11113:                            ;   in Loop: Header=BB6_10813 Depth=3
	v_mov_b32_e32 v0, v52
	v_bfe_u32 v2, v52, 23, 1
	v_mov_b32_e32 v1, v53
; %bb.11114:                            ;   in Loop: Header=BB6_10813 Depth=3
	s_or_b64 exec, exec, s[28:29]
	v_lshrrev_b64 v[0:1], 20, v[0:1]
	v_cmp_gt_i32_e32 vcc, 16, v2
	v_cndmask_b32_e32 v1, 0, v1, vcc
	v_cndmask_b32_e32 v0, 7, v0, vcc
	v_cmp_eq_u64_e64 s[28:29], 0, v[0:1]
	v_min_i32_e32 v1, 15, v2
	v_lshlrev_b32_e32 v1, 3, v1
	v_cmp_eq_u32_e32 vcc, 0, v2
	v_and_b32_e32 v1, 0xf8, v1
	v_and_or_b32 v0, v0, 7, v1
	s_and_b64 s[28:29], vcc, s[28:29]
	v_cndmask_b32_e64 v0, v0, 0, s[28:29]
	v_or_b32_e32 v44, v0, v3
.LBB6_11115:                            ;   in Loop: Header=BB6_10813 Depth=3
	s_or_b64 exec, exec, s[48:49]
                                        ; implicit-def: $vgpr3
.LBB6_11116:                            ;   in Loop: Header=BB6_10813 Depth=3
	s_andn2_saveexec_b64 s[28:29], s[38:39]
; %bb.11117:                            ;   in Loop: Header=BB6_10813 Depth=3
	v_or_b32_e32 v44, 0x7e, v3
; %bb.11118:                            ;   in Loop: Header=BB6_10813 Depth=3
	s_or_b64 exec, exec, s[28:29]
                                        ; implicit-def: $vgpr1
.LBB6_11119:                            ;   in Loop: Header=BB6_10813 Depth=3
	s_andn2_saveexec_b64 s[28:29], s[40:41]
; %bb.11120:                            ;   in Loop: Header=BB6_10813 Depth=3
	v_or_b32_sdwa v44, v1, s83 dst_sel:DWORD dst_unused:UNUSED_PAD src0_sel:BYTE_3 src1_sel:DWORD
; %bb.11121:                            ;   in Loop: Header=BB6_10813 Depth=3
	s_or_b64 exec, exec, s[28:29]
	v_cmp_lt_u64_e64 s[28:29], s[62:63], v[48:49]
	v_lshrrev_b32_e32 v2, 24, v49
	v_lshrrev_b32_e32 v0, 24, v37
	s_mov_b64 s[40:41], -1
	s_and_b64 vcc, exec, s[46:47]
                                        ; implicit-def: $vgpr1
	s_cbranch_vccz .LBB6_11135
; %bb.11122:                            ;   in Loop: Header=BB6_10813 Depth=3
	v_mov_b32_e32 v3, 0
	v_mov_b32_e32 v1, 0
	s_and_saveexec_b64 s[40:41], s[28:29]
	s_cbranch_execz .LBB6_11128
; %bb.11123:                            ;   in Loop: Header=BB6_10813 Depth=3
	v_cmp_ne_u32_e32 vcc, s82, v2
	v_bfrev_b32_e32 v1, 1
	s_and_saveexec_b64 s[38:39], vcc
	s_cbranch_execz .LBB6_11127
; %bb.11124:                            ;   in Loop: Header=BB6_10813 Depth=3
	v_bfe_u32 v31, v49, 24, 7
	v_cmp_ne_u32_e32 vcc, s83, v31
	v_mov_b32_e32 v1, 0x7f800001
	s_and_saveexec_b64 s[48:49], vcc
	s_cbranch_execz .LBB6_11126
; %bb.11125:                            ;   in Loop: Header=BB6_10813 Depth=3
	v_and_b32_e32 v1, 7, v2
	v_lshrrev_b32_e32 v48, 3, v31
	v_cmp_gt_u32_e32 vcc, 8, v31
	v_ffbh_u32_e32 v31, v1
	v_min_u32_e32 v31, 32, v31
	v_subrev_u32_e32 v52, 28, v31
	v_lshlrev_b64 v[54:55], v52, v[2:3]
	v_sub_u32_e32 v31, 29, v31
	v_and_b32_e32 v52, 7, v54
	v_cndmask_b32_e32 v31, v48, v31, vcc
	v_cndmask_b32_e32 v1, v1, v52, vcc
	v_lshlrev_b32_e32 v48, 24, v2
	v_bfrev_b32_e32 v52, 60
	v_lshlrev_b32_e32 v1, 20, v1
	v_and_b32_e32 v48, 0x80000000, v48
	v_lshl_add_u32 v31, v31, 23, v52
	v_or3_b32 v1, v48, v31, v1
.LBB6_11126:                            ;   in Loop: Header=BB6_10813 Depth=3
	s_or_b64 exec, exec, s[48:49]
.LBB6_11127:                            ;   in Loop: Header=BB6_10813 Depth=3
	s_or_b64 exec, exec, s[38:39]
.LBB6_11128:                            ;   in Loop: Header=BB6_10813 Depth=3
	s_or_b64 exec, exec, s[40:41]
	v_cmp_lt_u64_e32 vcc, s[62:63], v[36:37]
	s_and_saveexec_b64 s[40:41], vcc
	s_cbranch_execz .LBB6_11134
; %bb.11129:                            ;   in Loop: Header=BB6_10813 Depth=3
	v_cmp_ne_u32_e32 vcc, s82, v0
	v_bfrev_b32_e32 v3, 1
	s_and_saveexec_b64 s[38:39], vcc
	s_cbranch_execz .LBB6_11133
; %bb.11130:                            ;   in Loop: Header=BB6_10813 Depth=3
	v_bfe_u32 v31, v37, 24, 7
	v_cmp_ne_u32_e32 vcc, s83, v31
	v_mov_b32_e32 v3, 0x7f800001
	s_and_saveexec_b64 s[48:49], vcc
	s_cbranch_execz .LBB6_11132
; %bb.11131:                            ;   in Loop: Header=BB6_10813 Depth=3
	v_and_b32_e32 v3, 7, v0
	v_lshrrev_b32_e32 v48, 3, v31
	v_cmp_gt_u32_e32 vcc, 8, v31
	v_ffbh_u32_e32 v31, v3
	v_min_u32_e32 v31, 32, v31
	v_subrev_u32_e32 v52, 28, v31
	v_lshlrev_b64 v[54:55], v52, v[0:1]
	v_sub_u32_e32 v31, 29, v31
	v_and_b32_e32 v52, 7, v54
	v_cndmask_b32_e32 v31, v48, v31, vcc
	v_cndmask_b32_e32 v3, v3, v52, vcc
	v_lshlrev_b32_e32 v48, 24, v0
	v_bfrev_b32_e32 v52, 60
	v_lshlrev_b32_e32 v3, 20, v3
	v_and_b32_e32 v48, 0x80000000, v48
	v_lshl_add_u32 v31, v31, 23, v52
	v_or3_b32 v3, v48, v31, v3
.LBB6_11132:                            ;   in Loop: Header=BB6_10813 Depth=3
	s_or_b64 exec, exec, s[48:49]
.LBB6_11133:                            ;   in Loop: Header=BB6_10813 Depth=3
	s_or_b64 exec, exec, s[38:39]
.LBB6_11134:                            ;   in Loop: Header=BB6_10813 Depth=3
	s_or_b64 exec, exec, s[40:41]
	v_max_f32_e32 v3, v3, v3
	v_max_f32_e32 v1, v1, v1
	v_max_f32_e32 v1, v1, v3
	s_mov_b64 s[40:41], 0
.LBB6_11135:                            ;   in Loop: Header=BB6_10813 Depth=3
	s_and_b64 vcc, exec, s[40:41]
	s_cbranch_vccz .LBB6_11149
; %bb.11136:                            ;   in Loop: Header=BB6_10813 Depth=3
	v_mov_b32_e32 v3, 0
	v_mov_b32_e32 v1, 0
	s_and_saveexec_b64 s[40:41], s[28:29]
	s_cbranch_execz .LBB6_11142
; %bb.11137:                            ;   in Loop: Header=BB6_10813 Depth=3
	v_cmp_ne_u32_e32 vcc, s82, v2
	v_bfrev_b32_e32 v1, 1
	s_and_saveexec_b64 s[28:29], vcc
	s_cbranch_execz .LBB6_11141
; %bb.11138:                            ;   in Loop: Header=BB6_10813 Depth=3
	v_bfe_u32 v31, v49, 24, 7
	v_cmp_ne_u32_e32 vcc, s83, v31
	v_mov_b32_e32 v1, 0x7f800001
	s_and_saveexec_b64 s[38:39], vcc
	s_cbranch_execz .LBB6_11140
; %bb.11139:                            ;   in Loop: Header=BB6_10813 Depth=3
	v_and_b32_e32 v1, 7, v2
	v_lshrrev_b32_e32 v52, 3, v31
	v_cmp_gt_u32_e32 vcc, 8, v31
	v_ffbh_u32_e32 v31, v1
	v_min_u32_e32 v31, 32, v31
	v_subrev_u32_e32 v48, 28, v31
	v_lshlrev_b64 v[48:49], v48, v[2:3]
	v_sub_u32_e32 v31, 29, v31
	v_and_b32_e32 v48, 7, v48
	v_cndmask_b32_e32 v31, v52, v31, vcc
	v_cndmask_b32_e32 v1, v1, v48, vcc
	v_lshlrev_b32_e32 v2, 24, v2
	v_bfrev_b32_e32 v48, 60
	v_lshlrev_b32_e32 v1, 20, v1
	v_and_b32_e32 v2, 0x80000000, v2
	v_lshl_add_u32 v31, v31, 23, v48
	v_or3_b32 v1, v2, v31, v1
.LBB6_11140:                            ;   in Loop: Header=BB6_10813 Depth=3
	s_or_b64 exec, exec, s[38:39]
.LBB6_11141:                            ;   in Loop: Header=BB6_10813 Depth=3
	s_or_b64 exec, exec, s[28:29]
.LBB6_11142:                            ;   in Loop: Header=BB6_10813 Depth=3
	s_or_b64 exec, exec, s[40:41]
	v_cmp_lt_u64_e32 vcc, s[62:63], v[36:37]
	s_and_saveexec_b64 s[28:29], vcc
	s_cbranch_execz .LBB6_11148
; %bb.11143:                            ;   in Loop: Header=BB6_10813 Depth=3
	v_cmp_ne_u32_e32 vcc, s82, v0
	v_bfrev_b32_e32 v3, 1
	s_and_saveexec_b64 s[40:41], vcc
	s_cbranch_execz .LBB6_11147
; %bb.11144:                            ;   in Loop: Header=BB6_10813 Depth=3
	v_bfe_u32 v2, v37, 24, 7
	v_cmp_ne_u32_e32 vcc, s83, v2
	v_mov_b32_e32 v3, 0x7f800001
	s_and_saveexec_b64 s[38:39], vcc
	s_cbranch_execz .LBB6_11146
; %bb.11145:                            ;   in Loop: Header=BB6_10813 Depth=3
	v_and_b32_e32 v31, 7, v0
	v_lshrrev_b32_e32 v36, 3, v2
	v_cmp_gt_u32_e32 vcc, 8, v2
	v_ffbh_u32_e32 v2, v31
	v_min_u32_e32 v37, 32, v2
	v_subrev_u32_e32 v2, 28, v37
	v_lshlrev_b64 v[2:3], v2, v[0:1]
	v_sub_u32_e32 v3, 29, v37
	v_and_b32_e32 v2, 7, v2
	v_cndmask_b32_e32 v3, v36, v3, vcc
	v_cndmask_b32_e32 v2, v31, v2, vcc
	v_lshlrev_b32_e32 v0, 24, v0
	v_bfrev_b32_e32 v31, 60
	v_lshlrev_b32_e32 v2, 20, v2
	v_and_b32_e32 v0, 0x80000000, v0
	v_lshl_add_u32 v3, v3, 23, v31
	v_or3_b32 v3, v0, v3, v2
.LBB6_11146:                            ;   in Loop: Header=BB6_10813 Depth=3
	s_or_b64 exec, exec, s[38:39]
.LBB6_11147:                            ;   in Loop: Header=BB6_10813 Depth=3
	s_or_b64 exec, exec, s[40:41]
.LBB6_11148:                            ;   in Loop: Header=BB6_10813 Depth=3
	s_or_b64 exec, exec, s[28:29]
	v_max_f32_e32 v0, v3, v3
	v_max_f32_e32 v1, v1, v1
	v_min_f32_e32 v1, v1, v0
.LBB6_11149:                            ;   in Loop: Header=BB6_10813 Depth=3
	v_and_b32_e32 v52, 0x7f800000, v1
	v_cmp_ne_u64_e32 vcc, s[76:77], v[52:53]
                                        ; implicit-def: $vgpr36
	s_and_saveexec_b64 s[28:29], vcc
	s_xor_b64 s[40:41], exec, s[28:29]
	s_cbranch_execz .LBB6_11163
; %bb.11150:                            ;   in Loop: Header=BB6_10813 Depth=3
	v_and_b32_e32 v52, 0x7fffffff, v1
	v_cmp_gt_u64_e32 vcc, s[78:79], v[52:53]
	v_and_b32_sdwa v3, v1, s82 dst_sel:DWORD dst_unused:UNUSED_PAD src0_sel:BYTE_3 src1_sel:DWORD
                                        ; implicit-def: $vgpr36
	s_and_saveexec_b64 s[28:29], vcc
	s_xor_b64 s[38:39], exec, s[28:29]
	s_cbranch_execz .LBB6_11160
; %bb.11151:                            ;   in Loop: Header=BB6_10813 Depth=3
	v_mov_b32_e32 v36, 0
	v_cmp_ne_u32_e32 vcc, 0, v1
	s_and_saveexec_b64 s[48:49], vcc
	s_cbranch_execz .LBB6_11159
; %bb.11152:                            ;   in Loop: Header=BB6_10813 Depth=3
	v_bfe_u32 v31, v1, 23, 8
	v_and_b32_e32 v0, 0x7fffff, v1
	v_cmp_gt_u32_e64 s[28:29], s85, v31
	v_sub_u32_e32 v1, 0x79, v31
	v_cmp_eq_u32_e32 vcc, 0, v31
	v_cndmask_b32_e64 v1, 0, v1, s[28:29]
	v_mov_b32_e32 v36, 0x78
	v_or_b32_e32 v2, 0x800000, v0
	v_cndmask_b32_e32 v36, v1, v36, vcc
	v_cndmask_b32_e32 v52, v2, v0, vcc
	v_add_u32_e32 v0, 20, v36
	v_lshlrev_b64 v[0:1], v0, -1
	v_add_u32_e32 v2, 19, v36
	v_lshlrev_b64 v[48:49], v2, 1
	v_bfi_b32 v1, v1, 0, 0
	v_bfi_b32 v0, v0, 0, v52
	v_cmp_eq_u64_e64 s[28:29], v[0:1], v[48:49]
	v_lshrrev_b64 v[0:1], v36, v[52:53]
	v_mov_b32_e32 v2, v1
	v_mov_b32_e32 v1, v0
	s_and_saveexec_b64 s[50:51], s[28:29]
; %bb.11153:                            ;   in Loop: Header=BB6_10813 Depth=3
	v_bfe_u32 v1, v0, 20, 1
	v_add_co_u32_e64 v1, s[28:29], v0, v1
	v_add_co_u32_e64 v1, s[28:29], -1, v1
; %bb.11154:                            ;   in Loop: Header=BB6_10813 Depth=3
	s_or_b64 exec, exec, s[50:51]
	v_add_u32_e32 v2, 0xffffff81, v31
	v_mov_b32_e32 v31, 0xffffff82
	v_cndmask_b32_e32 v2, v2, v31, vcc
	v_lshrrev_b32_e32 v31, 23, v0
	v_add3_u32 v36, v36, v2, v31
	v_add_u32_e32 v31, 6, v36
	v_and_b32_e32 v1, 0xfffff, v1
	v_add_u32_e32 v52, v1, v0
	v_cmp_ne_u32_e32 vcc, 0, v31
                                        ; implicit-def: $vgpr0_vgpr1
                                        ; implicit-def: $vgpr2
	s_and_saveexec_b64 s[28:29], vcc
	s_xor_b64 s[28:29], exec, s[28:29]
; %bb.11155:                            ;   in Loop: Header=BB6_10813 Depth=3
	v_cmp_lt_u64_e32 vcc, s[88:89], v[52:53]
	v_add_u32_e32 v0, 7, v36
	v_cndmask_b32_e32 v2, v31, v0, vcc
	v_cndmask_b32_e64 v0, 0, 1, vcc
	v_lshrrev_b64 v[0:1], v0, v[52:53]
; %bb.11156:                            ;   in Loop: Header=BB6_10813 Depth=3
	s_andn2_saveexec_b64 s[28:29], s[28:29]
; %bb.11157:                            ;   in Loop: Header=BB6_10813 Depth=3
	v_mov_b32_e32 v0, v52
	v_bfe_u32 v2, v52, 23, 1
	v_mov_b32_e32 v1, v53
; %bb.11158:                            ;   in Loop: Header=BB6_10813 Depth=3
	s_or_b64 exec, exec, s[28:29]
	v_lshrrev_b64 v[0:1], 20, v[0:1]
	v_cmp_gt_i32_e32 vcc, 16, v2
	v_cndmask_b32_e32 v1, 0, v1, vcc
	v_cndmask_b32_e32 v0, 7, v0, vcc
	v_cmp_eq_u64_e64 s[28:29], 0, v[0:1]
	v_min_i32_e32 v1, 15, v2
	v_lshlrev_b32_e32 v1, 3, v1
	v_cmp_eq_u32_e32 vcc, 0, v2
	v_and_b32_e32 v1, 0xf8, v1
	v_and_or_b32 v0, v0, 7, v1
	s_and_b64 s[28:29], vcc, s[28:29]
	v_cndmask_b32_e64 v0, v0, 0, s[28:29]
	v_or_b32_e32 v36, v0, v3
.LBB6_11159:                            ;   in Loop: Header=BB6_10813 Depth=3
	s_or_b64 exec, exec, s[48:49]
                                        ; implicit-def: $vgpr3
.LBB6_11160:                            ;   in Loop: Header=BB6_10813 Depth=3
	s_andn2_saveexec_b64 s[28:29], s[38:39]
; %bb.11161:                            ;   in Loop: Header=BB6_10813 Depth=3
	v_or_b32_e32 v36, 0x7e, v3
; %bb.11162:                            ;   in Loop: Header=BB6_10813 Depth=3
	s_or_b64 exec, exec, s[28:29]
                                        ; implicit-def: $vgpr1
.LBB6_11163:                            ;   in Loop: Header=BB6_10813 Depth=3
	s_andn2_saveexec_b64 s[28:29], s[40:41]
; %bb.11164:                            ;   in Loop: Header=BB6_10813 Depth=3
	v_or_b32_sdwa v36, v1, s83 dst_sel:DWORD dst_unused:UNUSED_PAD src0_sel:BYTE_3 src1_sel:DWORD
; %bb.11165:                            ;   in Loop: Header=BB6_10813 Depth=3
	s_or_b64 exec, exec, s[28:29]
	v_cmp_ne_u16_sdwa s[28:29], v50, v53 src0_sel:BYTE_0 src1_sel:DWORD
	s_mov_b64 s[40:41], -1
	s_and_b64 vcc, exec, s[46:47]
                                        ; implicit-def: $vgpr0
	s_cbranch_vccz .LBB6_11179
; %bb.11166:                            ;   in Loop: Header=BB6_10813 Depth=3
	v_mov_b32_e32 v1, 0
	v_mov_b32_e32 v0, 0
	s_and_saveexec_b64 s[40:41], s[28:29]
	s_cbranch_execz .LBB6_11172
; %bb.11167:                            ;   in Loop: Header=BB6_10813 Depth=3
	v_cmp_ne_u16_sdwa vcc, v50, s82 src0_sel:BYTE_0 src1_sel:DWORD
	v_bfrev_b32_e32 v0, 1
	s_and_saveexec_b64 s[38:39], vcc
	s_cbranch_execz .LBB6_11171
; %bb.11168:                            ;   in Loop: Header=BB6_10813 Depth=3
	v_and_b32_e32 v2, 0x7f, v50
	v_cmp_ne_u32_e32 vcc, s83, v2
	v_mov_b32_e32 v0, 0x7f800001
	s_and_saveexec_b64 s[48:49], vcc
	s_cbranch_execz .LBB6_11170
; %bb.11169:                            ;   in Loop: Header=BB6_10813 Depth=3
	v_and_b32_e32 v0, 7, v50
	v_ffbh_u32_e32 v0, v0
	v_min_u32_e32 v0, 32, v0
	v_lshrrev_b32_e32 v3, 3, v2
	v_cmp_gt_u32_e32 vcc, 8, v2
	v_subrev_u32_e32 v2, 28, v0
	v_sub_u32_e32 v0, 29, v0
	v_cndmask_b32_e32 v2, 0, v2, vcc
	v_cndmask_b32_e32 v0, v3, v0, vcc
	v_lshlrev_b64 v[2:3], v2, v[50:51]
	v_lshlrev_b32_e32 v3, 24, v50
	v_lshlrev_b32_e32 v2, 20, v2
	v_bfrev_b32_e32 v31, 60
	v_and_b32_e32 v2, 0x700000, v2
	v_and_b32_e32 v3, 0x80000000, v3
	v_lshl_add_u32 v0, v0, 23, v31
	v_or3_b32 v0, v3, v0, v2
.LBB6_11170:                            ;   in Loop: Header=BB6_10813 Depth=3
	s_or_b64 exec, exec, s[48:49]
.LBB6_11171:                            ;   in Loop: Header=BB6_10813 Depth=3
	s_or_b64 exec, exec, s[38:39]
.LBB6_11172:                            ;   in Loop: Header=BB6_10813 Depth=3
	s_or_b64 exec, exec, s[40:41]
	v_cmp_ne_u16_sdwa vcc, v38, v53 src0_sel:BYTE_0 src1_sel:DWORD
	s_and_saveexec_b64 s[40:41], vcc
	s_cbranch_execz .LBB6_11178
; %bb.11173:                            ;   in Loop: Header=BB6_10813 Depth=3
	v_cmp_ne_u16_sdwa vcc, v38, s82 src0_sel:BYTE_0 src1_sel:DWORD
	v_bfrev_b32_e32 v1, 1
	s_and_saveexec_b64 s[38:39], vcc
	s_cbranch_execz .LBB6_11177
; %bb.11174:                            ;   in Loop: Header=BB6_10813 Depth=3
	v_and_b32_e32 v2, 0x7f, v38
	v_cmp_ne_u32_e32 vcc, s83, v2
	v_mov_b32_e32 v1, 0x7f800001
	s_and_saveexec_b64 s[48:49], vcc
	s_cbranch_execz .LBB6_11176
; %bb.11175:                            ;   in Loop: Header=BB6_10813 Depth=3
	v_and_b32_e32 v1, 7, v38
	v_ffbh_u32_e32 v1, v1
	v_min_u32_e32 v1, 32, v1
	v_lshrrev_b32_e32 v3, 3, v2
	v_cmp_gt_u32_e32 vcc, 8, v2
	v_subrev_u32_e32 v2, 28, v1
	v_sub_u32_e32 v1, 29, v1
	v_cndmask_b32_e32 v3, v3, v1, vcc
	v_cndmask_b32_e32 v1, 0, v2, vcc
	v_lshlrev_b64 v[1:2], v1, v[38:39]
	v_lshlrev_b32_e32 v2, 24, v38
	v_lshlrev_b32_e32 v1, 20, v1
	v_bfrev_b32_e32 v31, 60
	v_and_b32_e32 v1, 0x700000, v1
	v_and_b32_e32 v2, 0x80000000, v2
	v_lshl_add_u32 v3, v3, 23, v31
	v_or3_b32 v1, v2, v3, v1
.LBB6_11176:                            ;   in Loop: Header=BB6_10813 Depth=3
	s_or_b64 exec, exec, s[48:49]
.LBB6_11177:                            ;   in Loop: Header=BB6_10813 Depth=3
	s_or_b64 exec, exec, s[38:39]
.LBB6_11178:                            ;   in Loop: Header=BB6_10813 Depth=3
	s_or_b64 exec, exec, s[40:41]
	v_max_f32_e32 v1, v1, v1
	v_max_f32_e32 v0, v0, v0
	;; [unrolled: 1-line block ×3, first 2 shown]
	s_mov_b64 s[40:41], 0
.LBB6_11179:                            ;   in Loop: Header=BB6_10813 Depth=3
	s_and_b64 vcc, exec, s[40:41]
	s_cbranch_vccz .LBB6_11193
; %bb.11180:                            ;   in Loop: Header=BB6_10813 Depth=3
	v_mov_b32_e32 v1, 0
	v_mov_b32_e32 v0, 0
	s_and_saveexec_b64 s[40:41], s[28:29]
	s_cbranch_execz .LBB6_11186
; %bb.11181:                            ;   in Loop: Header=BB6_10813 Depth=3
	v_cmp_ne_u16_sdwa vcc, v50, s82 src0_sel:BYTE_0 src1_sel:DWORD
	v_bfrev_b32_e32 v0, 1
	s_and_saveexec_b64 s[28:29], vcc
	s_cbranch_execz .LBB6_11185
; %bb.11182:                            ;   in Loop: Header=BB6_10813 Depth=3
	v_and_b32_e32 v2, 0x7f, v50
	v_cmp_ne_u32_e32 vcc, s83, v2
	v_mov_b32_e32 v0, 0x7f800001
	s_and_saveexec_b64 s[38:39], vcc
	s_cbranch_execz .LBB6_11184
; %bb.11183:                            ;   in Loop: Header=BB6_10813 Depth=3
	v_and_b32_e32 v0, 7, v50
	v_ffbh_u32_e32 v0, v0
	v_min_u32_e32 v0, 32, v0
	v_lshrrev_b32_e32 v3, 3, v2
	v_cmp_gt_u32_e32 vcc, 8, v2
	v_subrev_u32_e32 v2, 28, v0
	v_sub_u32_e32 v0, 29, v0
	v_cndmask_b32_e32 v2, 0, v2, vcc
	v_cndmask_b32_e32 v0, v3, v0, vcc
	v_lshlrev_b64 v[2:3], v2, v[50:51]
	v_lshlrev_b32_e32 v3, 24, v50
	v_lshlrev_b32_e32 v2, 20, v2
	v_bfrev_b32_e32 v31, 60
	v_and_b32_e32 v2, 0x700000, v2
	v_and_b32_e32 v3, 0x80000000, v3
	v_lshl_add_u32 v0, v0, 23, v31
	v_or3_b32 v0, v3, v0, v2
.LBB6_11184:                            ;   in Loop: Header=BB6_10813 Depth=3
	s_or_b64 exec, exec, s[38:39]
.LBB6_11185:                            ;   in Loop: Header=BB6_10813 Depth=3
	s_or_b64 exec, exec, s[28:29]
.LBB6_11186:                            ;   in Loop: Header=BB6_10813 Depth=3
	s_or_b64 exec, exec, s[40:41]
	v_cmp_ne_u16_sdwa s[40:41], v38, v53 src0_sel:BYTE_0 src1_sel:DWORD
	s_and_saveexec_b64 s[28:29], s[40:41]
	s_cbranch_execz .LBB6_11192
; %bb.11187:                            ;   in Loop: Header=BB6_10813 Depth=3
	v_cmp_ne_u16_sdwa vcc, v38, s82 src0_sel:BYTE_0 src1_sel:DWORD
	v_bfrev_b32_e32 v1, 1
	s_and_saveexec_b64 s[40:41], vcc
	s_cbranch_execz .LBB6_11191
; %bb.11188:                            ;   in Loop: Header=BB6_10813 Depth=3
	v_and_b32_e32 v2, 0x7f, v38
	v_cmp_ne_u32_e32 vcc, s83, v2
	v_mov_b32_e32 v1, 0x7f800001
	s_and_saveexec_b64 s[38:39], vcc
	s_cbranch_execz .LBB6_11190
; %bb.11189:                            ;   in Loop: Header=BB6_10813 Depth=3
	v_and_b32_e32 v1, 7, v38
	v_ffbh_u32_e32 v1, v1
	v_min_u32_e32 v1, 32, v1
	v_lshrrev_b32_e32 v3, 3, v2
	v_cmp_gt_u32_e32 vcc, 8, v2
	v_subrev_u32_e32 v2, 28, v1
	v_sub_u32_e32 v1, 29, v1
	v_cndmask_b32_e32 v3, v3, v1, vcc
	v_cndmask_b32_e32 v1, 0, v2, vcc
	v_lshlrev_b64 v[1:2], v1, v[38:39]
	v_lshlrev_b32_e32 v2, 24, v38
	v_lshlrev_b32_e32 v1, 20, v1
	v_bfrev_b32_e32 v31, 60
	v_and_b32_e32 v1, 0x700000, v1
	v_and_b32_e32 v2, 0x80000000, v2
	v_lshl_add_u32 v3, v3, 23, v31
	v_or3_b32 v1, v2, v3, v1
.LBB6_11190:                            ;   in Loop: Header=BB6_10813 Depth=3
	s_or_b64 exec, exec, s[38:39]
.LBB6_11191:                            ;   in Loop: Header=BB6_10813 Depth=3
	s_or_b64 exec, exec, s[40:41]
.LBB6_11192:                            ;   in Loop: Header=BB6_10813 Depth=3
	s_or_b64 exec, exec, s[28:29]
	v_max_f32_e32 v1, v1, v1
	v_max_f32_e32 v0, v0, v0
	v_min_f32_e32 v0, v0, v1
.LBB6_11193:                            ;   in Loop: Header=BB6_10813 Depth=3
	v_and_b32_e32 v52, 0x7f800000, v0
	v_cmp_ne_u64_e32 vcc, s[76:77], v[52:53]
	buffer_store_dword v36, off, s[0:3], s33 offset:108 ; 4-byte Folded Spill
                                        ; implicit-def: $vgpr49
	s_and_saveexec_b64 s[28:29], vcc
	s_xor_b64 s[40:41], exec, s[28:29]
	s_cbranch_execz .LBB6_11207
; %bb.11194:                            ;   in Loop: Header=BB6_10813 Depth=3
	v_and_b32_e32 v52, 0x7fffffff, v0
	v_cmp_gt_u64_e32 vcc, s[78:79], v[52:53]
	v_and_b32_sdwa v3, v0, s82 dst_sel:DWORD dst_unused:UNUSED_PAD src0_sel:BYTE_3 src1_sel:DWORD
                                        ; implicit-def: $vgpr49
	s_and_saveexec_b64 s[28:29], vcc
	s_xor_b64 s[38:39], exec, s[28:29]
	s_cbranch_execz .LBB6_11204
; %bb.11195:                            ;   in Loop: Header=BB6_10813 Depth=3
	v_mov_b32_e32 v49, 0
	v_cmp_ne_u32_e32 vcc, 0, v0
	s_and_saveexec_b64 s[48:49], vcc
	s_cbranch_execz .LBB6_11203
; %bb.11196:                            ;   in Loop: Header=BB6_10813 Depth=3
	v_bfe_u32 v31, v0, 23, 8
	v_and_b32_e32 v1, 0x7fffff, v0
	v_cmp_gt_u32_e64 s[28:29], s85, v31
	v_sub_u32_e32 v0, 0x79, v31
	v_cmp_eq_u32_e32 vcc, 0, v31
	v_cndmask_b32_e64 v0, 0, v0, s[28:29]
	v_mov_b32_e32 v36, 0x78
	v_cndmask_b32_e32 v36, v0, v36, vcc
	v_or_b32_e32 v2, 0x800000, v1
	v_add_u32_e32 v0, 20, v36
	v_cndmask_b32_e32 v52, v2, v1, vcc
	v_lshlrev_b64 v[0:1], v0, -1
	v_add_u32_e32 v2, 19, v36
	v_lshlrev_b64 v[48:49], v2, 1
	v_bfi_b32 v1, v1, 0, 0
	v_bfi_b32 v0, v0, 0, v52
	v_cmp_eq_u64_e64 s[28:29], v[0:1], v[48:49]
	v_lshrrev_b64 v[0:1], v36, v[52:53]
	v_mov_b32_e32 v2, v1
	v_mov_b32_e32 v1, v0
	s_and_saveexec_b64 s[50:51], s[28:29]
; %bb.11197:                            ;   in Loop: Header=BB6_10813 Depth=3
	v_bfe_u32 v1, v0, 20, 1
	v_add_co_u32_e64 v1, s[28:29], v0, v1
	v_add_co_u32_e64 v1, s[28:29], -1, v1
; %bb.11198:                            ;   in Loop: Header=BB6_10813 Depth=3
	s_or_b64 exec, exec, s[50:51]
	v_add_u32_e32 v2, 0xffffff81, v31
	v_mov_b32_e32 v31, 0xffffff82
	v_cndmask_b32_e32 v2, v2, v31, vcc
	v_lshrrev_b32_e32 v31, 23, v0
	v_add3_u32 v36, v36, v2, v31
	v_add_u32_e32 v31, 6, v36
	v_and_b32_e32 v1, 0xfffff, v1
	v_add_u32_e32 v52, v1, v0
	v_cmp_ne_u32_e32 vcc, 0, v31
                                        ; implicit-def: $vgpr0_vgpr1
                                        ; implicit-def: $vgpr2
	s_and_saveexec_b64 s[28:29], vcc
	s_xor_b64 s[28:29], exec, s[28:29]
; %bb.11199:                            ;   in Loop: Header=BB6_10813 Depth=3
	v_cmp_lt_u64_e32 vcc, s[88:89], v[52:53]
	v_add_u32_e32 v0, 7, v36
	v_cndmask_b32_e32 v2, v31, v0, vcc
	v_cndmask_b32_e64 v0, 0, 1, vcc
	v_lshrrev_b64 v[0:1], v0, v[52:53]
; %bb.11200:                            ;   in Loop: Header=BB6_10813 Depth=3
	s_andn2_saveexec_b64 s[28:29], s[28:29]
; %bb.11201:                            ;   in Loop: Header=BB6_10813 Depth=3
	v_mov_b32_e32 v0, v52
	v_bfe_u32 v2, v52, 23, 1
	v_mov_b32_e32 v1, v53
; %bb.11202:                            ;   in Loop: Header=BB6_10813 Depth=3
	s_or_b64 exec, exec, s[28:29]
	v_lshrrev_b64 v[0:1], 20, v[0:1]
	v_cmp_gt_i32_e32 vcc, 16, v2
	v_cndmask_b32_e32 v1, 0, v1, vcc
	v_cndmask_b32_e32 v0, 7, v0, vcc
	v_cmp_eq_u64_e64 s[28:29], 0, v[0:1]
	v_min_i32_e32 v1, 15, v2
	v_lshlrev_b32_e32 v1, 3, v1
	v_cmp_eq_u32_e32 vcc, 0, v2
	v_and_b32_e32 v1, 0xf8, v1
	v_and_or_b32 v0, v0, 7, v1
	s_and_b64 s[28:29], vcc, s[28:29]
	v_cndmask_b32_e64 v0, v0, 0, s[28:29]
	v_or_b32_e32 v49, v0, v3
.LBB6_11203:                            ;   in Loop: Header=BB6_10813 Depth=3
	s_or_b64 exec, exec, s[48:49]
                                        ; implicit-def: $vgpr3
.LBB6_11204:                            ;   in Loop: Header=BB6_10813 Depth=3
	s_andn2_saveexec_b64 s[28:29], s[38:39]
; %bb.11205:                            ;   in Loop: Header=BB6_10813 Depth=3
	v_or_b32_e32 v49, 0x7e, v3
; %bb.11206:                            ;   in Loop: Header=BB6_10813 Depth=3
	s_or_b64 exec, exec, s[28:29]
                                        ; implicit-def: $vgpr0
.LBB6_11207:                            ;   in Loop: Header=BB6_10813 Depth=3
	s_andn2_saveexec_b64 s[28:29], s[40:41]
; %bb.11208:                            ;   in Loop: Header=BB6_10813 Depth=3
	v_or_b32_sdwa v49, v0, s83 dst_sel:DWORD dst_unused:UNUSED_PAD src0_sel:BYTE_3 src1_sel:DWORD
; %bb.11209:                            ;   in Loop: Header=BB6_10813 Depth=3
	s_or_b64 exec, exec, s[28:29]
	v_lshrrev_b16_e32 v2, 8, v50
	v_lshrrev_b16_e32 v0, 8, v38
	v_cmp_ne_u16_e64 s[28:29], 0, v2
	s_mov_b64 s[40:41], -1
	s_and_b64 vcc, exec, s[46:47]
                                        ; implicit-def: $vgpr1
	s_cbranch_vccz .LBB6_11223
; %bb.11210:                            ;   in Loop: Header=BB6_10813 Depth=3
	v_mov_b32_e32 v3, 0
	v_mov_b32_e32 v1, 0
	s_and_saveexec_b64 s[40:41], s[28:29]
	s_cbranch_execz .LBB6_11216
; %bb.11211:                            ;   in Loop: Header=BB6_10813 Depth=3
	v_cmp_ne_u16_e32 vcc, s82, v2
	v_bfrev_b32_e32 v1, 1
	s_and_saveexec_b64 s[38:39], vcc
	s_cbranch_execz .LBB6_11215
; %bb.11212:                            ;   in Loop: Header=BB6_10813 Depth=3
	v_and_b32_e32 v31, 0x7f, v2
	v_cmp_ne_u32_e32 vcc, s83, v31
	v_mov_b32_e32 v1, 0x7f800001
	s_and_saveexec_b64 s[48:49], vcc
	s_cbranch_execz .LBB6_11214
; %bb.11213:                            ;   in Loop: Header=BB6_10813 Depth=3
	v_and_b32_e32 v1, 7, v2
	v_lshrrev_b32_e32 v48, 3, v31
	v_cmp_gt_u32_e32 vcc, 8, v31
	v_ffbh_u32_e32 v31, v1
	v_min_u32_e32 v31, 32, v31
	v_subrev_u32_e32 v36, 28, v31
	v_lshlrev_b64 v[36:37], v36, v[2:3]
	v_sub_u32_e32 v31, 29, v31
	v_and_b32_e32 v36, 7, v36
	v_cndmask_b32_e32 v31, v48, v31, vcc
	v_cndmask_b32_e32 v1, v1, v36, vcc
	v_lshlrev_b32_e32 v36, 16, v50
	v_bfrev_b32_e32 v37, 60
	v_lshlrev_b32_e32 v1, 20, v1
	v_and_b32_e32 v36, 0x80000000, v36
	v_lshl_add_u32 v31, v31, 23, v37
	v_or3_b32 v1, v36, v31, v1
.LBB6_11214:                            ;   in Loop: Header=BB6_10813 Depth=3
	s_or_b64 exec, exec, s[48:49]
.LBB6_11215:                            ;   in Loop: Header=BB6_10813 Depth=3
	s_or_b64 exec, exec, s[38:39]
.LBB6_11216:                            ;   in Loop: Header=BB6_10813 Depth=3
	s_or_b64 exec, exec, s[40:41]
	v_cmp_ne_u16_e32 vcc, 0, v0
	s_and_saveexec_b64 s[40:41], vcc
	s_cbranch_execz .LBB6_11222
; %bb.11217:                            ;   in Loop: Header=BB6_10813 Depth=3
	v_cmp_ne_u16_e32 vcc, s82, v0
	v_bfrev_b32_e32 v3, 1
	s_and_saveexec_b64 s[38:39], vcc
	s_cbranch_execz .LBB6_11221
; %bb.11218:                            ;   in Loop: Header=BB6_10813 Depth=3
	v_and_b32_e32 v31, 0x7f, v0
	v_cmp_ne_u32_e32 vcc, s83, v31
	v_mov_b32_e32 v3, 0x7f800001
	s_and_saveexec_b64 s[48:49], vcc
	s_cbranch_execz .LBB6_11220
; %bb.11219:                            ;   in Loop: Header=BB6_10813 Depth=3
	v_and_b32_e32 v3, 7, v0
	v_lshrrev_b32_e32 v48, 3, v31
	v_cmp_gt_u32_e32 vcc, 8, v31
	v_ffbh_u32_e32 v31, v3
	v_min_u32_e32 v31, 32, v31
	v_subrev_u32_e32 v36, 28, v31
	v_lshlrev_b64 v[36:37], v36, v[0:1]
	v_sub_u32_e32 v31, 29, v31
	v_and_b32_e32 v36, 7, v36
	v_cndmask_b32_e32 v31, v48, v31, vcc
	v_cndmask_b32_e32 v3, v3, v36, vcc
	v_lshlrev_b32_e32 v36, 16, v38
	v_bfrev_b32_e32 v37, 60
	v_lshlrev_b32_e32 v3, 20, v3
	v_and_b32_e32 v36, 0x80000000, v36
	v_lshl_add_u32 v31, v31, 23, v37
	v_or3_b32 v3, v36, v31, v3
.LBB6_11220:                            ;   in Loop: Header=BB6_10813 Depth=3
	s_or_b64 exec, exec, s[48:49]
.LBB6_11221:                            ;   in Loop: Header=BB6_10813 Depth=3
	s_or_b64 exec, exec, s[38:39]
.LBB6_11222:                            ;   in Loop: Header=BB6_10813 Depth=3
	s_or_b64 exec, exec, s[40:41]
	v_max_f32_e32 v3, v3, v3
	v_max_f32_e32 v1, v1, v1
	;; [unrolled: 1-line block ×3, first 2 shown]
	s_mov_b64 s[40:41], 0
.LBB6_11223:                            ;   in Loop: Header=BB6_10813 Depth=3
	s_and_b64 vcc, exec, s[40:41]
	s_cbranch_vccz .LBB6_11237
; %bb.11224:                            ;   in Loop: Header=BB6_10813 Depth=3
	v_mov_b32_e32 v3, 0
	v_mov_b32_e32 v1, 0
	s_and_saveexec_b64 s[40:41], s[28:29]
	s_cbranch_execz .LBB6_11230
; %bb.11225:                            ;   in Loop: Header=BB6_10813 Depth=3
	v_cmp_ne_u16_e32 vcc, s82, v2
	v_bfrev_b32_e32 v1, 1
	s_and_saveexec_b64 s[28:29], vcc
	s_cbranch_execz .LBB6_11229
; %bb.11226:                            ;   in Loop: Header=BB6_10813 Depth=3
	v_and_b32_e32 v31, 0x7f, v2
	v_cmp_ne_u32_e32 vcc, s83, v31
	v_mov_b32_e32 v1, 0x7f800001
	s_and_saveexec_b64 s[38:39], vcc
	s_cbranch_execz .LBB6_11228
; %bb.11227:                            ;   in Loop: Header=BB6_10813 Depth=3
	v_and_b32_e32 v36, 7, v2
	v_ffbh_u32_e32 v1, v36
	v_lshrrev_b32_e32 v37, 3, v31
	v_cmp_gt_u32_e32 vcc, 8, v31
	v_min_u32_e32 v31, 32, v1
	v_subrev_u32_e32 v1, 28, v31
	v_lshlrev_b64 v[1:2], v1, v[2:3]
	v_sub_u32_e32 v2, 29, v31
	v_and_b32_e32 v1, 7, v1
	v_cndmask_b32_e32 v2, v37, v2, vcc
	v_cndmask_b32_e32 v1, v36, v1, vcc
	v_lshlrev_b32_e32 v31, 16, v50
	v_bfrev_b32_e32 v36, 60
	v_lshlrev_b32_e32 v1, 20, v1
	v_and_b32_e32 v31, 0x80000000, v31
	v_lshl_add_u32 v2, v2, 23, v36
	v_or3_b32 v1, v31, v2, v1
.LBB6_11228:                            ;   in Loop: Header=BB6_10813 Depth=3
	s_or_b64 exec, exec, s[38:39]
.LBB6_11229:                            ;   in Loop: Header=BB6_10813 Depth=3
	s_or_b64 exec, exec, s[28:29]
.LBB6_11230:                            ;   in Loop: Header=BB6_10813 Depth=3
	s_or_b64 exec, exec, s[40:41]
	v_cmp_ne_u16_e32 vcc, 0, v0
	s_and_saveexec_b64 s[28:29], vcc
	s_cbranch_execz .LBB6_11236
; %bb.11231:                            ;   in Loop: Header=BB6_10813 Depth=3
	v_cmp_ne_u16_e32 vcc, s82, v0
	v_bfrev_b32_e32 v3, 1
	s_and_saveexec_b64 s[40:41], vcc
	s_cbranch_execz .LBB6_11235
; %bb.11232:                            ;   in Loop: Header=BB6_10813 Depth=3
	v_and_b32_e32 v2, 0x7f, v0
	v_cmp_ne_u32_e32 vcc, s83, v2
	v_mov_b32_e32 v3, 0x7f800001
	s_and_saveexec_b64 s[38:39], vcc
	s_cbranch_execz .LBB6_11234
; %bb.11233:                            ;   in Loop: Header=BB6_10813 Depth=3
	v_and_b32_e32 v31, 7, v0
	v_lshrrev_b32_e32 v36, 3, v2
	v_cmp_gt_u32_e32 vcc, 8, v2
	v_ffbh_u32_e32 v2, v31
	v_min_u32_e32 v37, 32, v2
	v_subrev_u32_e32 v2, 28, v37
	v_lshlrev_b64 v[2:3], v2, v[0:1]
	v_sub_u32_e32 v0, 29, v37
	v_and_b32_e32 v2, 7, v2
	v_cndmask_b32_e32 v0, v36, v0, vcc
	v_cndmask_b32_e32 v2, v31, v2, vcc
	v_lshlrev_b32_e32 v3, 16, v38
	v_bfrev_b32_e32 v31, 60
	v_lshlrev_b32_e32 v2, 20, v2
	v_and_b32_e32 v3, 0x80000000, v3
	v_lshl_add_u32 v0, v0, 23, v31
	v_or3_b32 v3, v3, v0, v2
.LBB6_11234:                            ;   in Loop: Header=BB6_10813 Depth=3
	s_or_b64 exec, exec, s[38:39]
.LBB6_11235:                            ;   in Loop: Header=BB6_10813 Depth=3
	s_or_b64 exec, exec, s[40:41]
.LBB6_11236:                            ;   in Loop: Header=BB6_10813 Depth=3
	s_or_b64 exec, exec, s[28:29]
	v_max_f32_e32 v0, v3, v3
	v_max_f32_e32 v1, v1, v1
	v_min_f32_e32 v1, v1, v0
.LBB6_11237:                            ;   in Loop: Header=BB6_10813 Depth=3
	v_and_b32_e32 v52, 0x7f800000, v1
	v_cmp_ne_u64_e32 vcc, s[76:77], v[52:53]
	buffer_store_dword v49, off, s[0:3], s33 offset:112 ; 4-byte Folded Spill
                                        ; implicit-def: $vgpr49
	s_and_saveexec_b64 s[28:29], vcc
	s_xor_b64 s[40:41], exec, s[28:29]
	s_cbranch_execz .LBB6_11251
; %bb.11238:                            ;   in Loop: Header=BB6_10813 Depth=3
	v_and_b32_e32 v52, 0x7fffffff, v1
	v_cmp_gt_u64_e32 vcc, s[78:79], v[52:53]
	v_and_b32_sdwa v3, v1, s82 dst_sel:DWORD dst_unused:UNUSED_PAD src0_sel:BYTE_3 src1_sel:DWORD
                                        ; implicit-def: $vgpr49
	s_and_saveexec_b64 s[28:29], vcc
	s_xor_b64 s[38:39], exec, s[28:29]
	s_cbranch_execz .LBB6_11248
; %bb.11239:                            ;   in Loop: Header=BB6_10813 Depth=3
	v_mov_b32_e32 v49, 0
	v_cmp_ne_u32_e32 vcc, 0, v1
	s_and_saveexec_b64 s[48:49], vcc
	s_cbranch_execz .LBB6_11247
; %bb.11240:                            ;   in Loop: Header=BB6_10813 Depth=3
	v_bfe_u32 v31, v1, 23, 8
	v_and_b32_e32 v0, 0x7fffff, v1
	v_cmp_gt_u32_e64 s[28:29], s85, v31
	v_sub_u32_e32 v1, 0x79, v31
	v_cmp_eq_u32_e32 vcc, 0, v31
	v_cndmask_b32_e64 v1, 0, v1, s[28:29]
	v_mov_b32_e32 v36, 0x78
	v_or_b32_e32 v2, 0x800000, v0
	v_cndmask_b32_e32 v36, v1, v36, vcc
	v_cndmask_b32_e32 v52, v2, v0, vcc
	v_add_u32_e32 v0, 20, v36
	v_lshlrev_b64 v[0:1], v0, -1
	v_add_u32_e32 v2, 19, v36
	v_lshlrev_b64 v[48:49], v2, 1
	v_bfi_b32 v1, v1, 0, 0
	v_bfi_b32 v0, v0, 0, v52
	v_cmp_eq_u64_e64 s[28:29], v[0:1], v[48:49]
	v_lshrrev_b64 v[0:1], v36, v[52:53]
	v_mov_b32_e32 v2, v1
	v_mov_b32_e32 v1, v0
	s_and_saveexec_b64 s[50:51], s[28:29]
; %bb.11241:                            ;   in Loop: Header=BB6_10813 Depth=3
	v_bfe_u32 v1, v0, 20, 1
	v_add_co_u32_e64 v1, s[28:29], v0, v1
	v_add_co_u32_e64 v1, s[28:29], -1, v1
; %bb.11242:                            ;   in Loop: Header=BB6_10813 Depth=3
	s_or_b64 exec, exec, s[50:51]
	v_add_u32_e32 v2, 0xffffff81, v31
	v_mov_b32_e32 v31, 0xffffff82
	v_cndmask_b32_e32 v2, v2, v31, vcc
	v_lshrrev_b32_e32 v31, 23, v0
	v_add3_u32 v36, v36, v2, v31
	v_add_u32_e32 v31, 6, v36
	v_and_b32_e32 v1, 0xfffff, v1
	v_add_u32_e32 v52, v1, v0
	v_cmp_ne_u32_e32 vcc, 0, v31
                                        ; implicit-def: $vgpr0_vgpr1
                                        ; implicit-def: $vgpr2
	s_and_saveexec_b64 s[28:29], vcc
	s_xor_b64 s[28:29], exec, s[28:29]
; %bb.11243:                            ;   in Loop: Header=BB6_10813 Depth=3
	v_cmp_lt_u64_e32 vcc, s[88:89], v[52:53]
	v_add_u32_e32 v0, 7, v36
	v_cndmask_b32_e32 v2, v31, v0, vcc
	v_cndmask_b32_e64 v0, 0, 1, vcc
	v_lshrrev_b64 v[0:1], v0, v[52:53]
; %bb.11244:                            ;   in Loop: Header=BB6_10813 Depth=3
	s_andn2_saveexec_b64 s[28:29], s[28:29]
; %bb.11245:                            ;   in Loop: Header=BB6_10813 Depth=3
	v_mov_b32_e32 v0, v52
	v_bfe_u32 v2, v52, 23, 1
	v_mov_b32_e32 v1, v53
; %bb.11246:                            ;   in Loop: Header=BB6_10813 Depth=3
	s_or_b64 exec, exec, s[28:29]
	v_lshrrev_b64 v[0:1], 20, v[0:1]
	v_cmp_gt_i32_e32 vcc, 16, v2
	v_cndmask_b32_e32 v1, 0, v1, vcc
	v_cndmask_b32_e32 v0, 7, v0, vcc
	v_cmp_eq_u64_e64 s[28:29], 0, v[0:1]
	v_min_i32_e32 v1, 15, v2
	v_lshlrev_b32_e32 v1, 3, v1
	v_cmp_eq_u32_e32 vcc, 0, v2
	v_and_b32_e32 v1, 0xf8, v1
	v_and_or_b32 v0, v0, 7, v1
	s_and_b64 s[28:29], vcc, s[28:29]
	v_cndmask_b32_e64 v0, v0, 0, s[28:29]
	v_or_b32_e32 v49, v0, v3
.LBB6_11247:                            ;   in Loop: Header=BB6_10813 Depth=3
	s_or_b64 exec, exec, s[48:49]
                                        ; implicit-def: $vgpr3
.LBB6_11248:                            ;   in Loop: Header=BB6_10813 Depth=3
	s_andn2_saveexec_b64 s[28:29], s[38:39]
; %bb.11249:                            ;   in Loop: Header=BB6_10813 Depth=3
	v_or_b32_e32 v49, 0x7e, v3
; %bb.11250:                            ;   in Loop: Header=BB6_10813 Depth=3
	s_or_b64 exec, exec, s[28:29]
                                        ; implicit-def: $vgpr1
.LBB6_11251:                            ;   in Loop: Header=BB6_10813 Depth=3
	s_andn2_saveexec_b64 s[28:29], s[40:41]
; %bb.11252:                            ;   in Loop: Header=BB6_10813 Depth=3
	v_or_b32_sdwa v49, v1, s83 dst_sel:DWORD dst_unused:UNUSED_PAD src0_sel:BYTE_3 src1_sel:DWORD
; %bb.11253:                            ;   in Loop: Header=BB6_10813 Depth=3
	s_or_b64 exec, exec, s[28:29]
	v_lshrrev_b32_e32 v2, 16, v50
	v_lshrrev_b32_e32 v0, 16, v38
	v_cmp_ne_u16_sdwa s[28:29], v2, v53 src0_sel:BYTE_0 src1_sel:DWORD
	s_mov_b64 s[40:41], -1
	s_and_b64 vcc, exec, s[46:47]
                                        ; implicit-def: $vgpr1
	s_cbranch_vccz .LBB6_11267
; %bb.11254:                            ;   in Loop: Header=BB6_10813 Depth=3
	v_mov_b32_e32 v3, 0
	v_mov_b32_e32 v1, 0
	s_and_saveexec_b64 s[40:41], s[28:29]
	s_cbranch_execz .LBB6_11260
; %bb.11255:                            ;   in Loop: Header=BB6_10813 Depth=3
	v_cmp_ne_u16_sdwa vcc, v2, s82 src0_sel:BYTE_0 src1_sel:DWORD
	v_bfrev_b32_e32 v1, 1
	s_and_saveexec_b64 s[38:39], vcc
	s_cbranch_execz .LBB6_11259
; %bb.11256:                            ;   in Loop: Header=BB6_10813 Depth=3
	v_bfe_u32 v31, v50, 16, 7
	v_cmp_ne_u32_e32 vcc, s83, v31
	v_mov_b32_e32 v1, 0x7f800001
	s_and_saveexec_b64 s[48:49], vcc
	s_cbranch_execz .LBB6_11258
; %bb.11257:                            ;   in Loop: Header=BB6_10813 Depth=3
	v_and_b32_e32 v1, 7, v2
	v_lshrrev_b32_e32 v48, 3, v31
	v_cmp_gt_u32_e32 vcc, 8, v31
	v_ffbh_u32_e32 v31, v1
	v_min_u32_e32 v31, 32, v31
	v_subrev_u32_e32 v36, 28, v31
	v_lshlrev_b64 v[36:37], v36, v[2:3]
	v_sub_u32_e32 v31, 29, v31
	v_and_b32_e32 v36, 7, v36
	v_cndmask_b32_e32 v31, v48, v31, vcc
	v_cndmask_b32_e32 v1, v1, v36, vcc
	v_lshlrev_b32_e32 v36, 24, v2
	v_bfrev_b32_e32 v37, 60
	v_lshlrev_b32_e32 v1, 20, v1
	v_and_b32_e32 v36, 0x80000000, v36
	v_lshl_add_u32 v31, v31, 23, v37
	v_or3_b32 v1, v36, v31, v1
.LBB6_11258:                            ;   in Loop: Header=BB6_10813 Depth=3
	s_or_b64 exec, exec, s[48:49]
.LBB6_11259:                            ;   in Loop: Header=BB6_10813 Depth=3
	s_or_b64 exec, exec, s[38:39]
.LBB6_11260:                            ;   in Loop: Header=BB6_10813 Depth=3
	s_or_b64 exec, exec, s[40:41]
	v_cmp_ne_u16_sdwa vcc, v0, v53 src0_sel:BYTE_0 src1_sel:DWORD
	s_and_saveexec_b64 s[40:41], vcc
	s_cbranch_execz .LBB6_11266
; %bb.11261:                            ;   in Loop: Header=BB6_10813 Depth=3
	v_cmp_ne_u16_sdwa vcc, v0, s82 src0_sel:BYTE_0 src1_sel:DWORD
	v_bfrev_b32_e32 v3, 1
	s_and_saveexec_b64 s[38:39], vcc
	s_cbranch_execz .LBB6_11265
; %bb.11262:                            ;   in Loop: Header=BB6_10813 Depth=3
	v_bfe_u32 v31, v38, 16, 7
	v_cmp_ne_u32_e32 vcc, s83, v31
	v_mov_b32_e32 v3, 0x7f800001
	s_and_saveexec_b64 s[48:49], vcc
	s_cbranch_execz .LBB6_11264
; %bb.11263:                            ;   in Loop: Header=BB6_10813 Depth=3
	v_and_b32_e32 v3, 7, v0
	v_lshrrev_b32_e32 v48, 3, v31
	v_cmp_gt_u32_e32 vcc, 8, v31
	v_ffbh_u32_e32 v31, v3
	v_min_u32_e32 v31, 32, v31
	v_subrev_u32_e32 v36, 28, v31
	v_lshlrev_b64 v[36:37], v36, v[0:1]
	v_sub_u32_e32 v31, 29, v31
	v_and_b32_e32 v36, 7, v36
	v_cndmask_b32_e32 v31, v48, v31, vcc
	v_cndmask_b32_e32 v3, v3, v36, vcc
	v_lshlrev_b32_e32 v36, 24, v0
	v_bfrev_b32_e32 v37, 60
	v_lshlrev_b32_e32 v3, 20, v3
	v_and_b32_e32 v36, 0x80000000, v36
	v_lshl_add_u32 v31, v31, 23, v37
	v_or3_b32 v3, v36, v31, v3
.LBB6_11264:                            ;   in Loop: Header=BB6_10813 Depth=3
	s_or_b64 exec, exec, s[48:49]
.LBB6_11265:                            ;   in Loop: Header=BB6_10813 Depth=3
	s_or_b64 exec, exec, s[38:39]
.LBB6_11266:                            ;   in Loop: Header=BB6_10813 Depth=3
	s_or_b64 exec, exec, s[40:41]
	v_max_f32_e32 v3, v3, v3
	v_max_f32_e32 v1, v1, v1
	;; [unrolled: 1-line block ×3, first 2 shown]
	s_mov_b64 s[40:41], 0
.LBB6_11267:                            ;   in Loop: Header=BB6_10813 Depth=3
	s_and_b64 vcc, exec, s[40:41]
	s_cbranch_vccz .LBB6_11281
; %bb.11268:                            ;   in Loop: Header=BB6_10813 Depth=3
	v_mov_b32_e32 v3, 0
	v_mov_b32_e32 v1, 0
	s_and_saveexec_b64 s[40:41], s[28:29]
	s_cbranch_execz .LBB6_11274
; %bb.11269:                            ;   in Loop: Header=BB6_10813 Depth=3
	v_cmp_ne_u16_sdwa vcc, v2, s82 src0_sel:BYTE_0 src1_sel:DWORD
	v_bfrev_b32_e32 v1, 1
	s_and_saveexec_b64 s[28:29], vcc
	s_cbranch_execz .LBB6_11273
; %bb.11270:                            ;   in Loop: Header=BB6_10813 Depth=3
	v_bfe_u32 v31, v50, 16, 7
	v_cmp_ne_u32_e32 vcc, s83, v31
	v_mov_b32_e32 v1, 0x7f800001
	s_and_saveexec_b64 s[38:39], vcc
	s_cbranch_execz .LBB6_11272
; %bb.11271:                            ;   in Loop: Header=BB6_10813 Depth=3
	v_and_b32_e32 v1, 7, v2
	v_lshrrev_b32_e32 v48, 3, v31
	v_cmp_gt_u32_e32 vcc, 8, v31
	v_ffbh_u32_e32 v31, v1
	v_min_u32_e32 v31, 32, v31
	v_subrev_u32_e32 v36, 28, v31
	v_lshlrev_b64 v[36:37], v36, v[2:3]
	v_sub_u32_e32 v31, 29, v31
	v_and_b32_e32 v36, 7, v36
	v_cndmask_b32_e32 v31, v48, v31, vcc
	v_cndmask_b32_e32 v1, v1, v36, vcc
	v_lshlrev_b32_e32 v2, 24, v2
	v_bfrev_b32_e32 v36, 60
	v_lshlrev_b32_e32 v1, 20, v1
	v_and_b32_e32 v2, 0x80000000, v2
	v_lshl_add_u32 v31, v31, 23, v36
	v_or3_b32 v1, v2, v31, v1
.LBB6_11272:                            ;   in Loop: Header=BB6_10813 Depth=3
	s_or_b64 exec, exec, s[38:39]
.LBB6_11273:                            ;   in Loop: Header=BB6_10813 Depth=3
	s_or_b64 exec, exec, s[28:29]
.LBB6_11274:                            ;   in Loop: Header=BB6_10813 Depth=3
	s_or_b64 exec, exec, s[40:41]
	v_cmp_ne_u16_sdwa s[40:41], v0, v53 src0_sel:BYTE_0 src1_sel:DWORD
	s_and_saveexec_b64 s[28:29], s[40:41]
	s_cbranch_execz .LBB6_11280
; %bb.11275:                            ;   in Loop: Header=BB6_10813 Depth=3
	v_cmp_ne_u16_sdwa vcc, v0, s82 src0_sel:BYTE_0 src1_sel:DWORD
	v_bfrev_b32_e32 v3, 1
	s_and_saveexec_b64 s[40:41], vcc
	s_cbranch_execz .LBB6_11279
; %bb.11276:                            ;   in Loop: Header=BB6_10813 Depth=3
	v_bfe_u32 v2, v38, 16, 7
	v_cmp_ne_u32_e32 vcc, s83, v2
	v_mov_b32_e32 v3, 0x7f800001
	s_and_saveexec_b64 s[38:39], vcc
	s_cbranch_execz .LBB6_11278
; %bb.11277:                            ;   in Loop: Header=BB6_10813 Depth=3
	v_and_b32_e32 v31, 7, v0
	v_lshrrev_b32_e32 v36, 3, v2
	v_cmp_gt_u32_e32 vcc, 8, v2
	v_ffbh_u32_e32 v2, v31
	v_min_u32_e32 v37, 32, v2
	v_subrev_u32_e32 v2, 28, v37
	v_lshlrev_b64 v[2:3], v2, v[0:1]
	v_sub_u32_e32 v3, 29, v37
	v_and_b32_e32 v2, 7, v2
	v_cndmask_b32_e32 v3, v36, v3, vcc
	v_cndmask_b32_e32 v2, v31, v2, vcc
	v_lshlrev_b32_e32 v0, 24, v0
	v_bfrev_b32_e32 v31, 60
	v_lshlrev_b32_e32 v2, 20, v2
	v_and_b32_e32 v0, 0x80000000, v0
	v_lshl_add_u32 v3, v3, 23, v31
	v_or3_b32 v3, v0, v3, v2
.LBB6_11278:                            ;   in Loop: Header=BB6_10813 Depth=3
	s_or_b64 exec, exec, s[38:39]
.LBB6_11279:                            ;   in Loop: Header=BB6_10813 Depth=3
	s_or_b64 exec, exec, s[40:41]
.LBB6_11280:                            ;   in Loop: Header=BB6_10813 Depth=3
	s_or_b64 exec, exec, s[28:29]
	v_max_f32_e32 v0, v3, v3
	v_max_f32_e32 v1, v1, v1
	v_min_f32_e32 v1, v1, v0
.LBB6_11281:                            ;   in Loop: Header=BB6_10813 Depth=3
	v_and_b32_e32 v52, 0x7f800000, v1
	v_cmp_ne_u64_e32 vcc, s[76:77], v[52:53]
	buffer_store_dword v49, off, s[0:3], s33 offset:116 ; 4-byte Folded Spill
                                        ; implicit-def: $vgpr49
	s_and_saveexec_b64 s[28:29], vcc
	s_xor_b64 s[40:41], exec, s[28:29]
	s_cbranch_execz .LBB6_11295
; %bb.11282:                            ;   in Loop: Header=BB6_10813 Depth=3
	v_and_b32_e32 v52, 0x7fffffff, v1
	v_cmp_gt_u64_e32 vcc, s[78:79], v[52:53]
	v_and_b32_sdwa v3, v1, s82 dst_sel:DWORD dst_unused:UNUSED_PAD src0_sel:BYTE_3 src1_sel:DWORD
                                        ; implicit-def: $vgpr49
	s_and_saveexec_b64 s[28:29], vcc
	s_xor_b64 s[38:39], exec, s[28:29]
	s_cbranch_execz .LBB6_11292
; %bb.11283:                            ;   in Loop: Header=BB6_10813 Depth=3
	v_mov_b32_e32 v49, 0
	v_cmp_ne_u32_e32 vcc, 0, v1
	s_and_saveexec_b64 s[48:49], vcc
	s_cbranch_execz .LBB6_11291
; %bb.11284:                            ;   in Loop: Header=BB6_10813 Depth=3
	v_bfe_u32 v31, v1, 23, 8
	v_and_b32_e32 v0, 0x7fffff, v1
	v_cmp_gt_u32_e64 s[28:29], s85, v31
	v_sub_u32_e32 v1, 0x79, v31
	v_cmp_eq_u32_e32 vcc, 0, v31
	v_cndmask_b32_e64 v1, 0, v1, s[28:29]
	v_mov_b32_e32 v36, 0x78
	v_or_b32_e32 v2, 0x800000, v0
	v_cndmask_b32_e32 v36, v1, v36, vcc
	v_cndmask_b32_e32 v52, v2, v0, vcc
	v_add_u32_e32 v0, 20, v36
	v_lshlrev_b64 v[0:1], v0, -1
	v_add_u32_e32 v2, 19, v36
	v_lshlrev_b64 v[48:49], v2, 1
	v_bfi_b32 v1, v1, 0, 0
	v_bfi_b32 v0, v0, 0, v52
	v_cmp_eq_u64_e64 s[28:29], v[0:1], v[48:49]
	v_lshrrev_b64 v[0:1], v36, v[52:53]
	v_mov_b32_e32 v2, v1
	v_mov_b32_e32 v1, v0
	s_and_saveexec_b64 s[50:51], s[28:29]
; %bb.11285:                            ;   in Loop: Header=BB6_10813 Depth=3
	v_bfe_u32 v1, v0, 20, 1
	v_add_co_u32_e64 v1, s[28:29], v0, v1
	v_add_co_u32_e64 v1, s[28:29], -1, v1
; %bb.11286:                            ;   in Loop: Header=BB6_10813 Depth=3
	s_or_b64 exec, exec, s[50:51]
	v_add_u32_e32 v2, 0xffffff81, v31
	v_mov_b32_e32 v31, 0xffffff82
	v_cndmask_b32_e32 v2, v2, v31, vcc
	v_lshrrev_b32_e32 v31, 23, v0
	v_add3_u32 v36, v36, v2, v31
	v_add_u32_e32 v31, 6, v36
	v_and_b32_e32 v1, 0xfffff, v1
	v_add_u32_e32 v52, v1, v0
	v_cmp_ne_u32_e32 vcc, 0, v31
                                        ; implicit-def: $vgpr0_vgpr1
                                        ; implicit-def: $vgpr2
	s_and_saveexec_b64 s[28:29], vcc
	s_xor_b64 s[28:29], exec, s[28:29]
; %bb.11287:                            ;   in Loop: Header=BB6_10813 Depth=3
	v_cmp_lt_u64_e32 vcc, s[88:89], v[52:53]
	v_add_u32_e32 v0, 7, v36
	v_cndmask_b32_e32 v2, v31, v0, vcc
	v_cndmask_b32_e64 v0, 0, 1, vcc
	v_lshrrev_b64 v[0:1], v0, v[52:53]
; %bb.11288:                            ;   in Loop: Header=BB6_10813 Depth=3
	s_andn2_saveexec_b64 s[28:29], s[28:29]
; %bb.11289:                            ;   in Loop: Header=BB6_10813 Depth=3
	v_mov_b32_e32 v0, v52
	v_bfe_u32 v2, v52, 23, 1
	v_mov_b32_e32 v1, v53
; %bb.11290:                            ;   in Loop: Header=BB6_10813 Depth=3
	s_or_b64 exec, exec, s[28:29]
	v_lshrrev_b64 v[0:1], 20, v[0:1]
	v_cmp_gt_i32_e32 vcc, 16, v2
	v_cndmask_b32_e32 v1, 0, v1, vcc
	v_cndmask_b32_e32 v0, 7, v0, vcc
	v_cmp_eq_u64_e64 s[28:29], 0, v[0:1]
	v_min_i32_e32 v1, 15, v2
	v_lshlrev_b32_e32 v1, 3, v1
	v_cmp_eq_u32_e32 vcc, 0, v2
	v_and_b32_e32 v1, 0xf8, v1
	v_and_or_b32 v0, v0, 7, v1
	s_and_b64 s[28:29], vcc, s[28:29]
	v_cndmask_b32_e64 v0, v0, 0, s[28:29]
	v_or_b32_e32 v49, v0, v3
.LBB6_11291:                            ;   in Loop: Header=BB6_10813 Depth=3
	s_or_b64 exec, exec, s[48:49]
                                        ; implicit-def: $vgpr3
.LBB6_11292:                            ;   in Loop: Header=BB6_10813 Depth=3
	s_andn2_saveexec_b64 s[28:29], s[38:39]
; %bb.11293:                            ;   in Loop: Header=BB6_10813 Depth=3
	v_or_b32_e32 v49, 0x7e, v3
; %bb.11294:                            ;   in Loop: Header=BB6_10813 Depth=3
	s_or_b64 exec, exec, s[28:29]
                                        ; implicit-def: $vgpr1
.LBB6_11295:                            ;   in Loop: Header=BB6_10813 Depth=3
	s_andn2_saveexec_b64 s[28:29], s[40:41]
; %bb.11296:                            ;   in Loop: Header=BB6_10813 Depth=3
	v_or_b32_sdwa v49, v1, s83 dst_sel:DWORD dst_unused:UNUSED_PAD src0_sel:BYTE_3 src1_sel:DWORD
; %bb.11297:                            ;   in Loop: Header=BB6_10813 Depth=3
	s_or_b64 exec, exec, s[28:29]
	v_lshrrev_b32_e32 v2, 24, v50
	v_lshrrev_b32_e32 v0, 24, v38
	v_cmp_lt_u32_e64 s[28:29], s63, v50
	s_mov_b64 s[40:41], -1
	s_and_b64 vcc, exec, s[46:47]
                                        ; implicit-def: $vgpr1
	s_cbranch_vccz .LBB6_11311
; %bb.11298:                            ;   in Loop: Header=BB6_10813 Depth=3
	v_mov_b32_e32 v3, 0
	v_mov_b32_e32 v1, 0
	s_and_saveexec_b64 s[40:41], s[28:29]
	s_cbranch_execz .LBB6_11304
; %bb.11299:                            ;   in Loop: Header=BB6_10813 Depth=3
	v_cmp_ne_u32_e32 vcc, s82, v2
	v_bfrev_b32_e32 v1, 1
	s_and_saveexec_b64 s[38:39], vcc
	s_cbranch_execz .LBB6_11303
; %bb.11300:                            ;   in Loop: Header=BB6_10813 Depth=3
	v_bfe_u32 v31, v50, 24, 7
	v_cmp_ne_u32_e32 vcc, s83, v31
	v_mov_b32_e32 v1, 0x7f800001
	s_and_saveexec_b64 s[48:49], vcc
	s_cbranch_execz .LBB6_11302
; %bb.11301:                            ;   in Loop: Header=BB6_10813 Depth=3
	v_and_b32_e32 v1, 7, v2
	v_lshrrev_b32_e32 v48, 3, v31
	v_cmp_gt_u32_e32 vcc, 8, v31
	v_ffbh_u32_e32 v31, v1
	v_min_u32_e32 v31, 32, v31
	v_subrev_u32_e32 v36, 28, v31
	v_lshlrev_b64 v[36:37], v36, v[2:3]
	v_sub_u32_e32 v31, 29, v31
	v_and_b32_e32 v36, 7, v36
	v_cndmask_b32_e32 v31, v48, v31, vcc
	v_cndmask_b32_e32 v1, v1, v36, vcc
	v_lshlrev_b32_e32 v36, 24, v2
	v_bfrev_b32_e32 v37, 60
	v_lshlrev_b32_e32 v1, 20, v1
	v_and_b32_e32 v36, 0x80000000, v36
	v_lshl_add_u32 v31, v31, 23, v37
	v_or3_b32 v1, v36, v31, v1
.LBB6_11302:                            ;   in Loop: Header=BB6_10813 Depth=3
	s_or_b64 exec, exec, s[48:49]
.LBB6_11303:                            ;   in Loop: Header=BB6_10813 Depth=3
	s_or_b64 exec, exec, s[38:39]
.LBB6_11304:                            ;   in Loop: Header=BB6_10813 Depth=3
	s_or_b64 exec, exec, s[40:41]
	v_cmp_lt_u32_e32 vcc, s63, v38
	s_and_saveexec_b64 s[40:41], vcc
	s_cbranch_execz .LBB6_11310
; %bb.11305:                            ;   in Loop: Header=BB6_10813 Depth=3
	v_cmp_ne_u32_e32 vcc, s82, v0
	v_bfrev_b32_e32 v3, 1
	s_and_saveexec_b64 s[38:39], vcc
	s_cbranch_execz .LBB6_11309
; %bb.11306:                            ;   in Loop: Header=BB6_10813 Depth=3
	v_bfe_u32 v31, v38, 24, 7
	v_cmp_ne_u32_e32 vcc, s83, v31
	v_mov_b32_e32 v3, 0x7f800001
	s_and_saveexec_b64 s[48:49], vcc
	s_cbranch_execz .LBB6_11308
; %bb.11307:                            ;   in Loop: Header=BB6_10813 Depth=3
	v_and_b32_e32 v3, 7, v0
	v_lshrrev_b32_e32 v48, 3, v31
	v_cmp_gt_u32_e32 vcc, 8, v31
	v_ffbh_u32_e32 v31, v3
	v_min_u32_e32 v31, 32, v31
	v_subrev_u32_e32 v36, 28, v31
	v_lshlrev_b64 v[36:37], v36, v[0:1]
	v_sub_u32_e32 v31, 29, v31
	v_and_b32_e32 v36, 7, v36
	v_cndmask_b32_e32 v31, v48, v31, vcc
	v_cndmask_b32_e32 v3, v3, v36, vcc
	v_lshlrev_b32_e32 v36, 24, v0
	v_bfrev_b32_e32 v37, 60
	v_lshlrev_b32_e32 v3, 20, v3
	v_and_b32_e32 v36, 0x80000000, v36
	v_lshl_add_u32 v31, v31, 23, v37
	v_or3_b32 v3, v36, v31, v3
.LBB6_11308:                            ;   in Loop: Header=BB6_10813 Depth=3
	s_or_b64 exec, exec, s[48:49]
.LBB6_11309:                            ;   in Loop: Header=BB6_10813 Depth=3
	s_or_b64 exec, exec, s[38:39]
.LBB6_11310:                            ;   in Loop: Header=BB6_10813 Depth=3
	s_or_b64 exec, exec, s[40:41]
	v_max_f32_e32 v3, v3, v3
	v_max_f32_e32 v1, v1, v1
	;; [unrolled: 1-line block ×3, first 2 shown]
	s_mov_b64 s[40:41], 0
.LBB6_11311:                            ;   in Loop: Header=BB6_10813 Depth=3
	s_and_b64 vcc, exec, s[40:41]
	s_cbranch_vccz .LBB6_11325
; %bb.11312:                            ;   in Loop: Header=BB6_10813 Depth=3
	v_mov_b32_e32 v3, 0
	v_mov_b32_e32 v1, 0
	s_and_saveexec_b64 s[40:41], s[28:29]
	s_cbranch_execz .LBB6_11318
; %bb.11313:                            ;   in Loop: Header=BB6_10813 Depth=3
	v_cmp_ne_u32_e32 vcc, s82, v2
	v_bfrev_b32_e32 v1, 1
	s_and_saveexec_b64 s[28:29], vcc
	s_cbranch_execz .LBB6_11317
; %bb.11314:                            ;   in Loop: Header=BB6_10813 Depth=3
	v_bfe_u32 v31, v50, 24, 7
	v_cmp_ne_u32_e32 vcc, s83, v31
	v_mov_b32_e32 v1, 0x7f800001
	s_and_saveexec_b64 s[38:39], vcc
	s_cbranch_execz .LBB6_11316
; %bb.11315:                            ;   in Loop: Header=BB6_10813 Depth=3
	v_and_b32_e32 v1, 7, v2
	v_lshrrev_b32_e32 v48, 3, v31
	v_cmp_gt_u32_e32 vcc, 8, v31
	v_ffbh_u32_e32 v31, v1
	v_min_u32_e32 v31, 32, v31
	v_subrev_u32_e32 v36, 28, v31
	v_lshlrev_b64 v[36:37], v36, v[2:3]
	v_sub_u32_e32 v31, 29, v31
	v_and_b32_e32 v36, 7, v36
	v_cndmask_b32_e32 v31, v48, v31, vcc
	v_cndmask_b32_e32 v1, v1, v36, vcc
	v_lshlrev_b32_e32 v2, 24, v2
	v_bfrev_b32_e32 v36, 60
	v_lshlrev_b32_e32 v1, 20, v1
	v_and_b32_e32 v2, 0x80000000, v2
	v_lshl_add_u32 v31, v31, 23, v36
	v_or3_b32 v1, v2, v31, v1
.LBB6_11316:                            ;   in Loop: Header=BB6_10813 Depth=3
	s_or_b64 exec, exec, s[38:39]
.LBB6_11317:                            ;   in Loop: Header=BB6_10813 Depth=3
	s_or_b64 exec, exec, s[28:29]
.LBB6_11318:                            ;   in Loop: Header=BB6_10813 Depth=3
	s_or_b64 exec, exec, s[40:41]
	v_cmp_lt_u32_e32 vcc, s63, v38
	s_and_saveexec_b64 s[28:29], vcc
	s_cbranch_execz .LBB6_11324
; %bb.11319:                            ;   in Loop: Header=BB6_10813 Depth=3
	v_cmp_ne_u32_e32 vcc, s82, v0
	v_bfrev_b32_e32 v3, 1
	s_and_saveexec_b64 s[40:41], vcc
	s_cbranch_execz .LBB6_11323
; %bb.11320:                            ;   in Loop: Header=BB6_10813 Depth=3
	v_bfe_u32 v2, v38, 24, 7
	v_cmp_ne_u32_e32 vcc, s83, v2
	v_mov_b32_e32 v3, 0x7f800001
	s_and_saveexec_b64 s[38:39], vcc
	s_cbranch_execz .LBB6_11322
; %bb.11321:                            ;   in Loop: Header=BB6_10813 Depth=3
	v_and_b32_e32 v31, 7, v0
	v_lshrrev_b32_e32 v36, 3, v2
	v_cmp_gt_u32_e32 vcc, 8, v2
	v_ffbh_u32_e32 v2, v31
	v_min_u32_e32 v37, 32, v2
	v_subrev_u32_e32 v2, 28, v37
	v_lshlrev_b64 v[2:3], v2, v[0:1]
	v_sub_u32_e32 v3, 29, v37
	v_and_b32_e32 v2, 7, v2
	v_cndmask_b32_e32 v3, v36, v3, vcc
	v_cndmask_b32_e32 v2, v31, v2, vcc
	v_lshlrev_b32_e32 v0, 24, v0
	v_bfrev_b32_e32 v31, 60
	v_lshlrev_b32_e32 v2, 20, v2
	v_and_b32_e32 v0, 0x80000000, v0
	v_lshl_add_u32 v3, v3, 23, v31
	v_or3_b32 v3, v0, v3, v2
.LBB6_11322:                            ;   in Loop: Header=BB6_10813 Depth=3
	s_or_b64 exec, exec, s[38:39]
.LBB6_11323:                            ;   in Loop: Header=BB6_10813 Depth=3
	s_or_b64 exec, exec, s[40:41]
.LBB6_11324:                            ;   in Loop: Header=BB6_10813 Depth=3
	s_or_b64 exec, exec, s[28:29]
	v_max_f32_e32 v0, v3, v3
	v_max_f32_e32 v1, v1, v1
	v_min_f32_e32 v1, v1, v0
.LBB6_11325:                            ;   in Loop: Header=BB6_10813 Depth=3
	v_and_b32_e32 v52, 0x7f800000, v1
	v_cmp_ne_u64_e32 vcc, s[76:77], v[52:53]
	buffer_store_dword v49, off, s[0:3], s33 offset:120 ; 4-byte Folded Spill
                                        ; implicit-def: $vgpr45
	s_and_saveexec_b64 s[28:29], vcc
	s_xor_b64 s[40:41], exec, s[28:29]
	s_cbranch_execz .LBB6_11339
; %bb.11326:                            ;   in Loop: Header=BB6_10813 Depth=3
	v_and_b32_e32 v52, 0x7fffffff, v1
	v_cmp_gt_u64_e32 vcc, s[78:79], v[52:53]
	v_and_b32_sdwa v3, v1, s82 dst_sel:DWORD dst_unused:UNUSED_PAD src0_sel:BYTE_3 src1_sel:DWORD
                                        ; implicit-def: $vgpr45
	s_and_saveexec_b64 s[28:29], vcc
	s_xor_b64 s[38:39], exec, s[28:29]
	s_cbranch_execz .LBB6_11336
; %bb.11327:                            ;   in Loop: Header=BB6_10813 Depth=3
	v_mov_b32_e32 v45, 0
	v_cmp_ne_u32_e32 vcc, 0, v1
	s_and_saveexec_b64 s[48:49], vcc
	s_cbranch_execz .LBB6_11335
; %bb.11328:                            ;   in Loop: Header=BB6_10813 Depth=3
	v_bfe_u32 v31, v1, 23, 8
	v_and_b32_e32 v0, 0x7fffff, v1
	v_cmp_gt_u32_e64 s[28:29], s85, v31
	v_sub_u32_e32 v1, 0x79, v31
	v_cmp_eq_u32_e32 vcc, 0, v31
	v_cndmask_b32_e64 v1, 0, v1, s[28:29]
	v_mov_b32_e32 v36, 0x78
	v_or_b32_e32 v2, 0x800000, v0
	v_cndmask_b32_e32 v36, v1, v36, vcc
	v_cndmask_b32_e32 v52, v2, v0, vcc
	v_add_u32_e32 v0, 20, v36
	v_lshlrev_b64 v[0:1], v0, -1
	v_add_u32_e32 v2, 19, v36
	v_lshlrev_b64 v[48:49], v2, 1
	v_bfi_b32 v1, v1, 0, 0
	v_bfi_b32 v0, v0, 0, v52
	v_cmp_eq_u64_e64 s[28:29], v[0:1], v[48:49]
	v_lshrrev_b64 v[0:1], v36, v[52:53]
	v_mov_b32_e32 v2, v1
	v_mov_b32_e32 v1, v0
	s_and_saveexec_b64 s[50:51], s[28:29]
; %bb.11329:                            ;   in Loop: Header=BB6_10813 Depth=3
	v_bfe_u32 v1, v0, 20, 1
	v_add_co_u32_e64 v1, s[28:29], v0, v1
	v_add_co_u32_e64 v1, s[28:29], -1, v1
; %bb.11330:                            ;   in Loop: Header=BB6_10813 Depth=3
	s_or_b64 exec, exec, s[50:51]
	v_add_u32_e32 v2, 0xffffff81, v31
	v_mov_b32_e32 v31, 0xffffff82
	v_cndmask_b32_e32 v2, v2, v31, vcc
	v_lshrrev_b32_e32 v31, 23, v0
	v_add3_u32 v36, v36, v2, v31
	v_add_u32_e32 v31, 6, v36
	v_and_b32_e32 v1, 0xfffff, v1
	v_add_u32_e32 v52, v1, v0
	v_cmp_ne_u32_e32 vcc, 0, v31
                                        ; implicit-def: $vgpr0_vgpr1
                                        ; implicit-def: $vgpr2
	s_and_saveexec_b64 s[28:29], vcc
	s_xor_b64 s[28:29], exec, s[28:29]
; %bb.11331:                            ;   in Loop: Header=BB6_10813 Depth=3
	v_cmp_lt_u64_e32 vcc, s[88:89], v[52:53]
	v_add_u32_e32 v0, 7, v36
	v_cndmask_b32_e32 v2, v31, v0, vcc
	v_cndmask_b32_e64 v0, 0, 1, vcc
	v_lshrrev_b64 v[0:1], v0, v[52:53]
; %bb.11332:                            ;   in Loop: Header=BB6_10813 Depth=3
	s_andn2_saveexec_b64 s[28:29], s[28:29]
; %bb.11333:                            ;   in Loop: Header=BB6_10813 Depth=3
	v_mov_b32_e32 v0, v52
	v_bfe_u32 v2, v52, 23, 1
	v_mov_b32_e32 v1, v53
; %bb.11334:                            ;   in Loop: Header=BB6_10813 Depth=3
	s_or_b64 exec, exec, s[28:29]
	v_lshrrev_b64 v[0:1], 20, v[0:1]
	v_cmp_gt_i32_e32 vcc, 16, v2
	v_cndmask_b32_e32 v1, 0, v1, vcc
	v_cndmask_b32_e32 v0, 7, v0, vcc
	v_cmp_eq_u64_e64 s[28:29], 0, v[0:1]
	v_min_i32_e32 v1, 15, v2
	v_lshlrev_b32_e32 v1, 3, v1
	v_cmp_eq_u32_e32 vcc, 0, v2
	v_and_b32_e32 v1, 0xf8, v1
	v_and_or_b32 v0, v0, 7, v1
	s_and_b64 s[28:29], vcc, s[28:29]
	v_cndmask_b32_e64 v0, v0, 0, s[28:29]
	v_or_b32_e32 v45, v0, v3
.LBB6_11335:                            ;   in Loop: Header=BB6_10813 Depth=3
	s_or_b64 exec, exec, s[48:49]
                                        ; implicit-def: $vgpr3
.LBB6_11336:                            ;   in Loop: Header=BB6_10813 Depth=3
	s_andn2_saveexec_b64 s[28:29], s[38:39]
; %bb.11337:                            ;   in Loop: Header=BB6_10813 Depth=3
	v_or_b32_e32 v45, 0x7e, v3
; %bb.11338:                            ;   in Loop: Header=BB6_10813 Depth=3
	s_or_b64 exec, exec, s[28:29]
                                        ; implicit-def: $vgpr1
.LBB6_11339:                            ;   in Loop: Header=BB6_10813 Depth=3
	s_andn2_saveexec_b64 s[28:29], s[40:41]
; %bb.11340:                            ;   in Loop: Header=BB6_10813 Depth=3
	v_or_b32_sdwa v45, v1, s83 dst_sel:DWORD dst_unused:UNUSED_PAD src0_sel:BYTE_3 src1_sel:DWORD
; %bb.11341:                            ;   in Loop: Header=BB6_10813 Depth=3
	s_or_b64 exec, exec, s[28:29]
	v_mov_b32_e32 v52, v51
	v_mov_b32_e32 v2, v39
	v_mov_b32_e32 v3, v53
	v_cmp_ne_u16_sdwa s[28:29], v51, v53 src0_sel:BYTE_0 src1_sel:DWORD
	s_mov_b64 s[40:41], -1
	s_and_b64 vcc, exec, s[46:47]
                                        ; implicit-def: $vgpr0
	s_cbranch_vccz .LBB6_11355
; %bb.11342:                            ;   in Loop: Header=BB6_10813 Depth=3
	v_mov_b32_e32 v1, 0
	v_mov_b32_e32 v0, 0
	s_and_saveexec_b64 s[40:41], s[28:29]
	s_cbranch_execz .LBB6_11348
; %bb.11343:                            ;   in Loop: Header=BB6_10813 Depth=3
	v_cmp_ne_u16_sdwa vcc, v51, s82 src0_sel:BYTE_0 src1_sel:DWORD
	v_bfrev_b32_e32 v0, 1
	s_and_saveexec_b64 s[38:39], vcc
	s_cbranch_execz .LBB6_11347
; %bb.11344:                            ;   in Loop: Header=BB6_10813 Depth=3
	v_and_b32_e32 v31, 0x7f, v51
	v_cmp_ne_u32_e32 vcc, s83, v31
	v_mov_b32_e32 v0, 0x7f800001
	s_and_saveexec_b64 s[48:49], vcc
	s_cbranch_execz .LBB6_11346
; %bb.11345:                            ;   in Loop: Header=BB6_10813 Depth=3
	v_and_b32_e32 v0, 7, v51
	v_ffbh_u32_e32 v0, v0
	v_min_u32_e32 v0, 32, v0
	v_lshrrev_b32_e32 v36, 3, v31
	v_cmp_gt_u32_e32 vcc, 8, v31
	v_subrev_u32_e32 v31, 28, v0
	v_sub_u32_e32 v0, 29, v0
	v_cndmask_b32_e32 v31, 0, v31, vcc
	v_cndmask_b32_e32 v0, v36, v0, vcc
	v_lshlrev_b64 v[36:37], v31, v[52:53]
	v_bfrev_b32_e32 v37, 60
	v_lshlrev_b32_e32 v31, 20, v36
	v_lshlrev_b32_e32 v36, 24, v52
	v_and_b32_e32 v31, 0x700000, v31
	v_and_b32_e32 v36, 0x80000000, v36
	v_lshl_add_u32 v0, v0, 23, v37
	v_or3_b32 v0, v36, v0, v31
.LBB6_11346:                            ;   in Loop: Header=BB6_10813 Depth=3
	s_or_b64 exec, exec, s[48:49]
.LBB6_11347:                            ;   in Loop: Header=BB6_10813 Depth=3
	s_or_b64 exec, exec, s[38:39]
.LBB6_11348:                            ;   in Loop: Header=BB6_10813 Depth=3
	s_or_b64 exec, exec, s[40:41]
	v_cmp_ne_u16_sdwa vcc, v39, v53 src0_sel:BYTE_0 src1_sel:DWORD
	s_and_saveexec_b64 s[40:41], vcc
	s_cbranch_execz .LBB6_11354
; %bb.11349:                            ;   in Loop: Header=BB6_10813 Depth=3
	v_cmp_ne_u16_sdwa vcc, v39, s82 src0_sel:BYTE_0 src1_sel:DWORD
	v_bfrev_b32_e32 v1, 1
	s_and_saveexec_b64 s[38:39], vcc
	s_cbranch_execz .LBB6_11353
; %bb.11350:                            ;   in Loop: Header=BB6_10813 Depth=3
	v_and_b32_e32 v31, 0x7f, v39
	v_cmp_ne_u32_e32 vcc, s83, v31
	v_mov_b32_e32 v1, 0x7f800001
	s_and_saveexec_b64 s[48:49], vcc
	s_cbranch_execz .LBB6_11352
; %bb.11351:                            ;   in Loop: Header=BB6_10813 Depth=3
	v_and_b32_e32 v1, 7, v39
	v_ffbh_u32_e32 v1, v1
	v_min_u32_e32 v1, 32, v1
	v_lshrrev_b32_e32 v36, 3, v31
	v_cmp_gt_u32_e32 vcc, 8, v31
	v_subrev_u32_e32 v31, 28, v1
	v_sub_u32_e32 v1, 29, v1
	v_cndmask_b32_e32 v31, 0, v31, vcc
	v_cndmask_b32_e32 v1, v36, v1, vcc
	v_lshlrev_b64 v[36:37], v31, v[2:3]
	v_bfrev_b32_e32 v37, 60
	v_lshlrev_b32_e32 v31, 20, v36
	v_lshlrev_b32_e32 v36, 24, v2
	v_and_b32_e32 v31, 0x700000, v31
	v_and_b32_e32 v36, 0x80000000, v36
	v_lshl_add_u32 v1, v1, 23, v37
	v_or3_b32 v1, v36, v1, v31
.LBB6_11352:                            ;   in Loop: Header=BB6_10813 Depth=3
	s_or_b64 exec, exec, s[48:49]
.LBB6_11353:                            ;   in Loop: Header=BB6_10813 Depth=3
	s_or_b64 exec, exec, s[38:39]
.LBB6_11354:                            ;   in Loop: Header=BB6_10813 Depth=3
	s_or_b64 exec, exec, s[40:41]
	v_max_f32_e32 v1, v1, v1
	v_max_f32_e32 v0, v0, v0
	;; [unrolled: 1-line block ×3, first 2 shown]
	s_mov_b64 s[40:41], 0
.LBB6_11355:                            ;   in Loop: Header=BB6_10813 Depth=3
	s_and_b64 vcc, exec, s[40:41]
	s_cbranch_vccz .LBB6_11369
; %bb.11356:                            ;   in Loop: Header=BB6_10813 Depth=3
	v_mov_b32_e32 v1, 0
	v_mov_b32_e32 v0, 0
	s_and_saveexec_b64 s[40:41], s[28:29]
	s_cbranch_execz .LBB6_11362
; %bb.11357:                            ;   in Loop: Header=BB6_10813 Depth=3
	v_cmp_ne_u16_sdwa vcc, v51, s82 src0_sel:BYTE_0 src1_sel:DWORD
	v_bfrev_b32_e32 v0, 1
	s_and_saveexec_b64 s[28:29], vcc
	s_cbranch_execz .LBB6_11361
; %bb.11358:                            ;   in Loop: Header=BB6_10813 Depth=3
	v_and_b32_e32 v31, 0x7f, v51
	v_cmp_ne_u32_e32 vcc, s83, v31
	v_mov_b32_e32 v0, 0x7f800001
	s_and_saveexec_b64 s[38:39], vcc
	s_cbranch_execz .LBB6_11360
; %bb.11359:                            ;   in Loop: Header=BB6_10813 Depth=3
	v_and_b32_e32 v0, 7, v51
	v_ffbh_u32_e32 v0, v0
	v_min_u32_e32 v0, 32, v0
	v_lshrrev_b32_e32 v36, 3, v31
	v_cmp_gt_u32_e32 vcc, 8, v31
	v_subrev_u32_e32 v31, 28, v0
	v_sub_u32_e32 v0, 29, v0
	v_cndmask_b32_e32 v31, 0, v31, vcc
	v_cndmask_b32_e32 v0, v36, v0, vcc
	v_lshlrev_b64 v[36:37], v31, v[52:53]
	v_bfrev_b32_e32 v37, 60
	v_lshlrev_b32_e32 v31, 20, v36
	v_lshlrev_b32_e32 v36, 24, v52
	v_and_b32_e32 v31, 0x700000, v31
	v_and_b32_e32 v36, 0x80000000, v36
	v_lshl_add_u32 v0, v0, 23, v37
	v_or3_b32 v0, v36, v0, v31
.LBB6_11360:                            ;   in Loop: Header=BB6_10813 Depth=3
	s_or_b64 exec, exec, s[38:39]
.LBB6_11361:                            ;   in Loop: Header=BB6_10813 Depth=3
	s_or_b64 exec, exec, s[28:29]
.LBB6_11362:                            ;   in Loop: Header=BB6_10813 Depth=3
	s_or_b64 exec, exec, s[40:41]
	v_cmp_ne_u16_sdwa s[40:41], v39, v53 src0_sel:BYTE_0 src1_sel:DWORD
	s_and_saveexec_b64 s[28:29], s[40:41]
	s_cbranch_execz .LBB6_11368
; %bb.11363:                            ;   in Loop: Header=BB6_10813 Depth=3
	v_cmp_ne_u16_sdwa vcc, v39, s82 src0_sel:BYTE_0 src1_sel:DWORD
	v_bfrev_b32_e32 v1, 1
	s_and_saveexec_b64 s[40:41], vcc
	s_cbranch_execz .LBB6_11367
; %bb.11364:                            ;   in Loop: Header=BB6_10813 Depth=3
	v_and_b32_e32 v31, 0x7f, v39
	v_cmp_ne_u32_e32 vcc, s83, v31
	v_mov_b32_e32 v1, 0x7f800001
	s_and_saveexec_b64 s[38:39], vcc
	s_cbranch_execz .LBB6_11366
; %bb.11365:                            ;   in Loop: Header=BB6_10813 Depth=3
	v_and_b32_e32 v1, 7, v39
	v_ffbh_u32_e32 v1, v1
	v_min_u32_e32 v1, 32, v1
	v_lshrrev_b32_e32 v36, 3, v31
	v_cmp_gt_u32_e32 vcc, 8, v31
	v_subrev_u32_e32 v31, 28, v1
	v_sub_u32_e32 v1, 29, v1
	v_cndmask_b32_e32 v31, 0, v31, vcc
	v_cndmask_b32_e32 v1, v36, v1, vcc
	v_lshlrev_b64 v[36:37], v31, v[2:3]
	v_lshlrev_b32_e32 v31, 24, v2
	v_lshlrev_b32_e32 v3, 20, v36
	v_bfrev_b32_e32 v36, 60
	v_and_b32_e32 v3, 0x700000, v3
	v_and_b32_e32 v31, 0x80000000, v31
	v_lshl_add_u32 v1, v1, 23, v36
	v_or3_b32 v1, v31, v1, v3
.LBB6_11366:                            ;   in Loop: Header=BB6_10813 Depth=3
	s_or_b64 exec, exec, s[38:39]
.LBB6_11367:                            ;   in Loop: Header=BB6_10813 Depth=3
	s_or_b64 exec, exec, s[40:41]
.LBB6_11368:                            ;   in Loop: Header=BB6_10813 Depth=3
	s_or_b64 exec, exec, s[28:29]
	v_max_f32_e32 v1, v1, v1
	v_max_f32_e32 v0, v0, v0
	v_min_f32_e32 v0, v0, v1
.LBB6_11369:                            ;   in Loop: Header=BB6_10813 Depth=3
	v_and_b32_e32 v36, 0x7f800000, v0
	v_mov_b32_e32 v37, v53
	v_cmp_ne_u64_e32 vcc, s[76:77], v[36:37]
                                        ; implicit-def: $vgpr54
	s_and_saveexec_b64 s[28:29], vcc
	s_xor_b64 s[40:41], exec, s[28:29]
	s_cbranch_execz .LBB6_11383
; %bb.11370:                            ;   in Loop: Header=BB6_10813 Depth=3
	v_and_b32_e32 v36, 0x7fffffff, v0
	v_mov_b32_e32 v37, v53
	v_cmp_gt_u64_e32 vcc, s[78:79], v[36:37]
	v_and_b32_sdwa v3, v0, s82 dst_sel:DWORD dst_unused:UNUSED_PAD src0_sel:BYTE_3 src1_sel:DWORD
                                        ; implicit-def: $vgpr54
	s_and_saveexec_b64 s[28:29], vcc
	s_xor_b64 s[38:39], exec, s[28:29]
	s_cbranch_execz .LBB6_11380
; %bb.11371:                            ;   in Loop: Header=BB6_10813 Depth=3
	v_mov_b32_e32 v54, 0
	v_cmp_ne_u32_e32 vcc, 0, v0
	s_and_saveexec_b64 s[48:49], vcc
	s_cbranch_execz .LBB6_11379
; %bb.11372:                            ;   in Loop: Header=BB6_10813 Depth=3
	v_bfe_u32 v31, v0, 23, 8
	v_and_b32_e32 v1, 0x7fffff, v0
	v_cmp_gt_u32_e64 s[28:29], s85, v31
	v_sub_u32_e32 v0, 0x79, v31
	v_cmp_eq_u32_e32 vcc, 0, v31
	v_cndmask_b32_e64 v0, 0, v0, s[28:29]
	v_mov_b32_e32 v37, 0x78
	v_or_b32_e32 v36, 0x800000, v1
	v_cndmask_b32_e32 v48, v0, v37, vcc
	v_cndmask_b32_e32 v0, v36, v1, vcc
	v_add_u32_e32 v36, 20, v48
	v_lshlrev_b64 v[36:37], v36, -1
	v_mov_b32_e32 v1, v53
	v_add_u32_e32 v49, 19, v48
	v_bfi_b32 v36, v36, 0, v0
	v_lshlrev_b64 v[54:55], v49, 1
	v_lshrrev_b64 v[0:1], v48, v[0:1]
	v_bfi_b32 v37, v37, 0, 0
	v_cmp_eq_u64_e64 s[28:29], v[36:37], v[54:55]
	v_mov_b32_e32 v37, v1
	v_mov_b32_e32 v36, v0
	s_and_saveexec_b64 s[50:51], s[28:29]
; %bb.11373:                            ;   in Loop: Header=BB6_10813 Depth=3
	v_bfe_u32 v1, v0, 20, 1
	v_add_co_u32_e64 v1, s[28:29], v0, v1
	v_add_co_u32_e64 v36, s[28:29], -1, v1
; %bb.11374:                            ;   in Loop: Header=BB6_10813 Depth=3
	s_or_b64 exec, exec, s[50:51]
	v_add_u32_e32 v1, 0xffffff81, v31
	v_mov_b32_e32 v31, 0xffffff82
	v_cndmask_b32_e32 v1, v1, v31, vcc
	v_lshrrev_b32_e32 v31, 23, v0
	v_add3_u32 v31, v48, v1, v31
	v_add_u32_e32 v1, 6, v31
	v_and_b32_e32 v36, 0xfffff, v36
	v_add_u32_e32 v36, v36, v0
	v_mov_b32_e32 v37, v53
	v_cmp_ne_u32_e32 vcc, 0, v1
                                        ; implicit-def: $vgpr0
	s_and_saveexec_b64 s[28:29], vcc
	s_xor_b64 s[28:29], exec, s[28:29]
; %bb.11375:                            ;   in Loop: Header=BB6_10813 Depth=3
	v_cmp_lt_u64_e32 vcc, s[88:89], v[36:37]
	v_add_u32_e32 v0, 7, v31
	v_cndmask_b32_e32 v0, v1, v0, vcc
	v_cndmask_b32_e64 v1, 0, 1, vcc
	v_lshrrev_b64 v[36:37], v1, v[36:37]
; %bb.11376:                            ;   in Loop: Header=BB6_10813 Depth=3
	s_andn2_saveexec_b64 s[28:29], s[28:29]
; %bb.11377:                            ;   in Loop: Header=BB6_10813 Depth=3
	v_bfe_u32 v0, v36, 23, 1
; %bb.11378:                            ;   in Loop: Header=BB6_10813 Depth=3
	s_or_b64 exec, exec, s[28:29]
	v_lshrrev_b64 v[36:37], 20, v[36:37]
	v_cmp_gt_i32_e32 vcc, 16, v0
	v_cndmask_b32_e32 v37, 0, v37, vcc
	v_cndmask_b32_e32 v36, 7, v36, vcc
	v_cmp_eq_u32_e32 vcc, 0, v0
	v_min_i32_e32 v0, 15, v0
	v_cmp_eq_u64_e64 s[28:29], 0, v[36:37]
	v_lshlrev_b32_e32 v0, 3, v0
	v_and_b32_e32 v0, 0xf8, v0
	v_and_or_b32 v0, v36, 7, v0
	s_and_b64 s[28:29], vcc, s[28:29]
	v_cndmask_b32_e64 v0, v0, 0, s[28:29]
	v_or_b32_e32 v54, v0, v3
.LBB6_11379:                            ;   in Loop: Header=BB6_10813 Depth=3
	s_or_b64 exec, exec, s[48:49]
                                        ; implicit-def: $vgpr3
.LBB6_11380:                            ;   in Loop: Header=BB6_10813 Depth=3
	s_andn2_saveexec_b64 s[28:29], s[38:39]
; %bb.11381:                            ;   in Loop: Header=BB6_10813 Depth=3
	v_or_b32_e32 v54, 0x7e, v3
; %bb.11382:                            ;   in Loop: Header=BB6_10813 Depth=3
	s_or_b64 exec, exec, s[28:29]
                                        ; implicit-def: $vgpr0
.LBB6_11383:                            ;   in Loop: Header=BB6_10813 Depth=3
	s_andn2_saveexec_b64 s[28:29], s[40:41]
; %bb.11384:                            ;   in Loop: Header=BB6_10813 Depth=3
	v_or_b32_sdwa v54, v0, s83 dst_sel:DWORD dst_unused:UNUSED_PAD src0_sel:BYTE_3 src1_sel:DWORD
; %bb.11385:                            ;   in Loop: Header=BB6_10813 Depth=3
	s_or_b64 exec, exec, s[28:29]
	v_lshrrev_b16_e32 v31, 8, v52
	v_lshrrev_b16_e32 v3, 8, v2
	v_cmp_ne_u16_e64 s[28:29], 0, v31
	s_mov_b64 s[40:41], -1
	s_and_b64 vcc, exec, s[46:47]
                                        ; implicit-def: $vgpr0
	s_cbranch_vccz .LBB6_11399
; %bb.11386:                            ;   in Loop: Header=BB6_10813 Depth=3
	v_mov_b32_e32 v1, 0
	v_mov_b32_e32 v0, 0
	s_and_saveexec_b64 s[40:41], s[28:29]
	s_cbranch_execz .LBB6_11392
; %bb.11387:                            ;   in Loop: Header=BB6_10813 Depth=3
	v_cmp_ne_u16_e32 vcc, s82, v31
	v_bfrev_b32_e32 v0, 1
	s_and_saveexec_b64 s[38:39], vcc
	s_cbranch_execz .LBB6_11391
; %bb.11388:                            ;   in Loop: Header=BB6_10813 Depth=3
	v_and_b32_e32 v36, 0x7f, v31
	v_cmp_ne_u32_e32 vcc, s83, v36
	v_mov_b32_e32 v0, 0x7f800001
	s_and_saveexec_b64 s[48:49], vcc
	s_cbranch_execz .LBB6_11390
; %bb.11389:                            ;   in Loop: Header=BB6_10813 Depth=3
	v_and_b32_e32 v0, 7, v31
	v_lshrrev_b32_e32 v48, 3, v36
	v_cmp_gt_u32_e32 vcc, 8, v36
	v_ffbh_u32_e32 v36, v0
	v_min_u32_e32 v49, 32, v36
	v_subrev_u32_e32 v36, 28, v49
	v_lshlrev_b64 v[36:37], v36, v[31:32]
	v_sub_u32_e32 v37, 29, v49
	v_and_b32_e32 v36, 7, v36
	v_cndmask_b32_e32 v37, v48, v37, vcc
	v_cndmask_b32_e32 v0, v0, v36, vcc
	v_lshlrev_b32_e32 v36, 16, v52
	v_bfrev_b32_e32 v48, 60
	v_lshlrev_b32_e32 v0, 20, v0
	v_and_b32_e32 v36, 0x80000000, v36
	v_lshl_add_u32 v37, v37, 23, v48
	v_or3_b32 v0, v36, v37, v0
.LBB6_11390:                            ;   in Loop: Header=BB6_10813 Depth=3
	s_or_b64 exec, exec, s[48:49]
.LBB6_11391:                            ;   in Loop: Header=BB6_10813 Depth=3
	s_or_b64 exec, exec, s[38:39]
.LBB6_11392:                            ;   in Loop: Header=BB6_10813 Depth=3
	s_or_b64 exec, exec, s[40:41]
	v_cmp_ne_u16_e32 vcc, 0, v3
	s_and_saveexec_b64 s[40:41], vcc
	s_cbranch_execz .LBB6_11398
; %bb.11393:                            ;   in Loop: Header=BB6_10813 Depth=3
	v_cmp_ne_u16_e32 vcc, s82, v3
	v_bfrev_b32_e32 v1, 1
	s_and_saveexec_b64 s[38:39], vcc
	s_cbranch_execz .LBB6_11397
; %bb.11394:                            ;   in Loop: Header=BB6_10813 Depth=3
	v_and_b32_e32 v36, 0x7f, v3
	v_cmp_ne_u32_e32 vcc, s83, v36
	v_mov_b32_e32 v1, 0x7f800001
	s_and_saveexec_b64 s[48:49], vcc
	s_cbranch_execz .LBB6_11396
; %bb.11395:                            ;   in Loop: Header=BB6_10813 Depth=3
	v_and_b32_e32 v1, 7, v3
	v_lshrrev_b32_e32 v48, 3, v36
	v_cmp_gt_u32_e32 vcc, 8, v36
	v_ffbh_u32_e32 v36, v1
	v_min_u32_e32 v49, 32, v36
	v_subrev_u32_e32 v36, 28, v49
	v_lshlrev_b64 v[36:37], v36, v[3:4]
	v_sub_u32_e32 v37, 29, v49
	v_and_b32_e32 v36, 7, v36
	v_cndmask_b32_e32 v37, v48, v37, vcc
	v_cndmask_b32_e32 v1, v1, v36, vcc
	v_lshlrev_b32_e32 v36, 16, v2
	v_bfrev_b32_e32 v48, 60
	v_lshlrev_b32_e32 v1, 20, v1
	v_and_b32_e32 v36, 0x80000000, v36
	v_lshl_add_u32 v37, v37, 23, v48
	v_or3_b32 v1, v36, v37, v1
.LBB6_11396:                            ;   in Loop: Header=BB6_10813 Depth=3
	s_or_b64 exec, exec, s[48:49]
.LBB6_11397:                            ;   in Loop: Header=BB6_10813 Depth=3
	s_or_b64 exec, exec, s[38:39]
.LBB6_11398:                            ;   in Loop: Header=BB6_10813 Depth=3
	s_or_b64 exec, exec, s[40:41]
	v_max_f32_e32 v1, v1, v1
	v_max_f32_e32 v0, v0, v0
	;; [unrolled: 1-line block ×3, first 2 shown]
	s_mov_b64 s[40:41], 0
.LBB6_11399:                            ;   in Loop: Header=BB6_10813 Depth=3
	s_and_b64 vcc, exec, s[40:41]
	s_cbranch_vccz .LBB6_11413
; %bb.11400:                            ;   in Loop: Header=BB6_10813 Depth=3
	v_mov_b32_e32 v1, 0
	v_mov_b32_e32 v0, 0
	s_and_saveexec_b64 s[40:41], s[28:29]
	s_cbranch_execz .LBB6_11406
; %bb.11401:                            ;   in Loop: Header=BB6_10813 Depth=3
	v_cmp_ne_u16_e32 vcc, s82, v31
	v_bfrev_b32_e32 v0, 1
	s_and_saveexec_b64 s[28:29], vcc
	s_cbranch_execz .LBB6_11405
; %bb.11402:                            ;   in Loop: Header=BB6_10813 Depth=3
	v_and_b32_e32 v36, 0x7f, v31
	v_cmp_ne_u32_e32 vcc, s83, v36
	v_mov_b32_e32 v0, 0x7f800001
	s_and_saveexec_b64 s[38:39], vcc
	s_cbranch_execz .LBB6_11404
; %bb.11403:                            ;   in Loop: Header=BB6_10813 Depth=3
	v_and_b32_e32 v0, 7, v31
	v_lshrrev_b32_e32 v48, 3, v36
	v_cmp_gt_u32_e32 vcc, 8, v36
	v_ffbh_u32_e32 v36, v0
	v_min_u32_e32 v49, 32, v36
	v_subrev_u32_e32 v36, 28, v49
	v_lshlrev_b64 v[36:37], v36, v[31:32]
	v_sub_u32_e32 v31, 29, v49
	v_and_b32_e32 v36, 7, v36
	v_cndmask_b32_e32 v31, v48, v31, vcc
	v_cndmask_b32_e32 v0, v0, v36, vcc
	v_lshlrev_b32_e32 v36, 16, v52
	v_bfrev_b32_e32 v37, 60
	v_lshlrev_b32_e32 v0, 20, v0
	v_and_b32_e32 v36, 0x80000000, v36
	v_lshl_add_u32 v31, v31, 23, v37
	v_or3_b32 v0, v36, v31, v0
.LBB6_11404:                            ;   in Loop: Header=BB6_10813 Depth=3
	s_or_b64 exec, exec, s[38:39]
.LBB6_11405:                            ;   in Loop: Header=BB6_10813 Depth=3
	s_or_b64 exec, exec, s[28:29]
.LBB6_11406:                            ;   in Loop: Header=BB6_10813 Depth=3
	s_or_b64 exec, exec, s[40:41]
	v_cmp_ne_u16_e32 vcc, 0, v3
	s_and_saveexec_b64 s[28:29], vcc
	s_cbranch_execz .LBB6_11412
; %bb.11407:                            ;   in Loop: Header=BB6_10813 Depth=3
	v_cmp_ne_u16_e32 vcc, s82, v3
	v_bfrev_b32_e32 v1, 1
	s_and_saveexec_b64 s[40:41], vcc
	s_cbranch_execz .LBB6_11411
; %bb.11408:                            ;   in Loop: Header=BB6_10813 Depth=3
	v_and_b32_e32 v31, 0x7f, v3
	v_cmp_ne_u32_e32 vcc, s83, v31
	v_mov_b32_e32 v1, 0x7f800001
	s_and_saveexec_b64 s[38:39], vcc
	s_cbranch_execz .LBB6_11410
; %bb.11409:                            ;   in Loop: Header=BB6_10813 Depth=3
	v_and_b32_e32 v1, 7, v3
	v_lshrrev_b32_e32 v48, 3, v31
	v_cmp_gt_u32_e32 vcc, 8, v31
	v_ffbh_u32_e32 v31, v1
	v_min_u32_e32 v31, 32, v31
	v_subrev_u32_e32 v36, 28, v31
	v_lshlrev_b64 v[36:37], v36, v[3:4]
	v_sub_u32_e32 v3, 29, v31
	v_and_b32_e32 v31, 7, v36
	v_cndmask_b32_e32 v3, v48, v3, vcc
	v_cndmask_b32_e32 v1, v1, v31, vcc
	v_lshlrev_b32_e32 v2, 16, v2
	v_bfrev_b32_e32 v31, 60
	v_lshlrev_b32_e32 v1, 20, v1
	v_and_b32_e32 v2, 0x80000000, v2
	v_lshl_add_u32 v3, v3, 23, v31
	v_or3_b32 v1, v2, v3, v1
.LBB6_11410:                            ;   in Loop: Header=BB6_10813 Depth=3
	s_or_b64 exec, exec, s[38:39]
.LBB6_11411:                            ;   in Loop: Header=BB6_10813 Depth=3
	s_or_b64 exec, exec, s[40:41]
.LBB6_11412:                            ;   in Loop: Header=BB6_10813 Depth=3
	s_or_b64 exec, exec, s[28:29]
	v_max_f32_e32 v1, v1, v1
	v_max_f32_e32 v0, v0, v0
	v_min_f32_e32 v0, v0, v1
.LBB6_11413:                            ;   in Loop: Header=BB6_10813 Depth=3
	v_and_b32_e32 v52, 0x7f800000, v0
	v_cmp_ne_u64_e32 vcc, s[76:77], v[52:53]
                                        ; implicit-def: $vgpr49
	s_and_saveexec_b64 s[28:29], vcc
	s_xor_b64 s[40:41], exec, s[28:29]
	s_cbranch_execz .LBB6_11427
; %bb.11414:                            ;   in Loop: Header=BB6_10813 Depth=3
	v_and_b32_e32 v52, 0x7fffffff, v0
	v_cmp_gt_u64_e32 vcc, s[78:79], v[52:53]
	v_and_b32_sdwa v3, v0, s82 dst_sel:DWORD dst_unused:UNUSED_PAD src0_sel:BYTE_3 src1_sel:DWORD
                                        ; implicit-def: $vgpr49
	s_and_saveexec_b64 s[28:29], vcc
	s_xor_b64 s[38:39], exec, s[28:29]
	s_cbranch_execz .LBB6_11424
; %bb.11415:                            ;   in Loop: Header=BB6_10813 Depth=3
	v_mov_b32_e32 v49, 0
	v_cmp_ne_u32_e32 vcc, 0, v0
	s_and_saveexec_b64 s[48:49], vcc
	s_cbranch_execz .LBB6_11423
; %bb.11416:                            ;   in Loop: Header=BB6_10813 Depth=3
	v_bfe_u32 v31, v0, 23, 8
	v_and_b32_e32 v1, 0x7fffff, v0
	v_cmp_gt_u32_e64 s[28:29], s85, v31
	v_sub_u32_e32 v0, 0x79, v31
	v_cmp_eq_u32_e32 vcc, 0, v31
	v_cndmask_b32_e64 v0, 0, v0, s[28:29]
	v_mov_b32_e32 v36, 0x78
	v_cndmask_b32_e32 v36, v0, v36, vcc
	v_or_b32_e32 v2, 0x800000, v1
	v_add_u32_e32 v0, 20, v36
	v_cndmask_b32_e32 v52, v2, v1, vcc
	v_lshlrev_b64 v[0:1], v0, -1
	v_add_u32_e32 v2, 19, v36
	v_lshlrev_b64 v[48:49], v2, 1
	v_bfi_b32 v1, v1, 0, 0
	v_bfi_b32 v0, v0, 0, v52
	v_cmp_eq_u64_e64 s[28:29], v[0:1], v[48:49]
	v_lshrrev_b64 v[0:1], v36, v[52:53]
	v_mov_b32_e32 v2, v1
	v_mov_b32_e32 v1, v0
	s_and_saveexec_b64 s[50:51], s[28:29]
; %bb.11417:                            ;   in Loop: Header=BB6_10813 Depth=3
	v_bfe_u32 v1, v0, 20, 1
	v_add_co_u32_e64 v1, s[28:29], v0, v1
	v_add_co_u32_e64 v1, s[28:29], -1, v1
; %bb.11418:                            ;   in Loop: Header=BB6_10813 Depth=3
	s_or_b64 exec, exec, s[50:51]
	v_add_u32_e32 v2, 0xffffff81, v31
	v_mov_b32_e32 v31, 0xffffff82
	v_cndmask_b32_e32 v2, v2, v31, vcc
	v_lshrrev_b32_e32 v31, 23, v0
	v_add3_u32 v36, v36, v2, v31
	v_add_u32_e32 v31, 6, v36
	v_and_b32_e32 v1, 0xfffff, v1
	v_add_u32_e32 v52, v1, v0
	v_cmp_ne_u32_e32 vcc, 0, v31
                                        ; implicit-def: $vgpr0_vgpr1
                                        ; implicit-def: $vgpr2
	s_and_saveexec_b64 s[28:29], vcc
	s_xor_b64 s[28:29], exec, s[28:29]
; %bb.11419:                            ;   in Loop: Header=BB6_10813 Depth=3
	v_cmp_lt_u64_e32 vcc, s[88:89], v[52:53]
	v_add_u32_e32 v0, 7, v36
	v_cndmask_b32_e32 v2, v31, v0, vcc
	v_cndmask_b32_e64 v0, 0, 1, vcc
	v_lshrrev_b64 v[0:1], v0, v[52:53]
; %bb.11420:                            ;   in Loop: Header=BB6_10813 Depth=3
	s_andn2_saveexec_b64 s[28:29], s[28:29]
; %bb.11421:                            ;   in Loop: Header=BB6_10813 Depth=3
	v_mov_b32_e32 v0, v52
	v_bfe_u32 v2, v52, 23, 1
	v_mov_b32_e32 v1, v53
; %bb.11422:                            ;   in Loop: Header=BB6_10813 Depth=3
	s_or_b64 exec, exec, s[28:29]
	v_lshrrev_b64 v[0:1], 20, v[0:1]
	v_cmp_gt_i32_e32 vcc, 16, v2
	v_cndmask_b32_e32 v1, 0, v1, vcc
	v_cndmask_b32_e32 v0, 7, v0, vcc
	v_cmp_eq_u64_e64 s[28:29], 0, v[0:1]
	v_min_i32_e32 v1, 15, v2
	v_lshlrev_b32_e32 v1, 3, v1
	v_cmp_eq_u32_e32 vcc, 0, v2
	v_and_b32_e32 v1, 0xf8, v1
	v_and_or_b32 v0, v0, 7, v1
	s_and_b64 s[28:29], vcc, s[28:29]
	v_cndmask_b32_e64 v0, v0, 0, s[28:29]
	v_or_b32_e32 v49, v0, v3
.LBB6_11423:                            ;   in Loop: Header=BB6_10813 Depth=3
	s_or_b64 exec, exec, s[48:49]
                                        ; implicit-def: $vgpr3
.LBB6_11424:                            ;   in Loop: Header=BB6_10813 Depth=3
	s_andn2_saveexec_b64 s[28:29], s[38:39]
; %bb.11425:                            ;   in Loop: Header=BB6_10813 Depth=3
	v_or_b32_e32 v49, 0x7e, v3
; %bb.11426:                            ;   in Loop: Header=BB6_10813 Depth=3
	s_or_b64 exec, exec, s[28:29]
                                        ; implicit-def: $vgpr0
.LBB6_11427:                            ;   in Loop: Header=BB6_10813 Depth=3
	s_andn2_saveexec_b64 s[28:29], s[40:41]
; %bb.11428:                            ;   in Loop: Header=BB6_10813 Depth=3
	v_or_b32_sdwa v49, v0, s83 dst_sel:DWORD dst_unused:UNUSED_PAD src0_sel:BYTE_3 src1_sel:DWORD
; %bb.11429:                            ;   in Loop: Header=BB6_10813 Depth=3
	s_or_b64 exec, exec, s[28:29]
	v_lshrrev_b32_e32 v2, 16, v51
	v_lshrrev_b32_e32 v0, 16, v39
	v_cmp_ne_u16_sdwa s[28:29], v2, v53 src0_sel:BYTE_0 src1_sel:DWORD
	s_mov_b64 s[40:41], -1
	s_and_b64 vcc, exec, s[46:47]
                                        ; implicit-def: $vgpr1
	s_cbranch_vccz .LBB6_11443
; %bb.11430:                            ;   in Loop: Header=BB6_10813 Depth=3
	v_mov_b32_e32 v3, 0
	v_mov_b32_e32 v1, 0
	s_and_saveexec_b64 s[40:41], s[28:29]
	s_cbranch_execz .LBB6_11436
; %bb.11431:                            ;   in Loop: Header=BB6_10813 Depth=3
	v_cmp_ne_u16_sdwa vcc, v2, s82 src0_sel:BYTE_0 src1_sel:DWORD
	v_bfrev_b32_e32 v1, 1
	s_and_saveexec_b64 s[38:39], vcc
	s_cbranch_execz .LBB6_11435
; %bb.11432:                            ;   in Loop: Header=BB6_10813 Depth=3
	v_bfe_u32 v31, v51, 16, 7
	v_cmp_ne_u32_e32 vcc, s83, v31
	v_mov_b32_e32 v1, 0x7f800001
	s_and_saveexec_b64 s[48:49], vcc
	s_cbranch_execz .LBB6_11434
; %bb.11433:                            ;   in Loop: Header=BB6_10813 Depth=3
	v_and_b32_e32 v1, 7, v2
	v_lshrrev_b32_e32 v48, 3, v31
	v_cmp_gt_u32_e32 vcc, 8, v31
	v_ffbh_u32_e32 v31, v1
	v_min_u32_e32 v31, 32, v31
	v_subrev_u32_e32 v36, 28, v31
	v_lshlrev_b64 v[36:37], v36, v[2:3]
	v_sub_u32_e32 v31, 29, v31
	v_and_b32_e32 v36, 7, v36
	v_cndmask_b32_e32 v31, v48, v31, vcc
	v_cndmask_b32_e32 v1, v1, v36, vcc
	v_lshlrev_b32_e32 v36, 24, v2
	v_bfrev_b32_e32 v37, 60
	v_lshlrev_b32_e32 v1, 20, v1
	v_and_b32_e32 v36, 0x80000000, v36
	v_lshl_add_u32 v31, v31, 23, v37
	v_or3_b32 v1, v36, v31, v1
.LBB6_11434:                            ;   in Loop: Header=BB6_10813 Depth=3
	s_or_b64 exec, exec, s[48:49]
.LBB6_11435:                            ;   in Loop: Header=BB6_10813 Depth=3
	s_or_b64 exec, exec, s[38:39]
.LBB6_11436:                            ;   in Loop: Header=BB6_10813 Depth=3
	s_or_b64 exec, exec, s[40:41]
	v_cmp_ne_u16_sdwa vcc, v0, v53 src0_sel:BYTE_0 src1_sel:DWORD
	s_and_saveexec_b64 s[40:41], vcc
	s_cbranch_execz .LBB6_11442
; %bb.11437:                            ;   in Loop: Header=BB6_10813 Depth=3
	v_cmp_ne_u16_sdwa vcc, v0, s82 src0_sel:BYTE_0 src1_sel:DWORD
	v_bfrev_b32_e32 v3, 1
	s_and_saveexec_b64 s[38:39], vcc
	s_cbranch_execz .LBB6_11441
; %bb.11438:                            ;   in Loop: Header=BB6_10813 Depth=3
	v_bfe_u32 v31, v39, 16, 7
	v_cmp_ne_u32_e32 vcc, s83, v31
	v_mov_b32_e32 v3, 0x7f800001
	s_and_saveexec_b64 s[48:49], vcc
	s_cbranch_execz .LBB6_11440
; %bb.11439:                            ;   in Loop: Header=BB6_10813 Depth=3
	v_and_b32_e32 v3, 7, v0
	v_lshrrev_b32_e32 v48, 3, v31
	v_cmp_gt_u32_e32 vcc, 8, v31
	v_ffbh_u32_e32 v31, v3
	v_min_u32_e32 v31, 32, v31
	v_subrev_u32_e32 v36, 28, v31
	v_lshlrev_b64 v[36:37], v36, v[0:1]
	v_sub_u32_e32 v31, 29, v31
	v_and_b32_e32 v36, 7, v36
	v_cndmask_b32_e32 v31, v48, v31, vcc
	v_cndmask_b32_e32 v3, v3, v36, vcc
	v_lshlrev_b32_e32 v36, 24, v0
	v_bfrev_b32_e32 v37, 60
	v_lshlrev_b32_e32 v3, 20, v3
	v_and_b32_e32 v36, 0x80000000, v36
	v_lshl_add_u32 v31, v31, 23, v37
	v_or3_b32 v3, v36, v31, v3
.LBB6_11440:                            ;   in Loop: Header=BB6_10813 Depth=3
	s_or_b64 exec, exec, s[48:49]
.LBB6_11441:                            ;   in Loop: Header=BB6_10813 Depth=3
	s_or_b64 exec, exec, s[38:39]
.LBB6_11442:                            ;   in Loop: Header=BB6_10813 Depth=3
	s_or_b64 exec, exec, s[40:41]
	v_max_f32_e32 v3, v3, v3
	v_max_f32_e32 v1, v1, v1
	;; [unrolled: 1-line block ×3, first 2 shown]
	s_mov_b64 s[40:41], 0
.LBB6_11443:                            ;   in Loop: Header=BB6_10813 Depth=3
	s_and_b64 vcc, exec, s[40:41]
	s_cbranch_vccz .LBB6_11457
; %bb.11444:                            ;   in Loop: Header=BB6_10813 Depth=3
	v_mov_b32_e32 v3, 0
	v_mov_b32_e32 v1, 0
	s_and_saveexec_b64 s[40:41], s[28:29]
	s_cbranch_execz .LBB6_11450
; %bb.11445:                            ;   in Loop: Header=BB6_10813 Depth=3
	v_cmp_ne_u16_sdwa vcc, v2, s82 src0_sel:BYTE_0 src1_sel:DWORD
	v_bfrev_b32_e32 v1, 1
	s_and_saveexec_b64 s[28:29], vcc
	s_cbranch_execz .LBB6_11449
; %bb.11446:                            ;   in Loop: Header=BB6_10813 Depth=3
	v_bfe_u32 v31, v51, 16, 7
	v_cmp_ne_u32_e32 vcc, s83, v31
	v_mov_b32_e32 v1, 0x7f800001
	s_and_saveexec_b64 s[38:39], vcc
	s_cbranch_execz .LBB6_11448
; %bb.11447:                            ;   in Loop: Header=BB6_10813 Depth=3
	v_and_b32_e32 v1, 7, v2
	v_lshrrev_b32_e32 v48, 3, v31
	v_cmp_gt_u32_e32 vcc, 8, v31
	v_ffbh_u32_e32 v31, v1
	v_min_u32_e32 v31, 32, v31
	v_subrev_u32_e32 v36, 28, v31
	v_lshlrev_b64 v[36:37], v36, v[2:3]
	v_sub_u32_e32 v31, 29, v31
	v_and_b32_e32 v36, 7, v36
	v_cndmask_b32_e32 v31, v48, v31, vcc
	v_cndmask_b32_e32 v1, v1, v36, vcc
	v_lshlrev_b32_e32 v2, 24, v2
	v_bfrev_b32_e32 v36, 60
	v_lshlrev_b32_e32 v1, 20, v1
	v_and_b32_e32 v2, 0x80000000, v2
	v_lshl_add_u32 v31, v31, 23, v36
	v_or3_b32 v1, v2, v31, v1
.LBB6_11448:                            ;   in Loop: Header=BB6_10813 Depth=3
	s_or_b64 exec, exec, s[38:39]
.LBB6_11449:                            ;   in Loop: Header=BB6_10813 Depth=3
	s_or_b64 exec, exec, s[28:29]
.LBB6_11450:                            ;   in Loop: Header=BB6_10813 Depth=3
	s_or_b64 exec, exec, s[40:41]
	v_cmp_ne_u16_sdwa s[40:41], v0, v53 src0_sel:BYTE_0 src1_sel:DWORD
	s_and_saveexec_b64 s[28:29], s[40:41]
	s_cbranch_execz .LBB6_11456
; %bb.11451:                            ;   in Loop: Header=BB6_10813 Depth=3
	v_cmp_ne_u16_sdwa vcc, v0, s82 src0_sel:BYTE_0 src1_sel:DWORD
	v_bfrev_b32_e32 v3, 1
	s_and_saveexec_b64 s[40:41], vcc
	s_cbranch_execz .LBB6_11455
; %bb.11452:                            ;   in Loop: Header=BB6_10813 Depth=3
	v_bfe_u32 v2, v39, 16, 7
	v_cmp_ne_u32_e32 vcc, s83, v2
	v_mov_b32_e32 v3, 0x7f800001
	s_and_saveexec_b64 s[38:39], vcc
	s_cbranch_execz .LBB6_11454
; %bb.11453:                            ;   in Loop: Header=BB6_10813 Depth=3
	v_and_b32_e32 v31, 7, v0
	v_lshrrev_b32_e32 v36, 3, v2
	v_cmp_gt_u32_e32 vcc, 8, v2
	v_ffbh_u32_e32 v2, v31
	v_min_u32_e32 v37, 32, v2
	v_subrev_u32_e32 v2, 28, v37
	v_lshlrev_b64 v[2:3], v2, v[0:1]
	v_sub_u32_e32 v3, 29, v37
	v_and_b32_e32 v2, 7, v2
	v_cndmask_b32_e32 v3, v36, v3, vcc
	v_cndmask_b32_e32 v2, v31, v2, vcc
	v_lshlrev_b32_e32 v0, 24, v0
	v_bfrev_b32_e32 v31, 60
	v_lshlrev_b32_e32 v2, 20, v2
	v_and_b32_e32 v0, 0x80000000, v0
	v_lshl_add_u32 v3, v3, 23, v31
	v_or3_b32 v3, v0, v3, v2
.LBB6_11454:                            ;   in Loop: Header=BB6_10813 Depth=3
	s_or_b64 exec, exec, s[38:39]
.LBB6_11455:                            ;   in Loop: Header=BB6_10813 Depth=3
	s_or_b64 exec, exec, s[40:41]
.LBB6_11456:                            ;   in Loop: Header=BB6_10813 Depth=3
	s_or_b64 exec, exec, s[28:29]
	v_max_f32_e32 v0, v3, v3
	v_max_f32_e32 v1, v1, v1
	v_min_f32_e32 v1, v1, v0
.LBB6_11457:                            ;   in Loop: Header=BB6_10813 Depth=3
	v_and_b32_e32 v52, 0x7f800000, v1
	v_cmp_ne_u64_e32 vcc, s[76:77], v[52:53]
	buffer_store_dword v49, off, s[0:3], s33 offset:124 ; 4-byte Folded Spill
                                        ; implicit-def: $vgpr49
	s_and_saveexec_b64 s[28:29], vcc
	s_xor_b64 s[40:41], exec, s[28:29]
	s_cbranch_execz .LBB6_11471
; %bb.11458:                            ;   in Loop: Header=BB6_10813 Depth=3
	v_and_b32_e32 v52, 0x7fffffff, v1
	v_cmp_gt_u64_e32 vcc, s[78:79], v[52:53]
	v_and_b32_sdwa v3, v1, s82 dst_sel:DWORD dst_unused:UNUSED_PAD src0_sel:BYTE_3 src1_sel:DWORD
                                        ; implicit-def: $vgpr49
	s_and_saveexec_b64 s[28:29], vcc
	s_xor_b64 s[38:39], exec, s[28:29]
	s_cbranch_execz .LBB6_11468
; %bb.11459:                            ;   in Loop: Header=BB6_10813 Depth=3
	v_mov_b32_e32 v49, 0
	v_cmp_ne_u32_e32 vcc, 0, v1
	s_and_saveexec_b64 s[48:49], vcc
	s_cbranch_execz .LBB6_11467
; %bb.11460:                            ;   in Loop: Header=BB6_10813 Depth=3
	v_bfe_u32 v31, v1, 23, 8
	v_and_b32_e32 v0, 0x7fffff, v1
	v_cmp_gt_u32_e64 s[28:29], s85, v31
	v_sub_u32_e32 v1, 0x79, v31
	v_cmp_eq_u32_e32 vcc, 0, v31
	v_cndmask_b32_e64 v1, 0, v1, s[28:29]
	v_mov_b32_e32 v36, 0x78
	v_or_b32_e32 v2, 0x800000, v0
	v_cndmask_b32_e32 v36, v1, v36, vcc
	v_cndmask_b32_e32 v52, v2, v0, vcc
	v_add_u32_e32 v0, 20, v36
	v_lshlrev_b64 v[0:1], v0, -1
	v_add_u32_e32 v2, 19, v36
	v_lshlrev_b64 v[48:49], v2, 1
	v_bfi_b32 v1, v1, 0, 0
	v_bfi_b32 v0, v0, 0, v52
	v_cmp_eq_u64_e64 s[28:29], v[0:1], v[48:49]
	v_lshrrev_b64 v[0:1], v36, v[52:53]
	v_mov_b32_e32 v2, v1
	v_mov_b32_e32 v1, v0
	s_and_saveexec_b64 s[50:51], s[28:29]
; %bb.11461:                            ;   in Loop: Header=BB6_10813 Depth=3
	v_bfe_u32 v1, v0, 20, 1
	v_add_co_u32_e64 v1, s[28:29], v0, v1
	v_add_co_u32_e64 v1, s[28:29], -1, v1
; %bb.11462:                            ;   in Loop: Header=BB6_10813 Depth=3
	s_or_b64 exec, exec, s[50:51]
	v_add_u32_e32 v2, 0xffffff81, v31
	v_mov_b32_e32 v31, 0xffffff82
	v_cndmask_b32_e32 v2, v2, v31, vcc
	v_lshrrev_b32_e32 v31, 23, v0
	v_add3_u32 v36, v36, v2, v31
	v_add_u32_e32 v31, 6, v36
	v_and_b32_e32 v1, 0xfffff, v1
	v_add_u32_e32 v52, v1, v0
	v_cmp_ne_u32_e32 vcc, 0, v31
                                        ; implicit-def: $vgpr0_vgpr1
                                        ; implicit-def: $vgpr2
	s_and_saveexec_b64 s[28:29], vcc
	s_xor_b64 s[28:29], exec, s[28:29]
; %bb.11463:                            ;   in Loop: Header=BB6_10813 Depth=3
	v_cmp_lt_u64_e32 vcc, s[88:89], v[52:53]
	v_add_u32_e32 v0, 7, v36
	v_cndmask_b32_e32 v2, v31, v0, vcc
	v_cndmask_b32_e64 v0, 0, 1, vcc
	v_lshrrev_b64 v[0:1], v0, v[52:53]
; %bb.11464:                            ;   in Loop: Header=BB6_10813 Depth=3
	s_andn2_saveexec_b64 s[28:29], s[28:29]
; %bb.11465:                            ;   in Loop: Header=BB6_10813 Depth=3
	v_mov_b32_e32 v0, v52
	v_bfe_u32 v2, v52, 23, 1
	v_mov_b32_e32 v1, v53
; %bb.11466:                            ;   in Loop: Header=BB6_10813 Depth=3
	s_or_b64 exec, exec, s[28:29]
	v_lshrrev_b64 v[0:1], 20, v[0:1]
	v_cmp_gt_i32_e32 vcc, 16, v2
	v_cndmask_b32_e32 v1, 0, v1, vcc
	v_cndmask_b32_e32 v0, 7, v0, vcc
	v_cmp_eq_u64_e64 s[28:29], 0, v[0:1]
	v_min_i32_e32 v1, 15, v2
	v_lshlrev_b32_e32 v1, 3, v1
	v_cmp_eq_u32_e32 vcc, 0, v2
	v_and_b32_e32 v1, 0xf8, v1
	v_and_or_b32 v0, v0, 7, v1
	s_and_b64 s[28:29], vcc, s[28:29]
	v_cndmask_b32_e64 v0, v0, 0, s[28:29]
	v_or_b32_e32 v49, v0, v3
.LBB6_11467:                            ;   in Loop: Header=BB6_10813 Depth=3
	s_or_b64 exec, exec, s[48:49]
                                        ; implicit-def: $vgpr3
.LBB6_11468:                            ;   in Loop: Header=BB6_10813 Depth=3
	s_andn2_saveexec_b64 s[28:29], s[38:39]
; %bb.11469:                            ;   in Loop: Header=BB6_10813 Depth=3
	v_or_b32_e32 v49, 0x7e, v3
; %bb.11470:                            ;   in Loop: Header=BB6_10813 Depth=3
	s_or_b64 exec, exec, s[28:29]
                                        ; implicit-def: $vgpr1
.LBB6_11471:                            ;   in Loop: Header=BB6_10813 Depth=3
	s_andn2_saveexec_b64 s[28:29], s[40:41]
; %bb.11472:                            ;   in Loop: Header=BB6_10813 Depth=3
	v_or_b32_sdwa v49, v1, s83 dst_sel:DWORD dst_unused:UNUSED_PAD src0_sel:BYTE_3 src1_sel:DWORD
; %bb.11473:                            ;   in Loop: Header=BB6_10813 Depth=3
	s_or_b64 exec, exec, s[28:29]
	v_cmp_lt_u64_e64 s[28:29], s[62:63], v[50:51]
	v_lshrrev_b32_e32 v2, 24, v51
	v_lshrrev_b32_e32 v0, 24, v39
	s_mov_b64 s[40:41], -1
	s_and_b64 vcc, exec, s[46:47]
                                        ; implicit-def: $vgpr1
	s_cbranch_vccz .LBB6_11487
; %bb.11474:                            ;   in Loop: Header=BB6_10813 Depth=3
	v_mov_b32_e32 v3, 0
	v_mov_b32_e32 v1, 0
	s_and_saveexec_b64 s[40:41], s[28:29]
	s_cbranch_execz .LBB6_11480
; %bb.11475:                            ;   in Loop: Header=BB6_10813 Depth=3
	v_cmp_ne_u32_e32 vcc, s82, v2
	v_bfrev_b32_e32 v1, 1
	s_and_saveexec_b64 s[38:39], vcc
	s_cbranch_execz .LBB6_11479
; %bb.11476:                            ;   in Loop: Header=BB6_10813 Depth=3
	v_bfe_u32 v31, v51, 24, 7
	v_cmp_ne_u32_e32 vcc, s83, v31
	v_mov_b32_e32 v1, 0x7f800001
	s_and_saveexec_b64 s[48:49], vcc
	s_cbranch_execz .LBB6_11478
; %bb.11477:                            ;   in Loop: Header=BB6_10813 Depth=3
	v_and_b32_e32 v1, 7, v2
	v_lshrrev_b32_e32 v48, 3, v31
	v_cmp_gt_u32_e32 vcc, 8, v31
	v_ffbh_u32_e32 v31, v1
	v_min_u32_e32 v31, 32, v31
	v_subrev_u32_e32 v36, 28, v31
	v_lshlrev_b64 v[36:37], v36, v[2:3]
	v_sub_u32_e32 v31, 29, v31
	v_and_b32_e32 v36, 7, v36
	v_cndmask_b32_e32 v31, v48, v31, vcc
	v_cndmask_b32_e32 v1, v1, v36, vcc
	v_lshlrev_b32_e32 v36, 24, v2
	v_bfrev_b32_e32 v37, 60
	v_lshlrev_b32_e32 v1, 20, v1
	v_and_b32_e32 v36, 0x80000000, v36
	v_lshl_add_u32 v31, v31, 23, v37
	v_or3_b32 v1, v36, v31, v1
.LBB6_11478:                            ;   in Loop: Header=BB6_10813 Depth=3
	s_or_b64 exec, exec, s[48:49]
.LBB6_11479:                            ;   in Loop: Header=BB6_10813 Depth=3
	s_or_b64 exec, exec, s[38:39]
.LBB6_11480:                            ;   in Loop: Header=BB6_10813 Depth=3
	s_or_b64 exec, exec, s[40:41]
	v_cmp_lt_u64_e32 vcc, s[62:63], v[38:39]
	s_and_saveexec_b64 s[40:41], vcc
	s_cbranch_execz .LBB6_11486
; %bb.11481:                            ;   in Loop: Header=BB6_10813 Depth=3
	v_cmp_ne_u32_e32 vcc, s82, v0
	v_bfrev_b32_e32 v3, 1
	s_and_saveexec_b64 s[38:39], vcc
	s_cbranch_execz .LBB6_11485
; %bb.11482:                            ;   in Loop: Header=BB6_10813 Depth=3
	v_bfe_u32 v31, v39, 24, 7
	v_cmp_ne_u32_e32 vcc, s83, v31
	v_mov_b32_e32 v3, 0x7f800001
	s_and_saveexec_b64 s[48:49], vcc
	s_cbranch_execz .LBB6_11484
; %bb.11483:                            ;   in Loop: Header=BB6_10813 Depth=3
	v_and_b32_e32 v3, 7, v0
	v_lshrrev_b32_e32 v48, 3, v31
	v_cmp_gt_u32_e32 vcc, 8, v31
	v_ffbh_u32_e32 v31, v3
	v_min_u32_e32 v31, 32, v31
	v_subrev_u32_e32 v36, 28, v31
	v_lshlrev_b64 v[36:37], v36, v[0:1]
	v_sub_u32_e32 v31, 29, v31
	v_and_b32_e32 v36, 7, v36
	v_cndmask_b32_e32 v31, v48, v31, vcc
	v_cndmask_b32_e32 v3, v3, v36, vcc
	v_lshlrev_b32_e32 v36, 24, v0
	v_bfrev_b32_e32 v37, 60
	v_lshlrev_b32_e32 v3, 20, v3
	v_and_b32_e32 v36, 0x80000000, v36
	v_lshl_add_u32 v31, v31, 23, v37
	v_or3_b32 v3, v36, v31, v3
.LBB6_11484:                            ;   in Loop: Header=BB6_10813 Depth=3
	s_or_b64 exec, exec, s[48:49]
.LBB6_11485:                            ;   in Loop: Header=BB6_10813 Depth=3
	s_or_b64 exec, exec, s[38:39]
.LBB6_11486:                            ;   in Loop: Header=BB6_10813 Depth=3
	s_or_b64 exec, exec, s[40:41]
	v_max_f32_e32 v3, v3, v3
	v_max_f32_e32 v1, v1, v1
	;; [unrolled: 1-line block ×3, first 2 shown]
	s_mov_b64 s[40:41], 0
.LBB6_11487:                            ;   in Loop: Header=BB6_10813 Depth=3
	s_and_b64 vcc, exec, s[40:41]
	s_cbranch_vccz .LBB6_11501
; %bb.11488:                            ;   in Loop: Header=BB6_10813 Depth=3
	v_mov_b32_e32 v3, 0
	v_mov_b32_e32 v1, 0
	s_and_saveexec_b64 s[40:41], s[28:29]
	s_cbranch_execz .LBB6_11494
; %bb.11489:                            ;   in Loop: Header=BB6_10813 Depth=3
	v_cmp_ne_u32_e32 vcc, s82, v2
	v_bfrev_b32_e32 v1, 1
	s_and_saveexec_b64 s[28:29], vcc
	s_cbranch_execz .LBB6_11493
; %bb.11490:                            ;   in Loop: Header=BB6_10813 Depth=3
	v_bfe_u32 v31, v51, 24, 7
	v_cmp_ne_u32_e32 vcc, s83, v31
	v_mov_b32_e32 v1, 0x7f800001
	s_and_saveexec_b64 s[38:39], vcc
	s_cbranch_execz .LBB6_11492
; %bb.11491:                            ;   in Loop: Header=BB6_10813 Depth=3
	v_and_b32_e32 v1, 7, v2
	v_lshrrev_b32_e32 v48, 3, v31
	v_cmp_gt_u32_e32 vcc, 8, v31
	v_ffbh_u32_e32 v31, v1
	v_min_u32_e32 v31, 32, v31
	v_subrev_u32_e32 v36, 28, v31
	v_lshlrev_b64 v[36:37], v36, v[2:3]
	v_sub_u32_e32 v31, 29, v31
	v_and_b32_e32 v36, 7, v36
	v_cndmask_b32_e32 v31, v48, v31, vcc
	v_cndmask_b32_e32 v1, v1, v36, vcc
	v_lshlrev_b32_e32 v2, 24, v2
	v_bfrev_b32_e32 v36, 60
	v_lshlrev_b32_e32 v1, 20, v1
	v_and_b32_e32 v2, 0x80000000, v2
	v_lshl_add_u32 v31, v31, 23, v36
	v_or3_b32 v1, v2, v31, v1
.LBB6_11492:                            ;   in Loop: Header=BB6_10813 Depth=3
	s_or_b64 exec, exec, s[38:39]
.LBB6_11493:                            ;   in Loop: Header=BB6_10813 Depth=3
	s_or_b64 exec, exec, s[28:29]
.LBB6_11494:                            ;   in Loop: Header=BB6_10813 Depth=3
	s_or_b64 exec, exec, s[40:41]
	v_cmp_lt_u64_e32 vcc, s[62:63], v[38:39]
	s_and_saveexec_b64 s[28:29], vcc
	s_cbranch_execz .LBB6_11500
; %bb.11495:                            ;   in Loop: Header=BB6_10813 Depth=3
	v_cmp_ne_u32_e32 vcc, s82, v0
	v_bfrev_b32_e32 v3, 1
	s_and_saveexec_b64 s[40:41], vcc
	s_cbranch_execz .LBB6_11499
; %bb.11496:                            ;   in Loop: Header=BB6_10813 Depth=3
	v_bfe_u32 v2, v39, 24, 7
	v_cmp_ne_u32_e32 vcc, s83, v2
	v_mov_b32_e32 v3, 0x7f800001
	s_and_saveexec_b64 s[38:39], vcc
	s_cbranch_execz .LBB6_11498
; %bb.11497:                            ;   in Loop: Header=BB6_10813 Depth=3
	v_and_b32_e32 v31, 7, v0
	v_lshrrev_b32_e32 v36, 3, v2
	v_cmp_gt_u32_e32 vcc, 8, v2
	v_ffbh_u32_e32 v2, v31
	v_min_u32_e32 v37, 32, v2
	v_subrev_u32_e32 v2, 28, v37
	v_lshlrev_b64 v[2:3], v2, v[0:1]
	v_sub_u32_e32 v3, 29, v37
	v_and_b32_e32 v2, 7, v2
	v_cndmask_b32_e32 v3, v36, v3, vcc
	v_cndmask_b32_e32 v2, v31, v2, vcc
	v_lshlrev_b32_e32 v0, 24, v0
	v_bfrev_b32_e32 v31, 60
	v_lshlrev_b32_e32 v2, 20, v2
	v_and_b32_e32 v0, 0x80000000, v0
	v_lshl_add_u32 v3, v3, 23, v31
	v_or3_b32 v3, v0, v3, v2
.LBB6_11498:                            ;   in Loop: Header=BB6_10813 Depth=3
	s_or_b64 exec, exec, s[38:39]
.LBB6_11499:                            ;   in Loop: Header=BB6_10813 Depth=3
	s_or_b64 exec, exec, s[40:41]
.LBB6_11500:                            ;   in Loop: Header=BB6_10813 Depth=3
	s_or_b64 exec, exec, s[28:29]
	v_max_f32_e32 v0, v3, v3
	v_max_f32_e32 v1, v1, v1
	v_min_f32_e32 v1, v1, v0
.LBB6_11501:                            ;   in Loop: Header=BB6_10813 Depth=3
	v_and_b32_e32 v52, 0x7f800000, v1
	v_cmp_ne_u64_e32 vcc, s[76:77], v[52:53]
	buffer_store_dword v49, off, s[0:3], s33 offset:128 ; 4-byte Folded Spill
                                        ; implicit-def: $vgpr36
	s_and_saveexec_b64 s[28:29], vcc
	s_xor_b64 s[40:41], exec, s[28:29]
	s_cbranch_execz .LBB6_11515
; %bb.11502:                            ;   in Loop: Header=BB6_10813 Depth=3
	v_and_b32_e32 v52, 0x7fffffff, v1
	v_cmp_gt_u64_e32 vcc, s[78:79], v[52:53]
	v_and_b32_sdwa v3, v1, s82 dst_sel:DWORD dst_unused:UNUSED_PAD src0_sel:BYTE_3 src1_sel:DWORD
                                        ; implicit-def: $vgpr36
	s_and_saveexec_b64 s[28:29], vcc
	s_xor_b64 s[38:39], exec, s[28:29]
	s_cbranch_execz .LBB6_11512
; %bb.11503:                            ;   in Loop: Header=BB6_10813 Depth=3
	v_mov_b32_e32 v36, 0
	v_cmp_ne_u32_e32 vcc, 0, v1
	s_and_saveexec_b64 s[48:49], vcc
	s_cbranch_execz .LBB6_11511
; %bb.11504:                            ;   in Loop: Header=BB6_10813 Depth=3
	v_bfe_u32 v31, v1, 23, 8
	v_and_b32_e32 v0, 0x7fffff, v1
	v_cmp_gt_u32_e64 s[28:29], s85, v31
	v_sub_u32_e32 v1, 0x79, v31
	v_cmp_eq_u32_e32 vcc, 0, v31
	v_cndmask_b32_e64 v1, 0, v1, s[28:29]
	v_mov_b32_e32 v36, 0x78
	v_or_b32_e32 v2, 0x800000, v0
	v_cndmask_b32_e32 v36, v1, v36, vcc
	v_cndmask_b32_e32 v52, v2, v0, vcc
	v_add_u32_e32 v0, 20, v36
	v_lshlrev_b64 v[0:1], v0, -1
	v_add_u32_e32 v2, 19, v36
	v_lshlrev_b64 v[37:38], v2, 1
	v_bfi_b32 v1, v1, 0, 0
	v_bfi_b32 v0, v0, 0, v52
	v_cmp_eq_u64_e64 s[28:29], v[0:1], v[37:38]
	v_lshrrev_b64 v[0:1], v36, v[52:53]
	v_mov_b32_e32 v2, v1
	v_mov_b32_e32 v1, v0
	s_and_saveexec_b64 s[50:51], s[28:29]
; %bb.11505:                            ;   in Loop: Header=BB6_10813 Depth=3
	v_bfe_u32 v1, v0, 20, 1
	v_add_co_u32_e64 v1, s[28:29], v0, v1
	v_add_co_u32_e64 v1, s[28:29], -1, v1
; %bb.11506:                            ;   in Loop: Header=BB6_10813 Depth=3
	s_or_b64 exec, exec, s[50:51]
	v_add_u32_e32 v2, 0xffffff81, v31
	v_mov_b32_e32 v31, 0xffffff82
	v_cndmask_b32_e32 v2, v2, v31, vcc
	v_lshrrev_b32_e32 v31, 23, v0
	v_add3_u32 v36, v36, v2, v31
	v_add_u32_e32 v31, 6, v36
	v_and_b32_e32 v1, 0xfffff, v1
	v_add_u32_e32 v52, v1, v0
	v_cmp_ne_u32_e32 vcc, 0, v31
                                        ; implicit-def: $vgpr0_vgpr1
                                        ; implicit-def: $vgpr2
	s_and_saveexec_b64 s[28:29], vcc
	s_xor_b64 s[28:29], exec, s[28:29]
; %bb.11507:                            ;   in Loop: Header=BB6_10813 Depth=3
	v_cmp_lt_u64_e32 vcc, s[88:89], v[52:53]
	v_add_u32_e32 v0, 7, v36
	v_cndmask_b32_e32 v2, v31, v0, vcc
	v_cndmask_b32_e64 v0, 0, 1, vcc
	v_lshrrev_b64 v[0:1], v0, v[52:53]
; %bb.11508:                            ;   in Loop: Header=BB6_10813 Depth=3
	s_andn2_saveexec_b64 s[28:29], s[28:29]
; %bb.11509:                            ;   in Loop: Header=BB6_10813 Depth=3
	v_mov_b32_e32 v0, v52
	v_bfe_u32 v2, v52, 23, 1
	v_mov_b32_e32 v1, v53
; %bb.11510:                            ;   in Loop: Header=BB6_10813 Depth=3
	s_or_b64 exec, exec, s[28:29]
	v_lshrrev_b64 v[0:1], 20, v[0:1]
	v_cmp_gt_i32_e32 vcc, 16, v2
	v_cndmask_b32_e32 v1, 0, v1, vcc
	v_cndmask_b32_e32 v0, 7, v0, vcc
	v_cmp_eq_u64_e64 s[28:29], 0, v[0:1]
	v_min_i32_e32 v1, 15, v2
	v_lshlrev_b32_e32 v1, 3, v1
	v_cmp_eq_u32_e32 vcc, 0, v2
	v_and_b32_e32 v1, 0xf8, v1
	v_and_or_b32 v0, v0, 7, v1
	s_and_b64 s[28:29], vcc, s[28:29]
	v_cndmask_b32_e64 v0, v0, 0, s[28:29]
	v_or_b32_e32 v36, v0, v3
.LBB6_11511:                            ;   in Loop: Header=BB6_10813 Depth=3
	s_or_b64 exec, exec, s[48:49]
                                        ; implicit-def: $vgpr3
.LBB6_11512:                            ;   in Loop: Header=BB6_10813 Depth=3
	s_andn2_saveexec_b64 s[28:29], s[38:39]
; %bb.11513:                            ;   in Loop: Header=BB6_10813 Depth=3
	v_or_b32_e32 v36, 0x7e, v3
; %bb.11514:                            ;   in Loop: Header=BB6_10813 Depth=3
	s_or_b64 exec, exec, s[28:29]
                                        ; implicit-def: $vgpr1
.LBB6_11515:                            ;   in Loop: Header=BB6_10813 Depth=3
	s_andn2_saveexec_b64 s[28:29], s[40:41]
; %bb.11516:                            ;   in Loop: Header=BB6_10813 Depth=3
	v_or_b32_sdwa v36, v1, s83 dst_sel:DWORD dst_unused:UNUSED_PAD src0_sel:BYTE_3 src1_sel:DWORD
; %bb.11517:                            ;   in Loop: Header=BB6_10813 Depth=3
	s_or_b64 exec, exec, s[28:29]
	v_cndmask_b32_e64 v0, 0, 1, s[46:47]
	v_cmp_ne_u16_sdwa s[40:41], v32, v53 src0_sel:BYTE_0 src1_sel:DWORD
	v_cmp_ne_u32_e64 s[28:29], 1, v0
	s_andn2_b64 vcc, exec, s[46:47]
	s_mov_b64 s[38:39], -1
                                        ; implicit-def: $vgpr0
	s_cbranch_vccnz .LBB6_11531
; %bb.11518:                            ;   in Loop: Header=BB6_10813 Depth=3
	v_mov_b32_e32 v1, 0
	v_mov_b32_e32 v0, 0
	s_and_saveexec_b64 s[38:39], s[40:41]
	s_cbranch_execz .LBB6_11524
; %bb.11519:                            ;   in Loop: Header=BB6_10813 Depth=3
	v_cmp_ne_u16_sdwa vcc, v32, s82 src0_sel:BYTE_0 src1_sel:DWORD
	v_bfrev_b32_e32 v0, 1
	s_and_saveexec_b64 s[48:49], vcc
	s_cbranch_execz .LBB6_11523
; %bb.11520:                            ;   in Loop: Header=BB6_10813 Depth=3
	v_and_b32_e32 v2, 0x7f, v32
	v_cmp_ne_u32_e32 vcc, s83, v2
	v_mov_b32_e32 v0, 0x7f800001
	s_and_saveexec_b64 s[50:51], vcc
	s_cbranch_execz .LBB6_11522
; %bb.11521:                            ;   in Loop: Header=BB6_10813 Depth=3
	v_and_b32_e32 v0, 7, v32
	v_ffbh_u32_e32 v0, v0
	v_min_u32_e32 v0, 32, v0
	v_lshrrev_b32_e32 v3, 3, v2
	v_cmp_gt_u32_e32 vcc, 8, v2
	v_subrev_u32_e32 v2, 28, v0
	v_sub_u32_e32 v0, 29, v0
	v_cndmask_b32_e32 v2, 0, v2, vcc
	v_cndmask_b32_e32 v0, v3, v0, vcc
	v_lshlrev_b64 v[2:3], v2, v[32:33]
	v_lshlrev_b32_e32 v3, 24, v32
	v_lshlrev_b32_e32 v2, 20, v2
	v_bfrev_b32_e32 v31, 60
	v_and_b32_e32 v2, 0x700000, v2
	v_and_b32_e32 v3, 0x80000000, v3
	v_lshl_add_u32 v0, v0, 23, v31
	v_or3_b32 v0, v3, v0, v2
.LBB6_11522:                            ;   in Loop: Header=BB6_10813 Depth=3
	s_or_b64 exec, exec, s[50:51]
.LBB6_11523:                            ;   in Loop: Header=BB6_10813 Depth=3
	s_or_b64 exec, exec, s[48:49]
.LBB6_11524:                            ;   in Loop: Header=BB6_10813 Depth=3
	s_or_b64 exec, exec, s[38:39]
	s_waitcnt vmcnt(8)
	v_cmp_ne_u16_sdwa vcc, v24, v53 src0_sel:BYTE_0 src1_sel:DWORD
	s_and_saveexec_b64 s[38:39], vcc
	s_cbranch_execz .LBB6_11530
; %bb.11525:                            ;   in Loop: Header=BB6_10813 Depth=3
	v_cmp_ne_u16_sdwa vcc, v24, s82 src0_sel:BYTE_0 src1_sel:DWORD
	v_bfrev_b32_e32 v1, 1
	s_and_saveexec_b64 s[48:49], vcc
	s_cbranch_execz .LBB6_11529
; %bb.11526:                            ;   in Loop: Header=BB6_10813 Depth=3
	v_and_b32_e32 v2, 0x7f, v24
	v_cmp_ne_u32_e32 vcc, s83, v2
	v_mov_b32_e32 v1, 0x7f800001
	s_and_saveexec_b64 s[50:51], vcc
	s_cbranch_execz .LBB6_11528
; %bb.11527:                            ;   in Loop: Header=BB6_10813 Depth=3
	v_and_b32_e32 v1, 7, v24
	v_ffbh_u32_e32 v1, v1
	v_min_u32_e32 v1, 32, v1
	v_lshrrev_b32_e32 v3, 3, v2
	v_cmp_gt_u32_e32 vcc, 8, v2
	v_subrev_u32_e32 v2, 28, v1
	v_sub_u32_e32 v1, 29, v1
	v_cndmask_b32_e32 v3, v3, v1, vcc
	v_cndmask_b32_e32 v1, 0, v2, vcc
	v_lshlrev_b64 v[1:2], v1, v[24:25]
	v_lshlrev_b32_e32 v2, 24, v24
	v_lshlrev_b32_e32 v1, 20, v1
	v_bfrev_b32_e32 v31, 60
	v_and_b32_e32 v1, 0x700000, v1
	v_and_b32_e32 v2, 0x80000000, v2
	v_lshl_add_u32 v3, v3, 23, v31
	v_or3_b32 v1, v2, v3, v1
.LBB6_11528:                            ;   in Loop: Header=BB6_10813 Depth=3
	s_or_b64 exec, exec, s[50:51]
.LBB6_11529:                            ;   in Loop: Header=BB6_10813 Depth=3
	s_or_b64 exec, exec, s[48:49]
.LBB6_11530:                            ;   in Loop: Header=BB6_10813 Depth=3
	s_or_b64 exec, exec, s[38:39]
	v_max_f32_e32 v1, v1, v1
	v_max_f32_e32 v0, v0, v0
	;; [unrolled: 1-line block ×3, first 2 shown]
	s_mov_b64 s[38:39], 0
.LBB6_11531:                            ;   in Loop: Header=BB6_10813 Depth=3
	s_and_b64 vcc, exec, s[38:39]
	s_cbranch_vccz .LBB6_11545
; %bb.11532:                            ;   in Loop: Header=BB6_10813 Depth=3
	v_mov_b32_e32 v1, 0
	v_mov_b32_e32 v0, 0
	s_and_saveexec_b64 s[38:39], s[40:41]
	s_cbranch_execz .LBB6_11538
; %bb.11533:                            ;   in Loop: Header=BB6_10813 Depth=3
	v_cmp_ne_u16_sdwa vcc, v32, s82 src0_sel:BYTE_0 src1_sel:DWORD
	v_bfrev_b32_e32 v0, 1
	s_and_saveexec_b64 s[40:41], vcc
	s_cbranch_execz .LBB6_11537
; %bb.11534:                            ;   in Loop: Header=BB6_10813 Depth=3
	v_and_b32_e32 v2, 0x7f, v32
	v_cmp_ne_u32_e32 vcc, s83, v2
	v_mov_b32_e32 v0, 0x7f800001
	s_and_saveexec_b64 s[48:49], vcc
	s_cbranch_execz .LBB6_11536
; %bb.11535:                            ;   in Loop: Header=BB6_10813 Depth=3
	v_and_b32_e32 v0, 7, v32
	v_ffbh_u32_e32 v0, v0
	v_min_u32_e32 v0, 32, v0
	v_lshrrev_b32_e32 v3, 3, v2
	v_cmp_gt_u32_e32 vcc, 8, v2
	v_subrev_u32_e32 v2, 28, v0
	v_sub_u32_e32 v0, 29, v0
	v_cndmask_b32_e32 v2, 0, v2, vcc
	v_cndmask_b32_e32 v0, v3, v0, vcc
	v_lshlrev_b64 v[2:3], v2, v[32:33]
	v_lshlrev_b32_e32 v3, 24, v32
	v_lshlrev_b32_e32 v2, 20, v2
	v_bfrev_b32_e32 v31, 60
	v_and_b32_e32 v2, 0x700000, v2
	v_and_b32_e32 v3, 0x80000000, v3
	v_lshl_add_u32 v0, v0, 23, v31
	v_or3_b32 v0, v3, v0, v2
.LBB6_11536:                            ;   in Loop: Header=BB6_10813 Depth=3
	s_or_b64 exec, exec, s[48:49]
.LBB6_11537:                            ;   in Loop: Header=BB6_10813 Depth=3
	s_or_b64 exec, exec, s[40:41]
.LBB6_11538:                            ;   in Loop: Header=BB6_10813 Depth=3
	s_or_b64 exec, exec, s[38:39]
	s_waitcnt vmcnt(8)
	v_cmp_ne_u16_sdwa vcc, v24, v53 src0_sel:BYTE_0 src1_sel:DWORD
	s_and_saveexec_b64 s[40:41], vcc
	s_cbranch_execz .LBB6_11544
; %bb.11539:                            ;   in Loop: Header=BB6_10813 Depth=3
	v_cmp_ne_u16_sdwa vcc, v24, s82 src0_sel:BYTE_0 src1_sel:DWORD
	v_bfrev_b32_e32 v1, 1
	s_and_saveexec_b64 s[38:39], vcc
	s_cbranch_execz .LBB6_11543
; %bb.11540:                            ;   in Loop: Header=BB6_10813 Depth=3
	v_and_b32_e32 v2, 0x7f, v24
	v_cmp_ne_u32_e32 vcc, s83, v2
	v_mov_b32_e32 v1, 0x7f800001
	s_and_saveexec_b64 s[48:49], vcc
	s_cbranch_execz .LBB6_11542
; %bb.11541:                            ;   in Loop: Header=BB6_10813 Depth=3
	v_and_b32_e32 v1, 7, v24
	v_ffbh_u32_e32 v1, v1
	v_min_u32_e32 v1, 32, v1
	v_lshrrev_b32_e32 v3, 3, v2
	v_cmp_gt_u32_e32 vcc, 8, v2
	v_subrev_u32_e32 v2, 28, v1
	v_sub_u32_e32 v1, 29, v1
	v_cndmask_b32_e32 v3, v3, v1, vcc
	v_cndmask_b32_e32 v1, 0, v2, vcc
	v_lshlrev_b64 v[1:2], v1, v[24:25]
	v_lshlrev_b32_e32 v2, 24, v24
	v_lshlrev_b32_e32 v1, 20, v1
	v_bfrev_b32_e32 v31, 60
	v_and_b32_e32 v1, 0x700000, v1
	v_and_b32_e32 v2, 0x80000000, v2
	v_lshl_add_u32 v3, v3, 23, v31
	v_or3_b32 v1, v2, v3, v1
.LBB6_11542:                            ;   in Loop: Header=BB6_10813 Depth=3
	s_or_b64 exec, exec, s[48:49]
.LBB6_11543:                            ;   in Loop: Header=BB6_10813 Depth=3
	s_or_b64 exec, exec, s[38:39]
.LBB6_11544:                            ;   in Loop: Header=BB6_10813 Depth=3
	s_or_b64 exec, exec, s[40:41]
	v_max_f32_e32 v1, v1, v1
	v_max_f32_e32 v0, v0, v0
	v_min_f32_e32 v0, v0, v1
.LBB6_11545:                            ;   in Loop: Header=BB6_10813 Depth=3
	v_and_b32_e32 v52, 0x7f800000, v0
	v_cmp_ne_u64_e32 vcc, s[76:77], v[52:53]
	buffer_store_dword v36, off, s[0:3], s33 offset:132 ; 4-byte Folded Spill
                                        ; implicit-def: $vgpr39
	s_and_saveexec_b64 s[40:41], vcc
	s_xor_b64 s[38:39], exec, s[40:41]
	s_cbranch_execz .LBB6_11559
; %bb.11546:                            ;   in Loop: Header=BB6_10813 Depth=3
	v_and_b32_e32 v52, 0x7fffffff, v0
	v_cmp_gt_u64_e32 vcc, s[78:79], v[52:53]
	v_and_b32_sdwa v3, v0, s82 dst_sel:DWORD dst_unused:UNUSED_PAD src0_sel:BYTE_3 src1_sel:DWORD
                                        ; implicit-def: $vgpr39
	s_and_saveexec_b64 s[40:41], vcc
	s_xor_b64 s[48:49], exec, s[40:41]
	s_cbranch_execz .LBB6_11556
; %bb.11547:                            ;   in Loop: Header=BB6_10813 Depth=3
	v_mov_b32_e32 v39, 0
	v_cmp_ne_u32_e32 vcc, 0, v0
	s_and_saveexec_b64 s[50:51], vcc
	s_cbranch_execz .LBB6_11555
; %bb.11548:                            ;   in Loop: Header=BB6_10813 Depth=3
	v_bfe_u32 v31, v0, 23, 8
	v_and_b32_e32 v1, 0x7fffff, v0
	v_cmp_gt_u32_e64 s[40:41], s85, v31
	v_sub_u32_e32 v0, 0x79, v31
	v_cmp_eq_u32_e32 vcc, 0, v31
	v_cndmask_b32_e64 v0, 0, v0, s[40:41]
	v_mov_b32_e32 v36, 0x78
	v_cndmask_b32_e32 v36, v0, v36, vcc
	v_or_b32_e32 v2, 0x800000, v1
	v_add_u32_e32 v0, 20, v36
	v_cndmask_b32_e32 v52, v2, v1, vcc
	v_lshlrev_b64 v[0:1], v0, -1
	v_add_u32_e32 v2, 19, v36
	v_lshlrev_b64 v[37:38], v2, 1
	v_bfi_b32 v1, v1, 0, 0
	v_bfi_b32 v0, v0, 0, v52
	v_cmp_eq_u64_e64 s[40:41], v[0:1], v[37:38]
	v_lshrrev_b64 v[0:1], v36, v[52:53]
	v_mov_b32_e32 v2, v1
	v_mov_b32_e32 v1, v0
	s_and_saveexec_b64 s[52:53], s[40:41]
; %bb.11549:                            ;   in Loop: Header=BB6_10813 Depth=3
	v_bfe_u32 v1, v0, 20, 1
	v_add_co_u32_e64 v1, s[40:41], v0, v1
	v_add_co_u32_e64 v1, s[40:41], -1, v1
; %bb.11550:                            ;   in Loop: Header=BB6_10813 Depth=3
	s_or_b64 exec, exec, s[52:53]
	v_add_u32_e32 v2, 0xffffff81, v31
	v_mov_b32_e32 v31, 0xffffff82
	v_cndmask_b32_e32 v2, v2, v31, vcc
	v_lshrrev_b32_e32 v31, 23, v0
	v_add3_u32 v36, v36, v2, v31
	v_add_u32_e32 v31, 6, v36
	v_and_b32_e32 v1, 0xfffff, v1
	v_add_u32_e32 v52, v1, v0
	v_cmp_ne_u32_e32 vcc, 0, v31
                                        ; implicit-def: $vgpr0_vgpr1
                                        ; implicit-def: $vgpr2
	s_and_saveexec_b64 s[40:41], vcc
	s_xor_b64 s[40:41], exec, s[40:41]
; %bb.11551:                            ;   in Loop: Header=BB6_10813 Depth=3
	v_cmp_lt_u64_e32 vcc, s[88:89], v[52:53]
	v_add_u32_e32 v0, 7, v36
	v_cndmask_b32_e32 v2, v31, v0, vcc
	v_cndmask_b32_e64 v0, 0, 1, vcc
	v_lshrrev_b64 v[0:1], v0, v[52:53]
; %bb.11552:                            ;   in Loop: Header=BB6_10813 Depth=3
	s_andn2_saveexec_b64 s[40:41], s[40:41]
; %bb.11553:                            ;   in Loop: Header=BB6_10813 Depth=3
	v_mov_b32_e32 v0, v52
	v_bfe_u32 v2, v52, 23, 1
	v_mov_b32_e32 v1, v53
; %bb.11554:                            ;   in Loop: Header=BB6_10813 Depth=3
	s_or_b64 exec, exec, s[40:41]
	v_lshrrev_b64 v[0:1], 20, v[0:1]
	v_cmp_gt_i32_e32 vcc, 16, v2
	v_cndmask_b32_e32 v1, 0, v1, vcc
	v_cndmask_b32_e32 v0, 7, v0, vcc
	v_cmp_eq_u64_e64 s[40:41], 0, v[0:1]
	v_min_i32_e32 v1, 15, v2
	v_lshlrev_b32_e32 v1, 3, v1
	v_cmp_eq_u32_e32 vcc, 0, v2
	v_and_b32_e32 v1, 0xf8, v1
	v_and_or_b32 v0, v0, 7, v1
	s_and_b64 s[40:41], vcc, s[40:41]
	v_cndmask_b32_e64 v0, v0, 0, s[40:41]
	v_or_b32_e32 v39, v0, v3
.LBB6_11555:                            ;   in Loop: Header=BB6_10813 Depth=3
	s_or_b64 exec, exec, s[50:51]
                                        ; implicit-def: $vgpr3
.LBB6_11556:                            ;   in Loop: Header=BB6_10813 Depth=3
	s_andn2_saveexec_b64 s[40:41], s[48:49]
; %bb.11557:                            ;   in Loop: Header=BB6_10813 Depth=3
	v_or_b32_e32 v39, 0x7e, v3
; %bb.11558:                            ;   in Loop: Header=BB6_10813 Depth=3
	s_or_b64 exec, exec, s[40:41]
                                        ; implicit-def: $vgpr0
.LBB6_11559:                            ;   in Loop: Header=BB6_10813 Depth=3
	s_andn2_saveexec_b64 s[40:41], s[38:39]
; %bb.11560:                            ;   in Loop: Header=BB6_10813 Depth=3
	v_or_b32_sdwa v39, v0, s83 dst_sel:DWORD dst_unused:UNUSED_PAD src0_sel:BYTE_3 src1_sel:DWORD
; %bb.11561:                            ;   in Loop: Header=BB6_10813 Depth=3
	s_or_b64 exec, exec, s[40:41]
	v_lshrrev_b16_e32 v2, 8, v32
	s_waitcnt vmcnt(9)
	v_lshrrev_b16_e32 v0, 8, v24
	v_cmp_ne_u16_e64 s[40:41], 0, v2
	s_and_b64 vcc, exec, s[28:29]
	s_mov_b64 s[38:39], -1
                                        ; implicit-def: $vgpr1
	s_cbranch_vccnz .LBB6_11575
; %bb.11562:                            ;   in Loop: Header=BB6_10813 Depth=3
	v_mov_b32_e32 v3, 0
	v_mov_b32_e32 v1, 0
	s_and_saveexec_b64 s[38:39], s[40:41]
	s_cbranch_execz .LBB6_11568
; %bb.11563:                            ;   in Loop: Header=BB6_10813 Depth=3
	v_cmp_ne_u16_e32 vcc, s82, v2
	v_bfrev_b32_e32 v1, 1
	s_and_saveexec_b64 s[48:49], vcc
	s_cbranch_execz .LBB6_11567
; %bb.11564:                            ;   in Loop: Header=BB6_10813 Depth=3
	v_and_b32_e32 v31, 0x7f, v2
	v_cmp_ne_u32_e32 vcc, s83, v31
	v_mov_b32_e32 v1, 0x7f800001
	s_and_saveexec_b64 s[50:51], vcc
	s_cbranch_execz .LBB6_11566
; %bb.11565:                            ;   in Loop: Header=BB6_10813 Depth=3
	v_and_b32_e32 v1, 7, v2
	v_lshrrev_b32_e32 v38, 3, v31
	v_cmp_gt_u32_e32 vcc, 8, v31
	v_ffbh_u32_e32 v31, v1
	v_min_u32_e32 v31, 32, v31
	v_subrev_u32_e32 v36, 28, v31
	v_lshlrev_b64 v[36:37], v36, v[2:3]
	v_sub_u32_e32 v31, 29, v31
	v_and_b32_e32 v36, 7, v36
	v_cndmask_b32_e32 v31, v38, v31, vcc
	v_cndmask_b32_e32 v1, v1, v36, vcc
	v_lshlrev_b32_e32 v36, 16, v32
	v_bfrev_b32_e32 v37, 60
	v_lshlrev_b32_e32 v1, 20, v1
	v_and_b32_e32 v36, 0x80000000, v36
	v_lshl_add_u32 v31, v31, 23, v37
	v_or3_b32 v1, v36, v31, v1
.LBB6_11566:                            ;   in Loop: Header=BB6_10813 Depth=3
	s_or_b64 exec, exec, s[50:51]
.LBB6_11567:                            ;   in Loop: Header=BB6_10813 Depth=3
	s_or_b64 exec, exec, s[48:49]
.LBB6_11568:                            ;   in Loop: Header=BB6_10813 Depth=3
	s_or_b64 exec, exec, s[38:39]
	v_cmp_ne_u16_e32 vcc, 0, v0
	s_and_saveexec_b64 s[38:39], vcc
	s_cbranch_execz .LBB6_11574
; %bb.11569:                            ;   in Loop: Header=BB6_10813 Depth=3
	v_cmp_ne_u16_e32 vcc, s82, v0
	v_bfrev_b32_e32 v3, 1
	s_and_saveexec_b64 s[48:49], vcc
	s_cbranch_execz .LBB6_11573
; %bb.11570:                            ;   in Loop: Header=BB6_10813 Depth=3
	v_and_b32_e32 v31, 0x7f, v0
	v_cmp_ne_u32_e32 vcc, s83, v31
	v_mov_b32_e32 v3, 0x7f800001
	s_and_saveexec_b64 s[50:51], vcc
	s_cbranch_execz .LBB6_11572
; %bb.11571:                            ;   in Loop: Header=BB6_10813 Depth=3
	v_and_b32_e32 v3, 7, v0
	v_lshrrev_b32_e32 v38, 3, v31
	v_cmp_gt_u32_e32 vcc, 8, v31
	v_ffbh_u32_e32 v31, v3
	v_min_u32_e32 v31, 32, v31
	v_subrev_u32_e32 v36, 28, v31
	v_lshlrev_b64 v[36:37], v36, v[0:1]
	v_sub_u32_e32 v31, 29, v31
	v_and_b32_e32 v36, 7, v36
	v_cndmask_b32_e32 v31, v38, v31, vcc
	v_cndmask_b32_e32 v3, v3, v36, vcc
	v_lshlrev_b32_e32 v36, 16, v24
	v_bfrev_b32_e32 v37, 60
	v_lshlrev_b32_e32 v3, 20, v3
	v_and_b32_e32 v36, 0x80000000, v36
	v_lshl_add_u32 v31, v31, 23, v37
	v_or3_b32 v3, v36, v31, v3
.LBB6_11572:                            ;   in Loop: Header=BB6_10813 Depth=3
	s_or_b64 exec, exec, s[50:51]
.LBB6_11573:                            ;   in Loop: Header=BB6_10813 Depth=3
	s_or_b64 exec, exec, s[48:49]
.LBB6_11574:                            ;   in Loop: Header=BB6_10813 Depth=3
	s_or_b64 exec, exec, s[38:39]
	v_max_f32_e32 v3, v3, v3
	v_max_f32_e32 v1, v1, v1
	;; [unrolled: 1-line block ×3, first 2 shown]
	s_mov_b64 s[38:39], 0
.LBB6_11575:                            ;   in Loop: Header=BB6_10813 Depth=3
	s_and_b64 vcc, exec, s[38:39]
	s_cbranch_vccz .LBB6_11589
; %bb.11576:                            ;   in Loop: Header=BB6_10813 Depth=3
	v_mov_b32_e32 v3, 0
	v_mov_b32_e32 v1, 0
	s_and_saveexec_b64 s[38:39], s[40:41]
	s_cbranch_execz .LBB6_11582
; %bb.11577:                            ;   in Loop: Header=BB6_10813 Depth=3
	v_cmp_ne_u16_e32 vcc, s82, v2
	v_bfrev_b32_e32 v1, 1
	s_and_saveexec_b64 s[40:41], vcc
	s_cbranch_execz .LBB6_11581
; %bb.11578:                            ;   in Loop: Header=BB6_10813 Depth=3
	v_and_b32_e32 v31, 0x7f, v2
	v_cmp_ne_u32_e32 vcc, s83, v31
	v_mov_b32_e32 v1, 0x7f800001
	s_and_saveexec_b64 s[48:49], vcc
	s_cbranch_execz .LBB6_11580
; %bb.11579:                            ;   in Loop: Header=BB6_10813 Depth=3
	v_and_b32_e32 v36, 7, v2
	v_ffbh_u32_e32 v1, v36
	v_lshrrev_b32_e32 v37, 3, v31
	v_cmp_gt_u32_e32 vcc, 8, v31
	v_min_u32_e32 v31, 32, v1
	v_subrev_u32_e32 v1, 28, v31
	v_lshlrev_b64 v[1:2], v1, v[2:3]
	v_sub_u32_e32 v2, 29, v31
	v_and_b32_e32 v1, 7, v1
	v_cndmask_b32_e32 v2, v37, v2, vcc
	v_cndmask_b32_e32 v1, v36, v1, vcc
	v_lshlrev_b32_e32 v31, 16, v32
	v_bfrev_b32_e32 v36, 60
	v_lshlrev_b32_e32 v1, 20, v1
	v_and_b32_e32 v31, 0x80000000, v31
	v_lshl_add_u32 v2, v2, 23, v36
	v_or3_b32 v1, v31, v2, v1
.LBB6_11580:                            ;   in Loop: Header=BB6_10813 Depth=3
	s_or_b64 exec, exec, s[48:49]
.LBB6_11581:                            ;   in Loop: Header=BB6_10813 Depth=3
	s_or_b64 exec, exec, s[40:41]
.LBB6_11582:                            ;   in Loop: Header=BB6_10813 Depth=3
	s_or_b64 exec, exec, s[38:39]
	v_cmp_ne_u16_e32 vcc, 0, v0
	s_and_saveexec_b64 s[40:41], vcc
	s_cbranch_execz .LBB6_11588
; %bb.11583:                            ;   in Loop: Header=BB6_10813 Depth=3
	v_cmp_ne_u16_e32 vcc, s82, v0
	v_bfrev_b32_e32 v3, 1
	s_and_saveexec_b64 s[38:39], vcc
	s_cbranch_execz .LBB6_11587
; %bb.11584:                            ;   in Loop: Header=BB6_10813 Depth=3
	v_and_b32_e32 v2, 0x7f, v0
	v_cmp_ne_u32_e32 vcc, s83, v2
	v_mov_b32_e32 v3, 0x7f800001
	s_and_saveexec_b64 s[48:49], vcc
	s_cbranch_execz .LBB6_11586
; %bb.11585:                            ;   in Loop: Header=BB6_10813 Depth=3
	v_and_b32_e32 v31, 7, v0
	v_lshrrev_b32_e32 v36, 3, v2
	v_cmp_gt_u32_e32 vcc, 8, v2
	v_ffbh_u32_e32 v2, v31
	v_min_u32_e32 v37, 32, v2
	v_subrev_u32_e32 v2, 28, v37
	v_lshlrev_b64 v[2:3], v2, v[0:1]
	v_sub_u32_e32 v0, 29, v37
	v_and_b32_e32 v2, 7, v2
	v_cndmask_b32_e32 v0, v36, v0, vcc
	v_cndmask_b32_e32 v2, v31, v2, vcc
	v_lshlrev_b32_e32 v3, 16, v24
	v_bfrev_b32_e32 v31, 60
	v_lshlrev_b32_e32 v2, 20, v2
	v_and_b32_e32 v3, 0x80000000, v3
	v_lshl_add_u32 v0, v0, 23, v31
	v_or3_b32 v3, v3, v0, v2
.LBB6_11586:                            ;   in Loop: Header=BB6_10813 Depth=3
	s_or_b64 exec, exec, s[48:49]
.LBB6_11587:                            ;   in Loop: Header=BB6_10813 Depth=3
	s_or_b64 exec, exec, s[38:39]
.LBB6_11588:                            ;   in Loop: Header=BB6_10813 Depth=3
	s_or_b64 exec, exec, s[40:41]
	v_max_f32_e32 v0, v3, v3
	v_max_f32_e32 v1, v1, v1
	v_min_f32_e32 v1, v1, v0
.LBB6_11589:                            ;   in Loop: Header=BB6_10813 Depth=3
	v_and_b32_e32 v52, 0x7f800000, v1
	v_cmp_ne_u64_e32 vcc, s[76:77], v[52:53]
	buffer_store_dword v39, off, s[0:3], s33 offset:136 ; 4-byte Folded Spill
                                        ; implicit-def: $vgpr39
	s_and_saveexec_b64 s[40:41], vcc
	s_xor_b64 s[38:39], exec, s[40:41]
	s_cbranch_execz .LBB6_11603
; %bb.11590:                            ;   in Loop: Header=BB6_10813 Depth=3
	v_and_b32_e32 v52, 0x7fffffff, v1
	v_cmp_gt_u64_e32 vcc, s[78:79], v[52:53]
	v_and_b32_sdwa v3, v1, s82 dst_sel:DWORD dst_unused:UNUSED_PAD src0_sel:BYTE_3 src1_sel:DWORD
                                        ; implicit-def: $vgpr39
	s_and_saveexec_b64 s[40:41], vcc
	s_xor_b64 s[48:49], exec, s[40:41]
	s_cbranch_execz .LBB6_11600
; %bb.11591:                            ;   in Loop: Header=BB6_10813 Depth=3
	v_mov_b32_e32 v39, 0
	v_cmp_ne_u32_e32 vcc, 0, v1
	s_and_saveexec_b64 s[50:51], vcc
	s_cbranch_execz .LBB6_11599
; %bb.11592:                            ;   in Loop: Header=BB6_10813 Depth=3
	v_bfe_u32 v31, v1, 23, 8
	v_and_b32_e32 v0, 0x7fffff, v1
	v_cmp_gt_u32_e64 s[40:41], s85, v31
	v_sub_u32_e32 v1, 0x79, v31
	v_cmp_eq_u32_e32 vcc, 0, v31
	v_cndmask_b32_e64 v1, 0, v1, s[40:41]
	v_mov_b32_e32 v36, 0x78
	v_or_b32_e32 v2, 0x800000, v0
	v_cndmask_b32_e32 v36, v1, v36, vcc
	v_cndmask_b32_e32 v52, v2, v0, vcc
	v_add_u32_e32 v0, 20, v36
	v_lshlrev_b64 v[0:1], v0, -1
	v_add_u32_e32 v2, 19, v36
	v_lshlrev_b64 v[37:38], v2, 1
	v_bfi_b32 v1, v1, 0, 0
	v_bfi_b32 v0, v0, 0, v52
	v_cmp_eq_u64_e64 s[40:41], v[0:1], v[37:38]
	v_lshrrev_b64 v[0:1], v36, v[52:53]
	v_mov_b32_e32 v2, v1
	v_mov_b32_e32 v1, v0
	s_and_saveexec_b64 s[52:53], s[40:41]
; %bb.11593:                            ;   in Loop: Header=BB6_10813 Depth=3
	v_bfe_u32 v1, v0, 20, 1
	v_add_co_u32_e64 v1, s[40:41], v0, v1
	v_add_co_u32_e64 v1, s[40:41], -1, v1
; %bb.11594:                            ;   in Loop: Header=BB6_10813 Depth=3
	s_or_b64 exec, exec, s[52:53]
	v_add_u32_e32 v2, 0xffffff81, v31
	v_mov_b32_e32 v31, 0xffffff82
	v_cndmask_b32_e32 v2, v2, v31, vcc
	v_lshrrev_b32_e32 v31, 23, v0
	v_add3_u32 v36, v36, v2, v31
	v_add_u32_e32 v31, 6, v36
	v_and_b32_e32 v1, 0xfffff, v1
	v_add_u32_e32 v52, v1, v0
	v_cmp_ne_u32_e32 vcc, 0, v31
                                        ; implicit-def: $vgpr0_vgpr1
                                        ; implicit-def: $vgpr2
	s_and_saveexec_b64 s[40:41], vcc
	s_xor_b64 s[40:41], exec, s[40:41]
; %bb.11595:                            ;   in Loop: Header=BB6_10813 Depth=3
	v_cmp_lt_u64_e32 vcc, s[88:89], v[52:53]
	v_add_u32_e32 v0, 7, v36
	v_cndmask_b32_e32 v2, v31, v0, vcc
	v_cndmask_b32_e64 v0, 0, 1, vcc
	v_lshrrev_b64 v[0:1], v0, v[52:53]
; %bb.11596:                            ;   in Loop: Header=BB6_10813 Depth=3
	s_andn2_saveexec_b64 s[40:41], s[40:41]
; %bb.11597:                            ;   in Loop: Header=BB6_10813 Depth=3
	v_mov_b32_e32 v0, v52
	v_bfe_u32 v2, v52, 23, 1
	v_mov_b32_e32 v1, v53
; %bb.11598:                            ;   in Loop: Header=BB6_10813 Depth=3
	s_or_b64 exec, exec, s[40:41]
	v_lshrrev_b64 v[0:1], 20, v[0:1]
	v_cmp_gt_i32_e32 vcc, 16, v2
	v_cndmask_b32_e32 v1, 0, v1, vcc
	v_cndmask_b32_e32 v0, 7, v0, vcc
	v_cmp_eq_u64_e64 s[40:41], 0, v[0:1]
	v_min_i32_e32 v1, 15, v2
	v_lshlrev_b32_e32 v1, 3, v1
	v_cmp_eq_u32_e32 vcc, 0, v2
	v_and_b32_e32 v1, 0xf8, v1
	v_and_or_b32 v0, v0, 7, v1
	s_and_b64 s[40:41], vcc, s[40:41]
	v_cndmask_b32_e64 v0, v0, 0, s[40:41]
	v_or_b32_e32 v39, v0, v3
.LBB6_11599:                            ;   in Loop: Header=BB6_10813 Depth=3
	s_or_b64 exec, exec, s[50:51]
                                        ; implicit-def: $vgpr3
.LBB6_11600:                            ;   in Loop: Header=BB6_10813 Depth=3
	s_andn2_saveexec_b64 s[40:41], s[48:49]
; %bb.11601:                            ;   in Loop: Header=BB6_10813 Depth=3
	v_or_b32_e32 v39, 0x7e, v3
; %bb.11602:                            ;   in Loop: Header=BB6_10813 Depth=3
	s_or_b64 exec, exec, s[40:41]
                                        ; implicit-def: $vgpr1
.LBB6_11603:                            ;   in Loop: Header=BB6_10813 Depth=3
	s_andn2_saveexec_b64 s[40:41], s[38:39]
; %bb.11604:                            ;   in Loop: Header=BB6_10813 Depth=3
	v_or_b32_sdwa v39, v1, s83 dst_sel:DWORD dst_unused:UNUSED_PAD src0_sel:BYTE_3 src1_sel:DWORD
; %bb.11605:                            ;   in Loop: Header=BB6_10813 Depth=3
	s_or_b64 exec, exec, s[40:41]
	v_lshrrev_b32_e32 v2, 16, v32
	v_lshrrev_b32_e32 v0, 16, v24
	v_cmp_ne_u16_sdwa s[40:41], v2, v53 src0_sel:BYTE_0 src1_sel:DWORD
	s_and_b64 vcc, exec, s[28:29]
	s_mov_b64 s[38:39], -1
                                        ; implicit-def: $vgpr1
	s_cbranch_vccnz .LBB6_11619
; %bb.11606:                            ;   in Loop: Header=BB6_10813 Depth=3
	v_mov_b32_e32 v3, 0
	v_mov_b32_e32 v1, 0
	s_and_saveexec_b64 s[38:39], s[40:41]
	s_cbranch_execz .LBB6_11612
; %bb.11607:                            ;   in Loop: Header=BB6_10813 Depth=3
	v_cmp_ne_u16_sdwa vcc, v2, s82 src0_sel:BYTE_0 src1_sel:DWORD
	v_bfrev_b32_e32 v1, 1
	s_and_saveexec_b64 s[48:49], vcc
	s_cbranch_execz .LBB6_11611
; %bb.11608:                            ;   in Loop: Header=BB6_10813 Depth=3
	v_bfe_u32 v31, v32, 16, 7
	v_cmp_ne_u32_e32 vcc, s83, v31
	v_mov_b32_e32 v1, 0x7f800001
	s_and_saveexec_b64 s[50:51], vcc
	s_cbranch_execz .LBB6_11610
; %bb.11609:                            ;   in Loop: Header=BB6_10813 Depth=3
	v_and_b32_e32 v1, 7, v2
	v_lshrrev_b32_e32 v38, 3, v31
	v_cmp_gt_u32_e32 vcc, 8, v31
	v_ffbh_u32_e32 v31, v1
	v_min_u32_e32 v31, 32, v31
	v_subrev_u32_e32 v36, 28, v31
	v_lshlrev_b64 v[36:37], v36, v[2:3]
	v_sub_u32_e32 v31, 29, v31
	v_and_b32_e32 v36, 7, v36
	v_cndmask_b32_e32 v31, v38, v31, vcc
	v_cndmask_b32_e32 v1, v1, v36, vcc
	v_lshlrev_b32_e32 v36, 24, v2
	v_bfrev_b32_e32 v37, 60
	v_lshlrev_b32_e32 v1, 20, v1
	v_and_b32_e32 v36, 0x80000000, v36
	v_lshl_add_u32 v31, v31, 23, v37
	v_or3_b32 v1, v36, v31, v1
.LBB6_11610:                            ;   in Loop: Header=BB6_10813 Depth=3
	s_or_b64 exec, exec, s[50:51]
.LBB6_11611:                            ;   in Loop: Header=BB6_10813 Depth=3
	s_or_b64 exec, exec, s[48:49]
.LBB6_11612:                            ;   in Loop: Header=BB6_10813 Depth=3
	s_or_b64 exec, exec, s[38:39]
	v_cmp_ne_u16_sdwa vcc, v0, v53 src0_sel:BYTE_0 src1_sel:DWORD
	s_and_saveexec_b64 s[38:39], vcc
	s_cbranch_execz .LBB6_11618
; %bb.11613:                            ;   in Loop: Header=BB6_10813 Depth=3
	v_cmp_ne_u16_sdwa vcc, v0, s82 src0_sel:BYTE_0 src1_sel:DWORD
	v_bfrev_b32_e32 v3, 1
	s_and_saveexec_b64 s[48:49], vcc
	s_cbranch_execz .LBB6_11617
; %bb.11614:                            ;   in Loop: Header=BB6_10813 Depth=3
	v_bfe_u32 v31, v24, 16, 7
	v_cmp_ne_u32_e32 vcc, s83, v31
	v_mov_b32_e32 v3, 0x7f800001
	s_and_saveexec_b64 s[50:51], vcc
	s_cbranch_execz .LBB6_11616
; %bb.11615:                            ;   in Loop: Header=BB6_10813 Depth=3
	v_and_b32_e32 v3, 7, v0
	v_lshrrev_b32_e32 v38, 3, v31
	v_cmp_gt_u32_e32 vcc, 8, v31
	v_ffbh_u32_e32 v31, v3
	v_min_u32_e32 v31, 32, v31
	v_subrev_u32_e32 v36, 28, v31
	v_lshlrev_b64 v[36:37], v36, v[0:1]
	v_sub_u32_e32 v31, 29, v31
	v_and_b32_e32 v36, 7, v36
	v_cndmask_b32_e32 v31, v38, v31, vcc
	v_cndmask_b32_e32 v3, v3, v36, vcc
	v_lshlrev_b32_e32 v36, 24, v0
	v_bfrev_b32_e32 v37, 60
	v_lshlrev_b32_e32 v3, 20, v3
	v_and_b32_e32 v36, 0x80000000, v36
	v_lshl_add_u32 v31, v31, 23, v37
	v_or3_b32 v3, v36, v31, v3
.LBB6_11616:                            ;   in Loop: Header=BB6_10813 Depth=3
	s_or_b64 exec, exec, s[50:51]
.LBB6_11617:                            ;   in Loop: Header=BB6_10813 Depth=3
	s_or_b64 exec, exec, s[48:49]
.LBB6_11618:                            ;   in Loop: Header=BB6_10813 Depth=3
	s_or_b64 exec, exec, s[38:39]
	v_max_f32_e32 v3, v3, v3
	v_max_f32_e32 v1, v1, v1
	v_max_f32_e32 v1, v1, v3
	s_mov_b64 s[38:39], 0
.LBB6_11619:                            ;   in Loop: Header=BB6_10813 Depth=3
	s_and_b64 vcc, exec, s[38:39]
	s_cbranch_vccz .LBB6_11633
; %bb.11620:                            ;   in Loop: Header=BB6_10813 Depth=3
	v_mov_b32_e32 v3, 0
	v_mov_b32_e32 v1, 0
	s_and_saveexec_b64 s[38:39], s[40:41]
	s_cbranch_execz .LBB6_11626
; %bb.11621:                            ;   in Loop: Header=BB6_10813 Depth=3
	v_cmp_ne_u16_sdwa vcc, v2, s82 src0_sel:BYTE_0 src1_sel:DWORD
	v_bfrev_b32_e32 v1, 1
	s_and_saveexec_b64 s[40:41], vcc
	s_cbranch_execz .LBB6_11625
; %bb.11622:                            ;   in Loop: Header=BB6_10813 Depth=3
	v_bfe_u32 v31, v32, 16, 7
	v_cmp_ne_u32_e32 vcc, s83, v31
	v_mov_b32_e32 v1, 0x7f800001
	s_and_saveexec_b64 s[48:49], vcc
	s_cbranch_execz .LBB6_11624
; %bb.11623:                            ;   in Loop: Header=BB6_10813 Depth=3
	v_and_b32_e32 v1, 7, v2
	v_lshrrev_b32_e32 v38, 3, v31
	v_cmp_gt_u32_e32 vcc, 8, v31
	v_ffbh_u32_e32 v31, v1
	v_min_u32_e32 v31, 32, v31
	v_subrev_u32_e32 v36, 28, v31
	v_lshlrev_b64 v[36:37], v36, v[2:3]
	v_sub_u32_e32 v31, 29, v31
	v_and_b32_e32 v36, 7, v36
	v_cndmask_b32_e32 v31, v38, v31, vcc
	v_cndmask_b32_e32 v1, v1, v36, vcc
	v_lshlrev_b32_e32 v2, 24, v2
	v_bfrev_b32_e32 v36, 60
	v_lshlrev_b32_e32 v1, 20, v1
	v_and_b32_e32 v2, 0x80000000, v2
	v_lshl_add_u32 v31, v31, 23, v36
	v_or3_b32 v1, v2, v31, v1
.LBB6_11624:                            ;   in Loop: Header=BB6_10813 Depth=3
	s_or_b64 exec, exec, s[48:49]
.LBB6_11625:                            ;   in Loop: Header=BB6_10813 Depth=3
	s_or_b64 exec, exec, s[40:41]
.LBB6_11626:                            ;   in Loop: Header=BB6_10813 Depth=3
	s_or_b64 exec, exec, s[38:39]
	v_cmp_ne_u16_sdwa vcc, v0, v53 src0_sel:BYTE_0 src1_sel:DWORD
	s_and_saveexec_b64 s[40:41], vcc
	s_cbranch_execz .LBB6_11632
; %bb.11627:                            ;   in Loop: Header=BB6_10813 Depth=3
	v_cmp_ne_u16_sdwa vcc, v0, s82 src0_sel:BYTE_0 src1_sel:DWORD
	v_bfrev_b32_e32 v3, 1
	s_and_saveexec_b64 s[38:39], vcc
	s_cbranch_execz .LBB6_11631
; %bb.11628:                            ;   in Loop: Header=BB6_10813 Depth=3
	v_bfe_u32 v2, v24, 16, 7
	v_cmp_ne_u32_e32 vcc, s83, v2
	v_mov_b32_e32 v3, 0x7f800001
	s_and_saveexec_b64 s[48:49], vcc
	s_cbranch_execz .LBB6_11630
; %bb.11629:                            ;   in Loop: Header=BB6_10813 Depth=3
	v_and_b32_e32 v31, 7, v0
	v_lshrrev_b32_e32 v36, 3, v2
	v_cmp_gt_u32_e32 vcc, 8, v2
	v_ffbh_u32_e32 v2, v31
	v_min_u32_e32 v37, 32, v2
	v_subrev_u32_e32 v2, 28, v37
	v_lshlrev_b64 v[2:3], v2, v[0:1]
	v_sub_u32_e32 v3, 29, v37
	v_and_b32_e32 v2, 7, v2
	v_cndmask_b32_e32 v3, v36, v3, vcc
	v_cndmask_b32_e32 v2, v31, v2, vcc
	v_lshlrev_b32_e32 v0, 24, v0
	v_bfrev_b32_e32 v31, 60
	v_lshlrev_b32_e32 v2, 20, v2
	v_and_b32_e32 v0, 0x80000000, v0
	v_lshl_add_u32 v3, v3, 23, v31
	v_or3_b32 v3, v0, v3, v2
.LBB6_11630:                            ;   in Loop: Header=BB6_10813 Depth=3
	s_or_b64 exec, exec, s[48:49]
.LBB6_11631:                            ;   in Loop: Header=BB6_10813 Depth=3
	s_or_b64 exec, exec, s[38:39]
.LBB6_11632:                            ;   in Loop: Header=BB6_10813 Depth=3
	s_or_b64 exec, exec, s[40:41]
	v_max_f32_e32 v0, v3, v3
	v_max_f32_e32 v1, v1, v1
	v_min_f32_e32 v1, v1, v0
.LBB6_11633:                            ;   in Loop: Header=BB6_10813 Depth=3
	v_and_b32_e32 v52, 0x7f800000, v1
	v_cmp_ne_u64_e32 vcc, s[76:77], v[52:53]
	buffer_store_dword v39, off, s[0:3], s33 offset:140 ; 4-byte Folded Spill
                                        ; implicit-def: $vgpr39
	s_and_saveexec_b64 s[40:41], vcc
	s_xor_b64 s[38:39], exec, s[40:41]
	s_cbranch_execz .LBB6_11647
; %bb.11634:                            ;   in Loop: Header=BB6_10813 Depth=3
	v_and_b32_e32 v52, 0x7fffffff, v1
	v_cmp_gt_u64_e32 vcc, s[78:79], v[52:53]
	v_and_b32_sdwa v3, v1, s82 dst_sel:DWORD dst_unused:UNUSED_PAD src0_sel:BYTE_3 src1_sel:DWORD
                                        ; implicit-def: $vgpr39
	s_and_saveexec_b64 s[40:41], vcc
	s_xor_b64 s[48:49], exec, s[40:41]
	s_cbranch_execz .LBB6_11644
; %bb.11635:                            ;   in Loop: Header=BB6_10813 Depth=3
	v_mov_b32_e32 v39, 0
	v_cmp_ne_u32_e32 vcc, 0, v1
	s_and_saveexec_b64 s[50:51], vcc
	s_cbranch_execz .LBB6_11643
; %bb.11636:                            ;   in Loop: Header=BB6_10813 Depth=3
	v_bfe_u32 v31, v1, 23, 8
	v_and_b32_e32 v0, 0x7fffff, v1
	v_cmp_gt_u32_e64 s[40:41], s85, v31
	v_sub_u32_e32 v1, 0x79, v31
	v_cmp_eq_u32_e32 vcc, 0, v31
	v_cndmask_b32_e64 v1, 0, v1, s[40:41]
	v_mov_b32_e32 v36, 0x78
	v_or_b32_e32 v2, 0x800000, v0
	v_cndmask_b32_e32 v36, v1, v36, vcc
	v_cndmask_b32_e32 v52, v2, v0, vcc
	v_add_u32_e32 v0, 20, v36
	v_lshlrev_b64 v[0:1], v0, -1
	v_add_u32_e32 v2, 19, v36
	v_lshlrev_b64 v[37:38], v2, 1
	v_bfi_b32 v1, v1, 0, 0
	v_bfi_b32 v0, v0, 0, v52
	v_cmp_eq_u64_e64 s[40:41], v[0:1], v[37:38]
	v_lshrrev_b64 v[0:1], v36, v[52:53]
	v_mov_b32_e32 v2, v1
	v_mov_b32_e32 v1, v0
	s_and_saveexec_b64 s[52:53], s[40:41]
; %bb.11637:                            ;   in Loop: Header=BB6_10813 Depth=3
	v_bfe_u32 v1, v0, 20, 1
	v_add_co_u32_e64 v1, s[40:41], v0, v1
	v_add_co_u32_e64 v1, s[40:41], -1, v1
; %bb.11638:                            ;   in Loop: Header=BB6_10813 Depth=3
	s_or_b64 exec, exec, s[52:53]
	v_add_u32_e32 v2, 0xffffff81, v31
	v_mov_b32_e32 v31, 0xffffff82
	v_cndmask_b32_e32 v2, v2, v31, vcc
	v_lshrrev_b32_e32 v31, 23, v0
	v_add3_u32 v36, v36, v2, v31
	v_add_u32_e32 v31, 6, v36
	v_and_b32_e32 v1, 0xfffff, v1
	v_add_u32_e32 v52, v1, v0
	v_cmp_ne_u32_e32 vcc, 0, v31
                                        ; implicit-def: $vgpr0_vgpr1
                                        ; implicit-def: $vgpr2
	s_and_saveexec_b64 s[40:41], vcc
	s_xor_b64 s[40:41], exec, s[40:41]
; %bb.11639:                            ;   in Loop: Header=BB6_10813 Depth=3
	v_cmp_lt_u64_e32 vcc, s[88:89], v[52:53]
	v_add_u32_e32 v0, 7, v36
	v_cndmask_b32_e32 v2, v31, v0, vcc
	v_cndmask_b32_e64 v0, 0, 1, vcc
	v_lshrrev_b64 v[0:1], v0, v[52:53]
; %bb.11640:                            ;   in Loop: Header=BB6_10813 Depth=3
	s_andn2_saveexec_b64 s[40:41], s[40:41]
; %bb.11641:                            ;   in Loop: Header=BB6_10813 Depth=3
	v_mov_b32_e32 v0, v52
	v_bfe_u32 v2, v52, 23, 1
	v_mov_b32_e32 v1, v53
; %bb.11642:                            ;   in Loop: Header=BB6_10813 Depth=3
	s_or_b64 exec, exec, s[40:41]
	v_lshrrev_b64 v[0:1], 20, v[0:1]
	v_cmp_gt_i32_e32 vcc, 16, v2
	v_cndmask_b32_e32 v1, 0, v1, vcc
	v_cndmask_b32_e32 v0, 7, v0, vcc
	v_cmp_eq_u64_e64 s[40:41], 0, v[0:1]
	v_min_i32_e32 v1, 15, v2
	v_lshlrev_b32_e32 v1, 3, v1
	v_cmp_eq_u32_e32 vcc, 0, v2
	v_and_b32_e32 v1, 0xf8, v1
	v_and_or_b32 v0, v0, 7, v1
	s_and_b64 s[40:41], vcc, s[40:41]
	v_cndmask_b32_e64 v0, v0, 0, s[40:41]
	v_or_b32_e32 v39, v0, v3
.LBB6_11643:                            ;   in Loop: Header=BB6_10813 Depth=3
	s_or_b64 exec, exec, s[50:51]
                                        ; implicit-def: $vgpr3
.LBB6_11644:                            ;   in Loop: Header=BB6_10813 Depth=3
	s_andn2_saveexec_b64 s[40:41], s[48:49]
; %bb.11645:                            ;   in Loop: Header=BB6_10813 Depth=3
	v_or_b32_e32 v39, 0x7e, v3
; %bb.11646:                            ;   in Loop: Header=BB6_10813 Depth=3
	s_or_b64 exec, exec, s[40:41]
                                        ; implicit-def: $vgpr1
.LBB6_11647:                            ;   in Loop: Header=BB6_10813 Depth=3
	s_andn2_saveexec_b64 s[40:41], s[38:39]
; %bb.11648:                            ;   in Loop: Header=BB6_10813 Depth=3
	v_or_b32_sdwa v39, v1, s83 dst_sel:DWORD dst_unused:UNUSED_PAD src0_sel:BYTE_3 src1_sel:DWORD
; %bb.11649:                            ;   in Loop: Header=BB6_10813 Depth=3
	s_or_b64 exec, exec, s[40:41]
	v_lshrrev_b32_e32 v2, 24, v32
	v_lshrrev_b32_e32 v0, 24, v24
	v_cmp_lt_u32_e64 s[40:41], s63, v32
	s_and_b64 vcc, exec, s[28:29]
	s_mov_b64 s[38:39], -1
                                        ; implicit-def: $vgpr1
	s_cbranch_vccnz .LBB6_11663
; %bb.11650:                            ;   in Loop: Header=BB6_10813 Depth=3
	v_mov_b32_e32 v3, 0
	v_mov_b32_e32 v1, 0
	s_and_saveexec_b64 s[38:39], s[40:41]
	s_cbranch_execz .LBB6_11656
; %bb.11651:                            ;   in Loop: Header=BB6_10813 Depth=3
	v_cmp_ne_u32_e32 vcc, s82, v2
	v_bfrev_b32_e32 v1, 1
	s_and_saveexec_b64 s[48:49], vcc
	s_cbranch_execz .LBB6_11655
; %bb.11652:                            ;   in Loop: Header=BB6_10813 Depth=3
	v_bfe_u32 v31, v32, 24, 7
	v_cmp_ne_u32_e32 vcc, s83, v31
	v_mov_b32_e32 v1, 0x7f800001
	s_and_saveexec_b64 s[50:51], vcc
	s_cbranch_execz .LBB6_11654
; %bb.11653:                            ;   in Loop: Header=BB6_10813 Depth=3
	v_and_b32_e32 v1, 7, v2
	v_lshrrev_b32_e32 v38, 3, v31
	v_cmp_gt_u32_e32 vcc, 8, v31
	v_ffbh_u32_e32 v31, v1
	v_min_u32_e32 v31, 32, v31
	v_subrev_u32_e32 v36, 28, v31
	v_lshlrev_b64 v[36:37], v36, v[2:3]
	v_sub_u32_e32 v31, 29, v31
	v_and_b32_e32 v36, 7, v36
	v_cndmask_b32_e32 v31, v38, v31, vcc
	v_cndmask_b32_e32 v1, v1, v36, vcc
	v_lshlrev_b32_e32 v36, 24, v2
	v_bfrev_b32_e32 v37, 60
	v_lshlrev_b32_e32 v1, 20, v1
	v_and_b32_e32 v36, 0x80000000, v36
	v_lshl_add_u32 v31, v31, 23, v37
	v_or3_b32 v1, v36, v31, v1
.LBB6_11654:                            ;   in Loop: Header=BB6_10813 Depth=3
	s_or_b64 exec, exec, s[50:51]
.LBB6_11655:                            ;   in Loop: Header=BB6_10813 Depth=3
	s_or_b64 exec, exec, s[48:49]
.LBB6_11656:                            ;   in Loop: Header=BB6_10813 Depth=3
	s_or_b64 exec, exec, s[38:39]
	v_cmp_lt_u32_e32 vcc, s63, v24
	s_and_saveexec_b64 s[38:39], vcc
	s_cbranch_execz .LBB6_11662
; %bb.11657:                            ;   in Loop: Header=BB6_10813 Depth=3
	v_cmp_ne_u32_e32 vcc, s82, v0
	v_bfrev_b32_e32 v3, 1
	s_and_saveexec_b64 s[48:49], vcc
	s_cbranch_execz .LBB6_11661
; %bb.11658:                            ;   in Loop: Header=BB6_10813 Depth=3
	v_bfe_u32 v31, v24, 24, 7
	v_cmp_ne_u32_e32 vcc, s83, v31
	v_mov_b32_e32 v3, 0x7f800001
	s_and_saveexec_b64 s[50:51], vcc
	s_cbranch_execz .LBB6_11660
; %bb.11659:                            ;   in Loop: Header=BB6_10813 Depth=3
	v_and_b32_e32 v3, 7, v0
	v_lshrrev_b32_e32 v38, 3, v31
	v_cmp_gt_u32_e32 vcc, 8, v31
	v_ffbh_u32_e32 v31, v3
	v_min_u32_e32 v31, 32, v31
	v_subrev_u32_e32 v36, 28, v31
	v_lshlrev_b64 v[36:37], v36, v[0:1]
	v_sub_u32_e32 v31, 29, v31
	v_and_b32_e32 v36, 7, v36
	v_cndmask_b32_e32 v31, v38, v31, vcc
	v_cndmask_b32_e32 v3, v3, v36, vcc
	v_lshlrev_b32_e32 v36, 24, v0
	v_bfrev_b32_e32 v37, 60
	v_lshlrev_b32_e32 v3, 20, v3
	v_and_b32_e32 v36, 0x80000000, v36
	v_lshl_add_u32 v31, v31, 23, v37
	v_or3_b32 v3, v36, v31, v3
.LBB6_11660:                            ;   in Loop: Header=BB6_10813 Depth=3
	s_or_b64 exec, exec, s[50:51]
.LBB6_11661:                            ;   in Loop: Header=BB6_10813 Depth=3
	s_or_b64 exec, exec, s[48:49]
.LBB6_11662:                            ;   in Loop: Header=BB6_10813 Depth=3
	s_or_b64 exec, exec, s[38:39]
	v_max_f32_e32 v3, v3, v3
	v_max_f32_e32 v1, v1, v1
	v_max_f32_e32 v1, v1, v3
	s_mov_b64 s[38:39], 0
.LBB6_11663:                            ;   in Loop: Header=BB6_10813 Depth=3
	s_and_b64 vcc, exec, s[38:39]
	s_cbranch_vccz .LBB6_11677
; %bb.11664:                            ;   in Loop: Header=BB6_10813 Depth=3
	v_mov_b32_e32 v3, 0
	v_mov_b32_e32 v1, 0
	s_and_saveexec_b64 s[38:39], s[40:41]
	s_cbranch_execz .LBB6_11670
; %bb.11665:                            ;   in Loop: Header=BB6_10813 Depth=3
	v_cmp_ne_u32_e32 vcc, s82, v2
	v_bfrev_b32_e32 v1, 1
	s_and_saveexec_b64 s[40:41], vcc
	s_cbranch_execz .LBB6_11669
; %bb.11666:                            ;   in Loop: Header=BB6_10813 Depth=3
	v_bfe_u32 v31, v32, 24, 7
	v_cmp_ne_u32_e32 vcc, s83, v31
	v_mov_b32_e32 v1, 0x7f800001
	s_and_saveexec_b64 s[48:49], vcc
	s_cbranch_execz .LBB6_11668
; %bb.11667:                            ;   in Loop: Header=BB6_10813 Depth=3
	v_and_b32_e32 v1, 7, v2
	v_lshrrev_b32_e32 v38, 3, v31
	v_cmp_gt_u32_e32 vcc, 8, v31
	v_ffbh_u32_e32 v31, v1
	v_min_u32_e32 v31, 32, v31
	v_subrev_u32_e32 v36, 28, v31
	v_lshlrev_b64 v[36:37], v36, v[2:3]
	v_sub_u32_e32 v31, 29, v31
	v_and_b32_e32 v36, 7, v36
	v_cndmask_b32_e32 v31, v38, v31, vcc
	v_cndmask_b32_e32 v1, v1, v36, vcc
	v_lshlrev_b32_e32 v2, 24, v2
	v_bfrev_b32_e32 v36, 60
	v_lshlrev_b32_e32 v1, 20, v1
	v_and_b32_e32 v2, 0x80000000, v2
	v_lshl_add_u32 v31, v31, 23, v36
	v_or3_b32 v1, v2, v31, v1
.LBB6_11668:                            ;   in Loop: Header=BB6_10813 Depth=3
	s_or_b64 exec, exec, s[48:49]
.LBB6_11669:                            ;   in Loop: Header=BB6_10813 Depth=3
	s_or_b64 exec, exec, s[40:41]
.LBB6_11670:                            ;   in Loop: Header=BB6_10813 Depth=3
	s_or_b64 exec, exec, s[38:39]
	v_cmp_lt_u32_e32 vcc, s63, v24
	s_and_saveexec_b64 s[40:41], vcc
	s_cbranch_execz .LBB6_11676
; %bb.11671:                            ;   in Loop: Header=BB6_10813 Depth=3
	v_cmp_ne_u32_e32 vcc, s82, v0
	v_bfrev_b32_e32 v3, 1
	s_and_saveexec_b64 s[38:39], vcc
	s_cbranch_execz .LBB6_11675
; %bb.11672:                            ;   in Loop: Header=BB6_10813 Depth=3
	v_bfe_u32 v2, v24, 24, 7
	v_cmp_ne_u32_e32 vcc, s83, v2
	v_mov_b32_e32 v3, 0x7f800001
	s_and_saveexec_b64 s[48:49], vcc
	s_cbranch_execz .LBB6_11674
; %bb.11673:                            ;   in Loop: Header=BB6_10813 Depth=3
	v_and_b32_e32 v31, 7, v0
	v_lshrrev_b32_e32 v36, 3, v2
	v_cmp_gt_u32_e32 vcc, 8, v2
	v_ffbh_u32_e32 v2, v31
	v_min_u32_e32 v37, 32, v2
	v_subrev_u32_e32 v2, 28, v37
	v_lshlrev_b64 v[2:3], v2, v[0:1]
	v_sub_u32_e32 v3, 29, v37
	v_and_b32_e32 v2, 7, v2
	v_cndmask_b32_e32 v3, v36, v3, vcc
	v_cndmask_b32_e32 v2, v31, v2, vcc
	v_lshlrev_b32_e32 v0, 24, v0
	v_bfrev_b32_e32 v31, 60
	v_lshlrev_b32_e32 v2, 20, v2
	v_and_b32_e32 v0, 0x80000000, v0
	v_lshl_add_u32 v3, v3, 23, v31
	v_or3_b32 v3, v0, v3, v2
.LBB6_11674:                            ;   in Loop: Header=BB6_10813 Depth=3
	s_or_b64 exec, exec, s[48:49]
.LBB6_11675:                            ;   in Loop: Header=BB6_10813 Depth=3
	s_or_b64 exec, exec, s[38:39]
.LBB6_11676:                            ;   in Loop: Header=BB6_10813 Depth=3
	s_or_b64 exec, exec, s[40:41]
	v_max_f32_e32 v0, v3, v3
	v_max_f32_e32 v1, v1, v1
	v_min_f32_e32 v1, v1, v0
.LBB6_11677:                            ;   in Loop: Header=BB6_10813 Depth=3
	v_and_b32_e32 v52, 0x7f800000, v1
	v_cmp_ne_u64_e32 vcc, s[76:77], v[52:53]
	buffer_store_dword v39, off, s[0:3], s33 offset:144 ; 4-byte Folded Spill
                                        ; implicit-def: $vgpr50
	s_and_saveexec_b64 s[40:41], vcc
	s_xor_b64 s[38:39], exec, s[40:41]
	s_cbranch_execz .LBB6_11691
; %bb.11678:                            ;   in Loop: Header=BB6_10813 Depth=3
	v_and_b32_e32 v52, 0x7fffffff, v1
	v_cmp_gt_u64_e32 vcc, s[78:79], v[52:53]
	v_and_b32_sdwa v3, v1, s82 dst_sel:DWORD dst_unused:UNUSED_PAD src0_sel:BYTE_3 src1_sel:DWORD
                                        ; implicit-def: $vgpr50
	s_and_saveexec_b64 s[40:41], vcc
	s_xor_b64 s[48:49], exec, s[40:41]
	s_cbranch_execz .LBB6_11688
; %bb.11679:                            ;   in Loop: Header=BB6_10813 Depth=3
	v_mov_b32_e32 v50, 0
	v_cmp_ne_u32_e32 vcc, 0, v1
	s_and_saveexec_b64 s[50:51], vcc
	s_cbranch_execz .LBB6_11687
; %bb.11680:                            ;   in Loop: Header=BB6_10813 Depth=3
	v_bfe_u32 v31, v1, 23, 8
	v_and_b32_e32 v0, 0x7fffff, v1
	v_cmp_gt_u32_e64 s[40:41], s85, v31
	v_sub_u32_e32 v1, 0x79, v31
	v_cmp_eq_u32_e32 vcc, 0, v31
	v_cndmask_b32_e64 v1, 0, v1, s[40:41]
	v_mov_b32_e32 v36, 0x78
	v_or_b32_e32 v2, 0x800000, v0
	v_cndmask_b32_e32 v36, v1, v36, vcc
	v_cndmask_b32_e32 v52, v2, v0, vcc
	v_add_u32_e32 v0, 20, v36
	v_lshlrev_b64 v[0:1], v0, -1
	v_add_u32_e32 v2, 19, v36
	v_lshlrev_b64 v[37:38], v2, 1
	v_bfi_b32 v1, v1, 0, 0
	v_bfi_b32 v0, v0, 0, v52
	v_cmp_eq_u64_e64 s[40:41], v[0:1], v[37:38]
	v_lshrrev_b64 v[0:1], v36, v[52:53]
	v_mov_b32_e32 v2, v1
	v_mov_b32_e32 v1, v0
	s_and_saveexec_b64 s[52:53], s[40:41]
; %bb.11681:                            ;   in Loop: Header=BB6_10813 Depth=3
	v_bfe_u32 v1, v0, 20, 1
	v_add_co_u32_e64 v1, s[40:41], v0, v1
	v_add_co_u32_e64 v1, s[40:41], -1, v1
; %bb.11682:                            ;   in Loop: Header=BB6_10813 Depth=3
	s_or_b64 exec, exec, s[52:53]
	v_add_u32_e32 v2, 0xffffff81, v31
	v_mov_b32_e32 v31, 0xffffff82
	v_cndmask_b32_e32 v2, v2, v31, vcc
	v_lshrrev_b32_e32 v31, 23, v0
	v_add3_u32 v36, v36, v2, v31
	v_add_u32_e32 v31, 6, v36
	v_and_b32_e32 v1, 0xfffff, v1
	v_add_u32_e32 v52, v1, v0
	v_cmp_ne_u32_e32 vcc, 0, v31
                                        ; implicit-def: $vgpr0_vgpr1
                                        ; implicit-def: $vgpr2
	s_and_saveexec_b64 s[40:41], vcc
	s_xor_b64 s[40:41], exec, s[40:41]
; %bb.11683:                            ;   in Loop: Header=BB6_10813 Depth=3
	v_cmp_lt_u64_e32 vcc, s[88:89], v[52:53]
	v_add_u32_e32 v0, 7, v36
	v_cndmask_b32_e32 v2, v31, v0, vcc
	v_cndmask_b32_e64 v0, 0, 1, vcc
	v_lshrrev_b64 v[0:1], v0, v[52:53]
; %bb.11684:                            ;   in Loop: Header=BB6_10813 Depth=3
	s_andn2_saveexec_b64 s[40:41], s[40:41]
; %bb.11685:                            ;   in Loop: Header=BB6_10813 Depth=3
	v_mov_b32_e32 v0, v52
	v_bfe_u32 v2, v52, 23, 1
	v_mov_b32_e32 v1, v53
; %bb.11686:                            ;   in Loop: Header=BB6_10813 Depth=3
	s_or_b64 exec, exec, s[40:41]
	v_lshrrev_b64 v[0:1], 20, v[0:1]
	v_cmp_gt_i32_e32 vcc, 16, v2
	v_cndmask_b32_e32 v1, 0, v1, vcc
	v_cndmask_b32_e32 v0, 7, v0, vcc
	v_cmp_eq_u64_e64 s[40:41], 0, v[0:1]
	v_min_i32_e32 v1, 15, v2
	v_lshlrev_b32_e32 v1, 3, v1
	v_cmp_eq_u32_e32 vcc, 0, v2
	v_and_b32_e32 v1, 0xf8, v1
	v_and_or_b32 v0, v0, 7, v1
	s_and_b64 s[40:41], vcc, s[40:41]
	v_cndmask_b32_e64 v0, v0, 0, s[40:41]
	v_or_b32_e32 v50, v0, v3
.LBB6_11687:                            ;   in Loop: Header=BB6_10813 Depth=3
	s_or_b64 exec, exec, s[50:51]
                                        ; implicit-def: $vgpr3
.LBB6_11688:                            ;   in Loop: Header=BB6_10813 Depth=3
	s_andn2_saveexec_b64 s[40:41], s[48:49]
; %bb.11689:                            ;   in Loop: Header=BB6_10813 Depth=3
	v_or_b32_e32 v50, 0x7e, v3
; %bb.11690:                            ;   in Loop: Header=BB6_10813 Depth=3
	s_or_b64 exec, exec, s[40:41]
                                        ; implicit-def: $vgpr1
.LBB6_11691:                            ;   in Loop: Header=BB6_10813 Depth=3
	s_andn2_saveexec_b64 s[40:41], s[38:39]
; %bb.11692:                            ;   in Loop: Header=BB6_10813 Depth=3
	v_or_b32_sdwa v50, v1, s83 dst_sel:DWORD dst_unused:UNUSED_PAD src0_sel:BYTE_3 src1_sel:DWORD
; %bb.11693:                            ;   in Loop: Header=BB6_10813 Depth=3
	s_or_b64 exec, exec, s[40:41]
	v_mov_b32_e32 v52, v33
	v_mov_b32_e32 v2, v25
	v_mov_b32_e32 v3, v53
	v_cmp_ne_u16_sdwa s[40:41], v33, v53 src0_sel:BYTE_0 src1_sel:DWORD
	s_and_b64 vcc, exec, s[28:29]
	s_mov_b64 s[38:39], -1
                                        ; implicit-def: $vgpr0
	s_cbranch_vccnz .LBB6_11707
; %bb.11694:                            ;   in Loop: Header=BB6_10813 Depth=3
	v_mov_b32_e32 v1, 0
	v_mov_b32_e32 v0, 0
	s_and_saveexec_b64 s[38:39], s[40:41]
	s_cbranch_execz .LBB6_11700
; %bb.11695:                            ;   in Loop: Header=BB6_10813 Depth=3
	v_cmp_ne_u16_sdwa vcc, v33, s82 src0_sel:BYTE_0 src1_sel:DWORD
	v_bfrev_b32_e32 v0, 1
	s_and_saveexec_b64 s[48:49], vcc
	s_cbranch_execz .LBB6_11699
; %bb.11696:                            ;   in Loop: Header=BB6_10813 Depth=3
	v_and_b32_e32 v31, 0x7f, v33
	v_cmp_ne_u32_e32 vcc, s83, v31
	v_mov_b32_e32 v0, 0x7f800001
	s_and_saveexec_b64 s[50:51], vcc
	s_cbranch_execz .LBB6_11698
; %bb.11697:                            ;   in Loop: Header=BB6_10813 Depth=3
	v_and_b32_e32 v0, 7, v33
	v_ffbh_u32_e32 v0, v0
	v_min_u32_e32 v0, 32, v0
	v_lshrrev_b32_e32 v36, 3, v31
	v_cmp_gt_u32_e32 vcc, 8, v31
	v_subrev_u32_e32 v31, 28, v0
	v_sub_u32_e32 v0, 29, v0
	v_cndmask_b32_e32 v31, 0, v31, vcc
	v_cndmask_b32_e32 v0, v36, v0, vcc
	v_lshlrev_b64 v[36:37], v31, v[52:53]
	v_bfrev_b32_e32 v37, 60
	v_lshlrev_b32_e32 v31, 20, v36
	v_lshlrev_b32_e32 v36, 24, v52
	v_and_b32_e32 v31, 0x700000, v31
	v_and_b32_e32 v36, 0x80000000, v36
	v_lshl_add_u32 v0, v0, 23, v37
	v_or3_b32 v0, v36, v0, v31
.LBB6_11698:                            ;   in Loop: Header=BB6_10813 Depth=3
	s_or_b64 exec, exec, s[50:51]
.LBB6_11699:                            ;   in Loop: Header=BB6_10813 Depth=3
	s_or_b64 exec, exec, s[48:49]
.LBB6_11700:                            ;   in Loop: Header=BB6_10813 Depth=3
	s_or_b64 exec, exec, s[38:39]
	v_cmp_ne_u16_sdwa vcc, v25, v53 src0_sel:BYTE_0 src1_sel:DWORD
	s_and_saveexec_b64 s[38:39], vcc
	s_cbranch_execz .LBB6_11706
; %bb.11701:                            ;   in Loop: Header=BB6_10813 Depth=3
	v_cmp_ne_u16_sdwa vcc, v25, s82 src0_sel:BYTE_0 src1_sel:DWORD
	v_bfrev_b32_e32 v1, 1
	s_and_saveexec_b64 s[48:49], vcc
	s_cbranch_execz .LBB6_11705
; %bb.11702:                            ;   in Loop: Header=BB6_10813 Depth=3
	v_and_b32_e32 v31, 0x7f, v25
	v_cmp_ne_u32_e32 vcc, s83, v31
	v_mov_b32_e32 v1, 0x7f800001
	s_and_saveexec_b64 s[50:51], vcc
	s_cbranch_execz .LBB6_11704
; %bb.11703:                            ;   in Loop: Header=BB6_10813 Depth=3
	v_and_b32_e32 v1, 7, v25
	v_ffbh_u32_e32 v1, v1
	v_min_u32_e32 v1, 32, v1
	v_lshrrev_b32_e32 v36, 3, v31
	v_cmp_gt_u32_e32 vcc, 8, v31
	v_subrev_u32_e32 v31, 28, v1
	v_sub_u32_e32 v1, 29, v1
	v_cndmask_b32_e32 v31, 0, v31, vcc
	v_cndmask_b32_e32 v1, v36, v1, vcc
	v_lshlrev_b64 v[36:37], v31, v[2:3]
	v_bfrev_b32_e32 v37, 60
	v_lshlrev_b32_e32 v31, 20, v36
	v_lshlrev_b32_e32 v36, 24, v2
	v_and_b32_e32 v31, 0x700000, v31
	v_and_b32_e32 v36, 0x80000000, v36
	v_lshl_add_u32 v1, v1, 23, v37
	v_or3_b32 v1, v36, v1, v31
.LBB6_11704:                            ;   in Loop: Header=BB6_10813 Depth=3
	s_or_b64 exec, exec, s[50:51]
.LBB6_11705:                            ;   in Loop: Header=BB6_10813 Depth=3
	s_or_b64 exec, exec, s[48:49]
.LBB6_11706:                            ;   in Loop: Header=BB6_10813 Depth=3
	s_or_b64 exec, exec, s[38:39]
	v_max_f32_e32 v1, v1, v1
	v_max_f32_e32 v0, v0, v0
	;; [unrolled: 1-line block ×3, first 2 shown]
	s_mov_b64 s[38:39], 0
.LBB6_11707:                            ;   in Loop: Header=BB6_10813 Depth=3
	s_and_b64 vcc, exec, s[38:39]
	s_cbranch_vccz .LBB6_11721
; %bb.11708:                            ;   in Loop: Header=BB6_10813 Depth=3
	v_mov_b32_e32 v1, 0
	v_mov_b32_e32 v0, 0
	s_and_saveexec_b64 s[38:39], s[40:41]
	s_cbranch_execz .LBB6_11714
; %bb.11709:                            ;   in Loop: Header=BB6_10813 Depth=3
	v_cmp_ne_u16_sdwa vcc, v33, s82 src0_sel:BYTE_0 src1_sel:DWORD
	v_bfrev_b32_e32 v0, 1
	s_and_saveexec_b64 s[40:41], vcc
	s_cbranch_execz .LBB6_11713
; %bb.11710:                            ;   in Loop: Header=BB6_10813 Depth=3
	v_and_b32_e32 v31, 0x7f, v33
	v_cmp_ne_u32_e32 vcc, s83, v31
	v_mov_b32_e32 v0, 0x7f800001
	s_and_saveexec_b64 s[48:49], vcc
	s_cbranch_execz .LBB6_11712
; %bb.11711:                            ;   in Loop: Header=BB6_10813 Depth=3
	v_and_b32_e32 v0, 7, v33
	v_ffbh_u32_e32 v0, v0
	v_min_u32_e32 v0, 32, v0
	v_lshrrev_b32_e32 v36, 3, v31
	v_cmp_gt_u32_e32 vcc, 8, v31
	v_subrev_u32_e32 v31, 28, v0
	v_sub_u32_e32 v0, 29, v0
	v_cndmask_b32_e32 v31, 0, v31, vcc
	v_cndmask_b32_e32 v0, v36, v0, vcc
	v_lshlrev_b64 v[36:37], v31, v[52:53]
	v_bfrev_b32_e32 v37, 60
	v_lshlrev_b32_e32 v31, 20, v36
	v_lshlrev_b32_e32 v36, 24, v52
	v_and_b32_e32 v31, 0x700000, v31
	v_and_b32_e32 v36, 0x80000000, v36
	v_lshl_add_u32 v0, v0, 23, v37
	v_or3_b32 v0, v36, v0, v31
.LBB6_11712:                            ;   in Loop: Header=BB6_10813 Depth=3
	s_or_b64 exec, exec, s[48:49]
.LBB6_11713:                            ;   in Loop: Header=BB6_10813 Depth=3
	s_or_b64 exec, exec, s[40:41]
.LBB6_11714:                            ;   in Loop: Header=BB6_10813 Depth=3
	s_or_b64 exec, exec, s[38:39]
	v_cmp_ne_u16_sdwa vcc, v25, v53 src0_sel:BYTE_0 src1_sel:DWORD
	s_and_saveexec_b64 s[40:41], vcc
	s_cbranch_execz .LBB6_11720
; %bb.11715:                            ;   in Loop: Header=BB6_10813 Depth=3
	v_cmp_ne_u16_sdwa vcc, v25, s82 src0_sel:BYTE_0 src1_sel:DWORD
	v_bfrev_b32_e32 v1, 1
	s_and_saveexec_b64 s[38:39], vcc
	s_cbranch_execz .LBB6_11719
; %bb.11716:                            ;   in Loop: Header=BB6_10813 Depth=3
	v_and_b32_e32 v31, 0x7f, v25
	v_cmp_ne_u32_e32 vcc, s83, v31
	v_mov_b32_e32 v1, 0x7f800001
	s_and_saveexec_b64 s[48:49], vcc
	s_cbranch_execz .LBB6_11718
; %bb.11717:                            ;   in Loop: Header=BB6_10813 Depth=3
	v_and_b32_e32 v1, 7, v25
	v_ffbh_u32_e32 v1, v1
	v_min_u32_e32 v1, 32, v1
	v_lshrrev_b32_e32 v36, 3, v31
	v_cmp_gt_u32_e32 vcc, 8, v31
	v_subrev_u32_e32 v31, 28, v1
	v_sub_u32_e32 v1, 29, v1
	v_cndmask_b32_e32 v31, 0, v31, vcc
	v_cndmask_b32_e32 v1, v36, v1, vcc
	v_lshlrev_b64 v[36:37], v31, v[2:3]
	v_lshlrev_b32_e32 v31, 24, v2
	v_lshlrev_b32_e32 v3, 20, v36
	v_bfrev_b32_e32 v36, 60
	v_and_b32_e32 v3, 0x700000, v3
	v_and_b32_e32 v31, 0x80000000, v31
	v_lshl_add_u32 v1, v1, 23, v36
	v_or3_b32 v1, v31, v1, v3
.LBB6_11718:                            ;   in Loop: Header=BB6_10813 Depth=3
	s_or_b64 exec, exec, s[48:49]
.LBB6_11719:                            ;   in Loop: Header=BB6_10813 Depth=3
	s_or_b64 exec, exec, s[38:39]
.LBB6_11720:                            ;   in Loop: Header=BB6_10813 Depth=3
	s_or_b64 exec, exec, s[40:41]
	v_max_f32_e32 v1, v1, v1
	v_max_f32_e32 v0, v0, v0
	v_min_f32_e32 v0, v0, v1
.LBB6_11721:                            ;   in Loop: Header=BB6_10813 Depth=3
	v_and_b32_e32 v36, 0x7f800000, v0
	v_mov_b32_e32 v37, v53
	v_cmp_ne_u64_e32 vcc, s[76:77], v[36:37]
                                        ; implicit-def: $vgpr51
	s_and_saveexec_b64 s[40:41], vcc
	s_xor_b64 s[38:39], exec, s[40:41]
	s_cbranch_execz .LBB6_11735
; %bb.11722:                            ;   in Loop: Header=BB6_10813 Depth=3
	v_and_b32_e32 v36, 0x7fffffff, v0
	v_mov_b32_e32 v37, v53
	v_cmp_gt_u64_e32 vcc, s[78:79], v[36:37]
	v_and_b32_sdwa v3, v0, s82 dst_sel:DWORD dst_unused:UNUSED_PAD src0_sel:BYTE_3 src1_sel:DWORD
                                        ; implicit-def: $vgpr51
	s_and_saveexec_b64 s[40:41], vcc
	s_xor_b64 s[48:49], exec, s[40:41]
	s_cbranch_execz .LBB6_11732
; %bb.11723:                            ;   in Loop: Header=BB6_10813 Depth=3
	v_mov_b32_e32 v51, 0
	v_cmp_ne_u32_e32 vcc, 0, v0
	s_and_saveexec_b64 s[50:51], vcc
	s_cbranch_execz .LBB6_11731
; %bb.11724:                            ;   in Loop: Header=BB6_10813 Depth=3
	v_bfe_u32 v31, v0, 23, 8
	v_and_b32_e32 v1, 0x7fffff, v0
	v_cmp_gt_u32_e64 s[40:41], s85, v31
	v_sub_u32_e32 v0, 0x79, v31
	v_cmp_eq_u32_e32 vcc, 0, v31
	v_cndmask_b32_e64 v0, 0, v0, s[40:41]
	v_mov_b32_e32 v37, 0x78
	v_or_b32_e32 v36, 0x800000, v1
	v_cndmask_b32_e32 v38, v0, v37, vcc
	v_cndmask_b32_e32 v0, v36, v1, vcc
	v_add_u32_e32 v36, 20, v38
	v_lshlrev_b64 v[36:37], v36, -1
	v_mov_b32_e32 v1, v53
	v_add_u32_e32 v39, 19, v38
	v_bfi_b32 v36, v36, 0, v0
	v_lshlrev_b64 v[48:49], v39, 1
	v_lshrrev_b64 v[0:1], v38, v[0:1]
	v_bfi_b32 v37, v37, 0, 0
	v_cmp_eq_u64_e64 s[40:41], v[36:37], v[48:49]
	v_mov_b32_e32 v37, v1
	v_mov_b32_e32 v36, v0
	s_and_saveexec_b64 s[52:53], s[40:41]
; %bb.11725:                            ;   in Loop: Header=BB6_10813 Depth=3
	v_bfe_u32 v1, v0, 20, 1
	v_add_co_u32_e64 v1, s[40:41], v0, v1
	v_add_co_u32_e64 v36, s[40:41], -1, v1
; %bb.11726:                            ;   in Loop: Header=BB6_10813 Depth=3
	s_or_b64 exec, exec, s[52:53]
	v_add_u32_e32 v1, 0xffffff81, v31
	v_mov_b32_e32 v31, 0xffffff82
	v_cndmask_b32_e32 v1, v1, v31, vcc
	v_lshrrev_b32_e32 v31, 23, v0
	v_add3_u32 v38, v38, v1, v31
	v_add_u32_e32 v37, 6, v38
	v_and_b32_e32 v1, 0xfffff, v36
	v_add_u32_e32 v0, v1, v0
	v_mov_b32_e32 v1, v53
	v_cmp_ne_u32_e32 vcc, 0, v37
                                        ; implicit-def: $vgpr31
	s_and_saveexec_b64 s[40:41], vcc
	s_xor_b64 s[40:41], exec, s[40:41]
; %bb.11727:                            ;   in Loop: Header=BB6_10813 Depth=3
	v_cmp_lt_u64_e32 vcc, s[88:89], v[0:1]
	v_add_u32_e32 v31, 7, v38
	v_cndmask_b32_e64 v36, 0, 1, vcc
	v_lshrrev_b64 v[0:1], v36, v[0:1]
	v_cndmask_b32_e32 v31, v37, v31, vcc
; %bb.11728:                            ;   in Loop: Header=BB6_10813 Depth=3
	s_andn2_saveexec_b64 s[40:41], s[40:41]
; %bb.11729:                            ;   in Loop: Header=BB6_10813 Depth=3
	v_bfe_u32 v31, v0, 23, 1
; %bb.11730:                            ;   in Loop: Header=BB6_10813 Depth=3
	s_or_b64 exec, exec, s[40:41]
	v_lshrrev_b64 v[0:1], 20, v[0:1]
	v_cmp_gt_i32_e32 vcc, 16, v31
	v_cndmask_b32_e32 v1, 0, v1, vcc
	v_cndmask_b32_e32 v0, 7, v0, vcc
	v_cmp_eq_u64_e64 s[40:41], 0, v[0:1]
	v_min_i32_e32 v1, 15, v31
	v_lshlrev_b32_e32 v1, 3, v1
	v_cmp_eq_u32_e32 vcc, 0, v31
	v_and_b32_e32 v1, 0xf8, v1
	v_and_or_b32 v0, v0, 7, v1
	s_and_b64 s[40:41], vcc, s[40:41]
	v_cndmask_b32_e64 v0, v0, 0, s[40:41]
	v_or_b32_e32 v51, v0, v3
.LBB6_11731:                            ;   in Loop: Header=BB6_10813 Depth=3
	s_or_b64 exec, exec, s[50:51]
                                        ; implicit-def: $vgpr3
.LBB6_11732:                            ;   in Loop: Header=BB6_10813 Depth=3
	s_andn2_saveexec_b64 s[40:41], s[48:49]
; %bb.11733:                            ;   in Loop: Header=BB6_10813 Depth=3
	v_or_b32_e32 v51, 0x7e, v3
; %bb.11734:                            ;   in Loop: Header=BB6_10813 Depth=3
	s_or_b64 exec, exec, s[40:41]
                                        ; implicit-def: $vgpr0
.LBB6_11735:                            ;   in Loop: Header=BB6_10813 Depth=3
	s_andn2_saveexec_b64 s[40:41], s[38:39]
; %bb.11736:                            ;   in Loop: Header=BB6_10813 Depth=3
	v_or_b32_sdwa v51, v0, s83 dst_sel:DWORD dst_unused:UNUSED_PAD src0_sel:BYTE_3 src1_sel:DWORD
; %bb.11737:                            ;   in Loop: Header=BB6_10813 Depth=3
	s_or_b64 exec, exec, s[40:41]
	v_lshrrev_b16_e32 v31, 8, v52
	v_lshrrev_b16_e32 v3, 8, v2
	v_cmp_ne_u16_e64 s[40:41], 0, v31
	s_and_b64 vcc, exec, s[28:29]
	s_mov_b64 s[38:39], -1
                                        ; implicit-def: $vgpr0
	s_cbranch_vccnz .LBB6_11751
; %bb.11738:                            ;   in Loop: Header=BB6_10813 Depth=3
	v_mov_b32_e32 v1, 0
	v_mov_b32_e32 v0, 0
	s_and_saveexec_b64 s[38:39], s[40:41]
	s_cbranch_execz .LBB6_11744
; %bb.11739:                            ;   in Loop: Header=BB6_10813 Depth=3
	v_cmp_ne_u16_e32 vcc, s82, v31
	v_bfrev_b32_e32 v0, 1
	s_and_saveexec_b64 s[48:49], vcc
	s_cbranch_execz .LBB6_11743
; %bb.11740:                            ;   in Loop: Header=BB6_10813 Depth=3
	v_and_b32_e32 v37, 0x7f, v31
	v_cmp_ne_u32_e32 vcc, s83, v37
	v_mov_b32_e32 v0, 0x7f800001
	s_and_saveexec_b64 s[50:51], vcc
	s_cbranch_execz .LBB6_11742
; %bb.11741:                            ;   in Loop: Header=BB6_10813 Depth=3
	v_and_b32_e32 v0, 7, v31
	v_ffbh_u32_e32 v36, v0
	v_min_u32_e32 v39, 32, v36
	v_subrev_u32_e32 v36, 28, v39
	v_lshrrev_b32_e32 v38, 3, v37
	v_cmp_gt_u32_e32 vcc, 8, v37
	v_lshlrev_b64 v[36:37], v36, v[31:32]
	v_sub_u32_e32 v37, 29, v39
	v_and_b32_e32 v36, 7, v36
	v_cndmask_b32_e32 v37, v38, v37, vcc
	v_cndmask_b32_e32 v0, v0, v36, vcc
	v_lshlrev_b32_e32 v36, 16, v52
	v_bfrev_b32_e32 v38, 60
	v_lshlrev_b32_e32 v0, 20, v0
	v_and_b32_e32 v36, 0x80000000, v36
	v_lshl_add_u32 v37, v37, 23, v38
	v_or3_b32 v0, v36, v37, v0
.LBB6_11742:                            ;   in Loop: Header=BB6_10813 Depth=3
	s_or_b64 exec, exec, s[50:51]
.LBB6_11743:                            ;   in Loop: Header=BB6_10813 Depth=3
	s_or_b64 exec, exec, s[48:49]
.LBB6_11744:                            ;   in Loop: Header=BB6_10813 Depth=3
	s_or_b64 exec, exec, s[38:39]
	v_cmp_ne_u16_e32 vcc, 0, v3
	s_and_saveexec_b64 s[38:39], vcc
	s_cbranch_execz .LBB6_11750
; %bb.11745:                            ;   in Loop: Header=BB6_10813 Depth=3
	v_cmp_ne_u16_e32 vcc, s82, v3
	v_bfrev_b32_e32 v1, 1
	s_and_saveexec_b64 s[48:49], vcc
	s_cbranch_execz .LBB6_11749
; %bb.11746:                            ;   in Loop: Header=BB6_10813 Depth=3
	v_and_b32_e32 v37, 0x7f, v3
	v_cmp_ne_u32_e32 vcc, s83, v37
	v_mov_b32_e32 v1, 0x7f800001
	s_and_saveexec_b64 s[50:51], vcc
	s_cbranch_execz .LBB6_11748
; %bb.11747:                            ;   in Loop: Header=BB6_10813 Depth=3
	v_and_b32_e32 v1, 7, v3
	v_ffbh_u32_e32 v36, v1
	v_min_u32_e32 v39, 32, v36
	v_subrev_u32_e32 v36, 28, v39
	v_lshrrev_b32_e32 v38, 3, v37
	v_cmp_gt_u32_e32 vcc, 8, v37
	v_lshlrev_b64 v[36:37], v36, v[3:4]
	v_sub_u32_e32 v37, 29, v39
	v_and_b32_e32 v36, 7, v36
	v_cndmask_b32_e32 v37, v38, v37, vcc
	v_cndmask_b32_e32 v1, v1, v36, vcc
	v_lshlrev_b32_e32 v36, 16, v2
	v_bfrev_b32_e32 v38, 60
	v_lshlrev_b32_e32 v1, 20, v1
	v_and_b32_e32 v36, 0x80000000, v36
	v_lshl_add_u32 v37, v37, 23, v38
	v_or3_b32 v1, v36, v37, v1
.LBB6_11748:                            ;   in Loop: Header=BB6_10813 Depth=3
	s_or_b64 exec, exec, s[50:51]
.LBB6_11749:                            ;   in Loop: Header=BB6_10813 Depth=3
	s_or_b64 exec, exec, s[48:49]
.LBB6_11750:                            ;   in Loop: Header=BB6_10813 Depth=3
	s_or_b64 exec, exec, s[38:39]
	v_max_f32_e32 v1, v1, v1
	v_max_f32_e32 v0, v0, v0
	;; [unrolled: 1-line block ×3, first 2 shown]
	s_mov_b64 s[38:39], 0
.LBB6_11751:                            ;   in Loop: Header=BB6_10813 Depth=3
	s_and_b64 vcc, exec, s[38:39]
	s_cbranch_vccz .LBB6_11765
; %bb.11752:                            ;   in Loop: Header=BB6_10813 Depth=3
	v_mov_b32_e32 v1, 0
	v_mov_b32_e32 v0, 0
	s_and_saveexec_b64 s[38:39], s[40:41]
	s_cbranch_execz .LBB6_11758
; %bb.11753:                            ;   in Loop: Header=BB6_10813 Depth=3
	v_cmp_ne_u16_e32 vcc, s82, v31
	v_bfrev_b32_e32 v0, 1
	s_and_saveexec_b64 s[40:41], vcc
	s_cbranch_execz .LBB6_11757
; %bb.11754:                            ;   in Loop: Header=BB6_10813 Depth=3
	v_and_b32_e32 v37, 0x7f, v31
	v_cmp_ne_u32_e32 vcc, s83, v37
	v_mov_b32_e32 v0, 0x7f800001
	s_and_saveexec_b64 s[48:49], vcc
	s_cbranch_execz .LBB6_11756
; %bb.11755:                            ;   in Loop: Header=BB6_10813 Depth=3
	v_and_b32_e32 v0, 7, v31
	v_ffbh_u32_e32 v36, v0
	v_min_u32_e32 v39, 32, v36
	v_subrev_u32_e32 v36, 28, v39
	v_lshrrev_b32_e32 v38, 3, v37
	v_cmp_gt_u32_e32 vcc, 8, v37
	v_lshlrev_b64 v[36:37], v36, v[31:32]
	v_sub_u32_e32 v31, 29, v39
	v_and_b32_e32 v36, 7, v36
	v_cndmask_b32_e32 v31, v38, v31, vcc
	v_cndmask_b32_e32 v0, v0, v36, vcc
	v_lshlrev_b32_e32 v36, 16, v52
	v_bfrev_b32_e32 v37, 60
	v_lshlrev_b32_e32 v0, 20, v0
	v_and_b32_e32 v36, 0x80000000, v36
	v_lshl_add_u32 v31, v31, 23, v37
	v_or3_b32 v0, v36, v31, v0
.LBB6_11756:                            ;   in Loop: Header=BB6_10813 Depth=3
	s_or_b64 exec, exec, s[48:49]
.LBB6_11757:                            ;   in Loop: Header=BB6_10813 Depth=3
	s_or_b64 exec, exec, s[40:41]
.LBB6_11758:                            ;   in Loop: Header=BB6_10813 Depth=3
	s_or_b64 exec, exec, s[38:39]
	v_cmp_ne_u16_e32 vcc, 0, v3
	s_and_saveexec_b64 s[40:41], vcc
	s_cbranch_execz .LBB6_11764
; %bb.11759:                            ;   in Loop: Header=BB6_10813 Depth=3
	v_cmp_ne_u16_e32 vcc, s82, v3
	v_bfrev_b32_e32 v1, 1
	s_and_saveexec_b64 s[38:39], vcc
	s_cbranch_execz .LBB6_11763
; %bb.11760:                            ;   in Loop: Header=BB6_10813 Depth=3
	v_and_b32_e32 v31, 0x7f, v3
	v_cmp_ne_u32_e32 vcc, s83, v31
	v_mov_b32_e32 v1, 0x7f800001
	s_and_saveexec_b64 s[48:49], vcc
	s_cbranch_execz .LBB6_11762
; %bb.11761:                            ;   in Loop: Header=BB6_10813 Depth=3
	v_and_b32_e32 v1, 7, v3
	v_lshrrev_b32_e32 v38, 3, v31
	v_cmp_gt_u32_e32 vcc, 8, v31
	v_ffbh_u32_e32 v31, v1
	v_min_u32_e32 v31, 32, v31
	v_subrev_u32_e32 v36, 28, v31
	v_lshlrev_b64 v[36:37], v36, v[3:4]
	v_sub_u32_e32 v3, 29, v31
	v_and_b32_e32 v31, 7, v36
	v_cndmask_b32_e32 v3, v38, v3, vcc
	v_cndmask_b32_e32 v1, v1, v31, vcc
	v_lshlrev_b32_e32 v2, 16, v2
	v_bfrev_b32_e32 v31, 60
	v_lshlrev_b32_e32 v1, 20, v1
	v_and_b32_e32 v2, 0x80000000, v2
	v_lshl_add_u32 v3, v3, 23, v31
	v_or3_b32 v1, v2, v3, v1
.LBB6_11762:                            ;   in Loop: Header=BB6_10813 Depth=3
	s_or_b64 exec, exec, s[48:49]
.LBB6_11763:                            ;   in Loop: Header=BB6_10813 Depth=3
	s_or_b64 exec, exec, s[38:39]
.LBB6_11764:                            ;   in Loop: Header=BB6_10813 Depth=3
	s_or_b64 exec, exec, s[40:41]
	v_max_f32_e32 v1, v1, v1
	v_max_f32_e32 v0, v0, v0
	v_min_f32_e32 v0, v0, v1
.LBB6_11765:                            ;   in Loop: Header=BB6_10813 Depth=3
	v_and_b32_e32 v52, 0x7f800000, v0
	v_cmp_ne_u64_e32 vcc, s[76:77], v[52:53]
                                        ; implicit-def: $vgpr39
	s_and_saveexec_b64 s[40:41], vcc
	s_xor_b64 s[38:39], exec, s[40:41]
	s_cbranch_execz .LBB6_11779
; %bb.11766:                            ;   in Loop: Header=BB6_10813 Depth=3
	v_and_b32_e32 v52, 0x7fffffff, v0
	v_cmp_gt_u64_e32 vcc, s[78:79], v[52:53]
	v_and_b32_sdwa v3, v0, s82 dst_sel:DWORD dst_unused:UNUSED_PAD src0_sel:BYTE_3 src1_sel:DWORD
                                        ; implicit-def: $vgpr39
	s_and_saveexec_b64 s[40:41], vcc
	s_xor_b64 s[48:49], exec, s[40:41]
	s_cbranch_execz .LBB6_11776
; %bb.11767:                            ;   in Loop: Header=BB6_10813 Depth=3
	v_mov_b32_e32 v39, 0
	v_cmp_ne_u32_e32 vcc, 0, v0
	s_and_saveexec_b64 s[50:51], vcc
	s_cbranch_execz .LBB6_11775
; %bb.11768:                            ;   in Loop: Header=BB6_10813 Depth=3
	v_bfe_u32 v31, v0, 23, 8
	v_and_b32_e32 v1, 0x7fffff, v0
	v_cmp_gt_u32_e64 s[40:41], s85, v31
	v_sub_u32_e32 v0, 0x79, v31
	v_cmp_eq_u32_e32 vcc, 0, v31
	v_cndmask_b32_e64 v0, 0, v0, s[40:41]
	v_mov_b32_e32 v36, 0x78
	v_cndmask_b32_e32 v37, v0, v36, vcc
	v_or_b32_e32 v2, 0x800000, v1
	v_add_u32_e32 v0, 20, v37
	v_cndmask_b32_e32 v52, v2, v1, vcc
	v_lshlrev_b64 v[0:1], v0, -1
	v_add_u32_e32 v2, 19, v37
	v_lshlrev_b64 v[38:39], v2, 1
	v_bfi_b32 v1, v1, 0, 0
	v_bfi_b32 v0, v0, 0, v52
	v_cmp_eq_u64_e64 s[40:41], v[0:1], v[38:39]
	v_lshrrev_b64 v[0:1], v37, v[52:53]
	v_mov_b32_e32 v2, v1
	v_mov_b32_e32 v1, v0
	s_and_saveexec_b64 s[52:53], s[40:41]
; %bb.11769:                            ;   in Loop: Header=BB6_10813 Depth=3
	v_bfe_u32 v1, v0, 20, 1
	v_add_co_u32_e64 v1, s[40:41], v0, v1
	v_add_co_u32_e64 v1, s[40:41], -1, v1
; %bb.11770:                            ;   in Loop: Header=BB6_10813 Depth=3
	s_or_b64 exec, exec, s[52:53]
	v_add_u32_e32 v2, 0xffffff81, v31
	v_mov_b32_e32 v31, 0xffffff82
	v_cndmask_b32_e32 v2, v2, v31, vcc
	v_lshrrev_b32_e32 v31, 23, v0
	v_add3_u32 v37, v37, v2, v31
	v_add_u32_e32 v31, 6, v37
	v_and_b32_e32 v1, 0xfffff, v1
	v_add_u32_e32 v52, v1, v0
	v_cmp_ne_u32_e32 vcc, 0, v31
                                        ; implicit-def: $vgpr0_vgpr1
                                        ; implicit-def: $vgpr2
	s_and_saveexec_b64 s[40:41], vcc
	s_xor_b64 s[40:41], exec, s[40:41]
; %bb.11771:                            ;   in Loop: Header=BB6_10813 Depth=3
	v_cmp_lt_u64_e32 vcc, s[88:89], v[52:53]
	v_add_u32_e32 v0, 7, v37
	v_cndmask_b32_e32 v2, v31, v0, vcc
	v_cndmask_b32_e64 v0, 0, 1, vcc
	v_lshrrev_b64 v[0:1], v0, v[52:53]
; %bb.11772:                            ;   in Loop: Header=BB6_10813 Depth=3
	s_andn2_saveexec_b64 s[40:41], s[40:41]
; %bb.11773:                            ;   in Loop: Header=BB6_10813 Depth=3
	v_mov_b32_e32 v0, v52
	v_bfe_u32 v2, v52, 23, 1
	v_mov_b32_e32 v1, v53
; %bb.11774:                            ;   in Loop: Header=BB6_10813 Depth=3
	s_or_b64 exec, exec, s[40:41]
	v_lshrrev_b64 v[0:1], 20, v[0:1]
	v_cmp_gt_i32_e32 vcc, 16, v2
	v_cndmask_b32_e32 v1, 0, v1, vcc
	v_cndmask_b32_e32 v0, 7, v0, vcc
	v_cmp_eq_u64_e64 s[40:41], 0, v[0:1]
	v_min_i32_e32 v1, 15, v2
	v_lshlrev_b32_e32 v1, 3, v1
	v_cmp_eq_u32_e32 vcc, 0, v2
	v_and_b32_e32 v1, 0xf8, v1
	v_and_or_b32 v0, v0, 7, v1
	s_and_b64 s[40:41], vcc, s[40:41]
	v_cndmask_b32_e64 v0, v0, 0, s[40:41]
	v_or_b32_e32 v39, v0, v3
.LBB6_11775:                            ;   in Loop: Header=BB6_10813 Depth=3
	s_or_b64 exec, exec, s[50:51]
                                        ; implicit-def: $vgpr3
.LBB6_11776:                            ;   in Loop: Header=BB6_10813 Depth=3
	s_andn2_saveexec_b64 s[40:41], s[48:49]
; %bb.11777:                            ;   in Loop: Header=BB6_10813 Depth=3
	v_or_b32_e32 v39, 0x7e, v3
; %bb.11778:                            ;   in Loop: Header=BB6_10813 Depth=3
	s_or_b64 exec, exec, s[40:41]
                                        ; implicit-def: $vgpr0
.LBB6_11779:                            ;   in Loop: Header=BB6_10813 Depth=3
	s_andn2_saveexec_b64 s[40:41], s[38:39]
; %bb.11780:                            ;   in Loop: Header=BB6_10813 Depth=3
	v_or_b32_sdwa v39, v0, s83 dst_sel:DWORD dst_unused:UNUSED_PAD src0_sel:BYTE_3 src1_sel:DWORD
; %bb.11781:                            ;   in Loop: Header=BB6_10813 Depth=3
	s_or_b64 exec, exec, s[40:41]
	v_lshrrev_b32_e32 v2, 16, v33
	v_lshrrev_b32_e32 v0, 16, v25
	v_cmp_ne_u16_sdwa s[40:41], v2, v53 src0_sel:BYTE_0 src1_sel:DWORD
	s_and_b64 vcc, exec, s[28:29]
	s_mov_b64 s[38:39], -1
                                        ; implicit-def: $vgpr1
	s_cbranch_vccnz .LBB6_11795
; %bb.11782:                            ;   in Loop: Header=BB6_10813 Depth=3
	v_mov_b32_e32 v3, 0
	v_mov_b32_e32 v1, 0
	s_and_saveexec_b64 s[38:39], s[40:41]
	s_cbranch_execz .LBB6_11788
; %bb.11783:                            ;   in Loop: Header=BB6_10813 Depth=3
	v_cmp_ne_u16_sdwa vcc, v2, s82 src0_sel:BYTE_0 src1_sel:DWORD
	v_bfrev_b32_e32 v1, 1
	s_and_saveexec_b64 s[48:49], vcc
	s_cbranch_execz .LBB6_11787
; %bb.11784:                            ;   in Loop: Header=BB6_10813 Depth=3
	v_bfe_u32 v37, v33, 16, 7
	v_cmp_ne_u32_e32 vcc, s83, v37
	v_mov_b32_e32 v1, 0x7f800001
	s_and_saveexec_b64 s[50:51], vcc
	s_cbranch_execz .LBB6_11786
; %bb.11785:                            ;   in Loop: Header=BB6_10813 Depth=3
	v_and_b32_e32 v1, 7, v2
	v_ffbh_u32_e32 v36, v1
	v_min_u32_e32 v38, 32, v36
	v_subrev_u32_e32 v36, 28, v38
	v_lshrrev_b32_e32 v31, 3, v37
	v_cmp_gt_u32_e32 vcc, 8, v37
	v_lshlrev_b64 v[36:37], v36, v[2:3]
	v_sub_u32_e32 v37, 29, v38
	v_and_b32_e32 v36, 7, v36
	v_cndmask_b32_e32 v31, v31, v37, vcc
	v_cndmask_b32_e32 v1, v1, v36, vcc
	v_lshlrev_b32_e32 v36, 24, v2
	v_bfrev_b32_e32 v37, 60
	v_lshlrev_b32_e32 v1, 20, v1
	v_and_b32_e32 v36, 0x80000000, v36
	v_lshl_add_u32 v31, v31, 23, v37
	v_or3_b32 v1, v36, v31, v1
.LBB6_11786:                            ;   in Loop: Header=BB6_10813 Depth=3
	s_or_b64 exec, exec, s[50:51]
.LBB6_11787:                            ;   in Loop: Header=BB6_10813 Depth=3
	s_or_b64 exec, exec, s[48:49]
.LBB6_11788:                            ;   in Loop: Header=BB6_10813 Depth=3
	s_or_b64 exec, exec, s[38:39]
	v_cmp_ne_u16_sdwa vcc, v0, v53 src0_sel:BYTE_0 src1_sel:DWORD
	s_and_saveexec_b64 s[38:39], vcc
	s_cbranch_execz .LBB6_11794
; %bb.11789:                            ;   in Loop: Header=BB6_10813 Depth=3
	v_cmp_ne_u16_sdwa vcc, v0, s82 src0_sel:BYTE_0 src1_sel:DWORD
	v_bfrev_b32_e32 v3, 1
	s_and_saveexec_b64 s[48:49], vcc
	s_cbranch_execz .LBB6_11793
; %bb.11790:                            ;   in Loop: Header=BB6_10813 Depth=3
	v_bfe_u32 v37, v25, 16, 7
	v_cmp_ne_u32_e32 vcc, s83, v37
	v_mov_b32_e32 v3, 0x7f800001
	s_and_saveexec_b64 s[50:51], vcc
	s_cbranch_execz .LBB6_11792
; %bb.11791:                            ;   in Loop: Header=BB6_10813 Depth=3
	v_and_b32_e32 v3, 7, v0
	v_ffbh_u32_e32 v36, v3
	v_min_u32_e32 v38, 32, v36
	v_subrev_u32_e32 v36, 28, v38
	v_lshrrev_b32_e32 v31, 3, v37
	v_cmp_gt_u32_e32 vcc, 8, v37
	v_lshlrev_b64 v[36:37], v36, v[0:1]
	v_sub_u32_e32 v37, 29, v38
	v_and_b32_e32 v36, 7, v36
	v_cndmask_b32_e32 v31, v31, v37, vcc
	v_cndmask_b32_e32 v3, v3, v36, vcc
	v_lshlrev_b32_e32 v36, 24, v0
	v_bfrev_b32_e32 v37, 60
	v_lshlrev_b32_e32 v3, 20, v3
	v_and_b32_e32 v36, 0x80000000, v36
	v_lshl_add_u32 v31, v31, 23, v37
	v_or3_b32 v3, v36, v31, v3
.LBB6_11792:                            ;   in Loop: Header=BB6_10813 Depth=3
	s_or_b64 exec, exec, s[50:51]
.LBB6_11793:                            ;   in Loop: Header=BB6_10813 Depth=3
	s_or_b64 exec, exec, s[48:49]
.LBB6_11794:                            ;   in Loop: Header=BB6_10813 Depth=3
	s_or_b64 exec, exec, s[38:39]
	v_max_f32_e32 v3, v3, v3
	v_max_f32_e32 v1, v1, v1
	;; [unrolled: 1-line block ×3, first 2 shown]
	s_mov_b64 s[38:39], 0
.LBB6_11795:                            ;   in Loop: Header=BB6_10813 Depth=3
	s_and_b64 vcc, exec, s[38:39]
	s_cbranch_vccz .LBB6_11809
; %bb.11796:                            ;   in Loop: Header=BB6_10813 Depth=3
	v_mov_b32_e32 v3, 0
	v_mov_b32_e32 v1, 0
	s_and_saveexec_b64 s[38:39], s[40:41]
	s_cbranch_execz .LBB6_11802
; %bb.11797:                            ;   in Loop: Header=BB6_10813 Depth=3
	v_cmp_ne_u16_sdwa vcc, v2, s82 src0_sel:BYTE_0 src1_sel:DWORD
	v_bfrev_b32_e32 v1, 1
	s_and_saveexec_b64 s[40:41], vcc
	s_cbranch_execz .LBB6_11801
; %bb.11798:                            ;   in Loop: Header=BB6_10813 Depth=3
	v_bfe_u32 v37, v33, 16, 7
	v_cmp_ne_u32_e32 vcc, s83, v37
	v_mov_b32_e32 v1, 0x7f800001
	s_and_saveexec_b64 s[48:49], vcc
	s_cbranch_execz .LBB6_11800
; %bb.11799:                            ;   in Loop: Header=BB6_10813 Depth=3
	v_and_b32_e32 v1, 7, v2
	v_ffbh_u32_e32 v36, v1
	v_min_u32_e32 v38, 32, v36
	v_subrev_u32_e32 v36, 28, v38
	v_lshrrev_b32_e32 v31, 3, v37
	v_cmp_gt_u32_e32 vcc, 8, v37
	v_lshlrev_b64 v[36:37], v36, v[2:3]
	v_sub_u32_e32 v37, 29, v38
	v_and_b32_e32 v36, 7, v36
	v_cndmask_b32_e32 v31, v31, v37, vcc
	v_cndmask_b32_e32 v1, v1, v36, vcc
	v_lshlrev_b32_e32 v2, 24, v2
	v_bfrev_b32_e32 v36, 60
	v_lshlrev_b32_e32 v1, 20, v1
	v_and_b32_e32 v2, 0x80000000, v2
	v_lshl_add_u32 v31, v31, 23, v36
	v_or3_b32 v1, v2, v31, v1
.LBB6_11800:                            ;   in Loop: Header=BB6_10813 Depth=3
	s_or_b64 exec, exec, s[48:49]
.LBB6_11801:                            ;   in Loop: Header=BB6_10813 Depth=3
	s_or_b64 exec, exec, s[40:41]
.LBB6_11802:                            ;   in Loop: Header=BB6_10813 Depth=3
	s_or_b64 exec, exec, s[38:39]
	v_cmp_ne_u16_sdwa vcc, v0, v53 src0_sel:BYTE_0 src1_sel:DWORD
	s_and_saveexec_b64 s[40:41], vcc
	s_cbranch_execz .LBB6_11808
; %bb.11803:                            ;   in Loop: Header=BB6_10813 Depth=3
	v_cmp_ne_u16_sdwa vcc, v0, s82 src0_sel:BYTE_0 src1_sel:DWORD
	v_bfrev_b32_e32 v3, 1
	s_and_saveexec_b64 s[38:39], vcc
	s_cbranch_execz .LBB6_11807
; %bb.11804:                            ;   in Loop: Header=BB6_10813 Depth=3
	v_bfe_u32 v2, v25, 16, 7
	v_cmp_ne_u32_e32 vcc, s83, v2
	v_mov_b32_e32 v3, 0x7f800001
	s_and_saveexec_b64 s[48:49], vcc
	s_cbranch_execz .LBB6_11806
; %bb.11805:                            ;   in Loop: Header=BB6_10813 Depth=3
	v_and_b32_e32 v31, 7, v0
	v_lshrrev_b32_e32 v36, 3, v2
	v_cmp_gt_u32_e32 vcc, 8, v2
	v_ffbh_u32_e32 v2, v31
	v_min_u32_e32 v37, 32, v2
	v_subrev_u32_e32 v2, 28, v37
	v_lshlrev_b64 v[2:3], v2, v[0:1]
	v_sub_u32_e32 v3, 29, v37
	v_and_b32_e32 v2, 7, v2
	v_cndmask_b32_e32 v3, v36, v3, vcc
	v_cndmask_b32_e32 v2, v31, v2, vcc
	v_lshlrev_b32_e32 v0, 24, v0
	v_bfrev_b32_e32 v31, 60
	v_lshlrev_b32_e32 v2, 20, v2
	v_and_b32_e32 v0, 0x80000000, v0
	v_lshl_add_u32 v3, v3, 23, v31
	v_or3_b32 v3, v0, v3, v2
.LBB6_11806:                            ;   in Loop: Header=BB6_10813 Depth=3
	s_or_b64 exec, exec, s[48:49]
.LBB6_11807:                            ;   in Loop: Header=BB6_10813 Depth=3
	s_or_b64 exec, exec, s[38:39]
.LBB6_11808:                            ;   in Loop: Header=BB6_10813 Depth=3
	s_or_b64 exec, exec, s[40:41]
	v_max_f32_e32 v0, v3, v3
	v_max_f32_e32 v1, v1, v1
	v_min_f32_e32 v1, v1, v0
.LBB6_11809:                            ;   in Loop: Header=BB6_10813 Depth=3
	v_and_b32_e32 v52, 0x7f800000, v1
	v_cmp_ne_u64_e32 vcc, s[76:77], v[52:53]
	buffer_store_dword v39, off, s[0:3], s33 offset:148 ; 4-byte Folded Spill
                                        ; implicit-def: $vgpr31
	s_and_saveexec_b64 s[40:41], vcc
	s_xor_b64 s[38:39], exec, s[40:41]
	s_cbranch_execz .LBB6_11823
; %bb.11810:                            ;   in Loop: Header=BB6_10813 Depth=3
	v_and_b32_e32 v52, 0x7fffffff, v1
	v_cmp_gt_u64_e32 vcc, s[78:79], v[52:53]
	v_and_b32_sdwa v3, v1, s82 dst_sel:DWORD dst_unused:UNUSED_PAD src0_sel:BYTE_3 src1_sel:DWORD
                                        ; implicit-def: $vgpr31
	s_and_saveexec_b64 s[40:41], vcc
	s_xor_b64 s[48:49], exec, s[40:41]
	s_cbranch_execz .LBB6_11820
; %bb.11811:                            ;   in Loop: Header=BB6_10813 Depth=3
	v_mov_b32_e32 v31, 0
	v_cmp_ne_u32_e32 vcc, 0, v1
	s_and_saveexec_b64 s[50:51], vcc
	s_cbranch_execz .LBB6_11819
; %bb.11812:                            ;   in Loop: Header=BB6_10813 Depth=3
	v_bfe_u32 v37, v1, 23, 8
	v_and_b32_e32 v0, 0x7fffff, v1
	v_cmp_gt_u32_e64 s[40:41], s85, v37
	v_sub_u32_e32 v1, 0x79, v37
	v_cmp_eq_u32_e32 vcc, 0, v37
	v_cndmask_b32_e64 v1, 0, v1, s[40:41]
	v_mov_b32_e32 v31, 0x78
	v_or_b32_e32 v2, 0x800000, v0
	v_cndmask_b32_e32 v38, v1, v31, vcc
	v_cndmask_b32_e32 v52, v2, v0, vcc
	v_add_u32_e32 v0, 20, v38
	v_lshlrev_b64 v[0:1], v0, -1
	v_add_u32_e32 v2, 19, v38
	v_lshlrev_b64 v[48:49], v2, 1
	v_bfi_b32 v1, v1, 0, 0
	v_bfi_b32 v0, v0, 0, v52
	v_cmp_eq_u64_e64 s[40:41], v[0:1], v[48:49]
	v_lshrrev_b64 v[0:1], v38, v[52:53]
	v_mov_b32_e32 v2, v1
	v_mov_b32_e32 v1, v0
	s_and_saveexec_b64 s[52:53], s[40:41]
; %bb.11813:                            ;   in Loop: Header=BB6_10813 Depth=3
	v_bfe_u32 v1, v0, 20, 1
	v_add_co_u32_e64 v1, s[40:41], v0, v1
	v_add_co_u32_e64 v1, s[40:41], -1, v1
; %bb.11814:                            ;   in Loop: Header=BB6_10813 Depth=3
	s_or_b64 exec, exec, s[52:53]
	v_add_u32_e32 v2, 0xffffff81, v37
	v_mov_b32_e32 v31, 0xffffff82
	v_cndmask_b32_e32 v2, v2, v31, vcc
	v_lshrrev_b32_e32 v31, 23, v0
	v_add3_u32 v38, v38, v2, v31
	v_add_u32_e32 v37, 6, v38
	v_and_b32_e32 v1, 0xfffff, v1
	v_add_u32_e32 v52, v1, v0
	v_cmp_ne_u32_e32 vcc, 0, v37
                                        ; implicit-def: $vgpr0_vgpr1
                                        ; implicit-def: $vgpr2
	s_and_saveexec_b64 s[40:41], vcc
	s_xor_b64 s[40:41], exec, s[40:41]
; %bb.11815:                            ;   in Loop: Header=BB6_10813 Depth=3
	v_cmp_lt_u64_e32 vcc, s[88:89], v[52:53]
	v_add_u32_e32 v0, 7, v38
	v_cndmask_b32_e32 v2, v37, v0, vcc
	v_cndmask_b32_e64 v0, 0, 1, vcc
	v_lshrrev_b64 v[0:1], v0, v[52:53]
; %bb.11816:                            ;   in Loop: Header=BB6_10813 Depth=3
	s_andn2_saveexec_b64 s[40:41], s[40:41]
; %bb.11817:                            ;   in Loop: Header=BB6_10813 Depth=3
	v_mov_b32_e32 v0, v52
	v_bfe_u32 v2, v52, 23, 1
	v_mov_b32_e32 v1, v53
; %bb.11818:                            ;   in Loop: Header=BB6_10813 Depth=3
	s_or_b64 exec, exec, s[40:41]
	v_lshrrev_b64 v[0:1], 20, v[0:1]
	v_cmp_gt_i32_e32 vcc, 16, v2
	v_cndmask_b32_e32 v1, 0, v1, vcc
	v_cndmask_b32_e32 v0, 7, v0, vcc
	v_cmp_eq_u64_e64 s[40:41], 0, v[0:1]
	v_min_i32_e32 v1, 15, v2
	v_lshlrev_b32_e32 v1, 3, v1
	v_cmp_eq_u32_e32 vcc, 0, v2
	v_and_b32_e32 v1, 0xf8, v1
	v_and_or_b32 v0, v0, 7, v1
	s_and_b64 s[40:41], vcc, s[40:41]
	v_cndmask_b32_e64 v0, v0, 0, s[40:41]
	v_or_b32_e32 v31, v0, v3
.LBB6_11819:                            ;   in Loop: Header=BB6_10813 Depth=3
	s_or_b64 exec, exec, s[50:51]
                                        ; implicit-def: $vgpr3
.LBB6_11820:                            ;   in Loop: Header=BB6_10813 Depth=3
	s_andn2_saveexec_b64 s[40:41], s[48:49]
; %bb.11821:                            ;   in Loop: Header=BB6_10813 Depth=3
	v_or_b32_e32 v31, 0x7e, v3
; %bb.11822:                            ;   in Loop: Header=BB6_10813 Depth=3
	s_or_b64 exec, exec, s[40:41]
                                        ; implicit-def: $vgpr1
.LBB6_11823:                            ;   in Loop: Header=BB6_10813 Depth=3
	s_andn2_saveexec_b64 s[40:41], s[38:39]
; %bb.11824:                            ;   in Loop: Header=BB6_10813 Depth=3
	v_or_b32_sdwa v31, v1, s83 dst_sel:DWORD dst_unused:UNUSED_PAD src0_sel:BYTE_3 src1_sel:DWORD
; %bb.11825:                            ;   in Loop: Header=BB6_10813 Depth=3
	s_or_b64 exec, exec, s[40:41]
	v_cmp_lt_u64_e64 s[40:41], s[62:63], v[32:33]
	v_lshrrev_b32_e32 v2, 24, v33
	v_lshrrev_b32_e32 v0, 24, v25
	s_and_b64 vcc, exec, s[28:29]
	s_mov_b64 s[38:39], -1
                                        ; implicit-def: $vgpr1
	s_cbranch_vccnz .LBB6_11839
; %bb.11826:                            ;   in Loop: Header=BB6_10813 Depth=3
	v_mov_b32_e32 v3, 0
	v_mov_b32_e32 v1, 0
	s_and_saveexec_b64 s[38:39], s[40:41]
	s_cbranch_execz .LBB6_11832
; %bb.11827:                            ;   in Loop: Header=BB6_10813 Depth=3
	v_cmp_ne_u32_e32 vcc, s82, v2
	v_bfrev_b32_e32 v1, 1
	s_and_saveexec_b64 s[48:49], vcc
	s_cbranch_execz .LBB6_11831
; %bb.11828:                            ;   in Loop: Header=BB6_10813 Depth=3
	v_bfe_u32 v32, v33, 24, 7
	v_cmp_ne_u32_e32 vcc, s83, v32
	v_mov_b32_e32 v1, 0x7f800001
	s_and_saveexec_b64 s[50:51], vcc
	s_cbranch_execz .LBB6_11830
; %bb.11829:                            ;   in Loop: Header=BB6_10813 Depth=3
	v_and_b32_e32 v1, 7, v2
	v_lshrrev_b32_e32 v38, 3, v32
	v_cmp_gt_u32_e32 vcc, 8, v32
	v_ffbh_u32_e32 v32, v1
	v_min_u32_e32 v32, 32, v32
	v_subrev_u32_e32 v36, 28, v32
	v_lshlrev_b64 v[36:37], v36, v[2:3]
	v_sub_u32_e32 v32, 29, v32
	v_and_b32_e32 v36, 7, v36
	v_cndmask_b32_e32 v32, v38, v32, vcc
	v_cndmask_b32_e32 v1, v1, v36, vcc
	v_lshlrev_b32_e32 v36, 24, v2
	v_bfrev_b32_e32 v37, 60
	v_lshlrev_b32_e32 v1, 20, v1
	v_and_b32_e32 v36, 0x80000000, v36
	v_lshl_add_u32 v32, v32, 23, v37
	v_or3_b32 v1, v36, v32, v1
.LBB6_11830:                            ;   in Loop: Header=BB6_10813 Depth=3
	s_or_b64 exec, exec, s[50:51]
.LBB6_11831:                            ;   in Loop: Header=BB6_10813 Depth=3
	s_or_b64 exec, exec, s[48:49]
.LBB6_11832:                            ;   in Loop: Header=BB6_10813 Depth=3
	s_or_b64 exec, exec, s[38:39]
	v_cmp_lt_u64_e32 vcc, s[62:63], v[24:25]
	s_and_saveexec_b64 s[38:39], vcc
	s_cbranch_execz .LBB6_11838
; %bb.11833:                            ;   in Loop: Header=BB6_10813 Depth=3
	v_cmp_ne_u32_e32 vcc, s82, v0
	v_bfrev_b32_e32 v3, 1
	s_and_saveexec_b64 s[48:49], vcc
	s_cbranch_execz .LBB6_11837
; %bb.11834:                            ;   in Loop: Header=BB6_10813 Depth=3
	v_bfe_u32 v32, v25, 24, 7
	v_cmp_ne_u32_e32 vcc, s83, v32
	v_mov_b32_e32 v3, 0x7f800001
	s_and_saveexec_b64 s[50:51], vcc
	s_cbranch_execz .LBB6_11836
; %bb.11835:                            ;   in Loop: Header=BB6_10813 Depth=3
	v_and_b32_e32 v3, 7, v0
	v_lshrrev_b32_e32 v38, 3, v32
	v_cmp_gt_u32_e32 vcc, 8, v32
	v_ffbh_u32_e32 v32, v3
	v_min_u32_e32 v32, 32, v32
	v_subrev_u32_e32 v36, 28, v32
	v_lshlrev_b64 v[36:37], v36, v[0:1]
	v_sub_u32_e32 v32, 29, v32
	v_and_b32_e32 v36, 7, v36
	v_cndmask_b32_e32 v32, v38, v32, vcc
	v_cndmask_b32_e32 v3, v3, v36, vcc
	v_lshlrev_b32_e32 v36, 24, v0
	v_bfrev_b32_e32 v37, 60
	v_lshlrev_b32_e32 v3, 20, v3
	v_and_b32_e32 v36, 0x80000000, v36
	v_lshl_add_u32 v32, v32, 23, v37
	v_or3_b32 v3, v36, v32, v3
.LBB6_11836:                            ;   in Loop: Header=BB6_10813 Depth=3
	s_or_b64 exec, exec, s[50:51]
.LBB6_11837:                            ;   in Loop: Header=BB6_10813 Depth=3
	s_or_b64 exec, exec, s[48:49]
.LBB6_11838:                            ;   in Loop: Header=BB6_10813 Depth=3
	s_or_b64 exec, exec, s[38:39]
	v_max_f32_e32 v3, v3, v3
	v_max_f32_e32 v1, v1, v1
	;; [unrolled: 1-line block ×3, first 2 shown]
	s_mov_b64 s[38:39], 0
.LBB6_11839:                            ;   in Loop: Header=BB6_10813 Depth=3
	s_and_b64 vcc, exec, s[38:39]
	s_cbranch_vccz .LBB6_11853
; %bb.11840:                            ;   in Loop: Header=BB6_10813 Depth=3
	v_mov_b32_e32 v3, 0
	v_mov_b32_e32 v1, 0
	s_and_saveexec_b64 s[38:39], s[40:41]
	s_cbranch_execz .LBB6_11846
; %bb.11841:                            ;   in Loop: Header=BB6_10813 Depth=3
	v_cmp_ne_u32_e32 vcc, s82, v2
	v_bfrev_b32_e32 v1, 1
	s_and_saveexec_b64 s[40:41], vcc
	s_cbranch_execz .LBB6_11845
; %bb.11842:                            ;   in Loop: Header=BB6_10813 Depth=3
	v_bfe_u32 v32, v33, 24, 7
	v_cmp_ne_u32_e32 vcc, s83, v32
	v_mov_b32_e32 v1, 0x7f800001
	s_and_saveexec_b64 s[48:49], vcc
	s_cbranch_execz .LBB6_11844
; %bb.11843:                            ;   in Loop: Header=BB6_10813 Depth=3
	v_and_b32_e32 v1, 7, v2
	v_lshrrev_b32_e32 v36, 3, v32
	v_cmp_gt_u32_e32 vcc, 8, v32
	v_ffbh_u32_e32 v32, v1
	v_min_u32_e32 v37, 32, v32
	v_subrev_u32_e32 v32, 28, v37
	v_lshlrev_b64 v[32:33], v32, v[2:3]
	v_sub_u32_e32 v33, 29, v37
	v_and_b32_e32 v32, 7, v32
	v_cndmask_b32_e32 v33, v36, v33, vcc
	v_cndmask_b32_e32 v1, v1, v32, vcc
	v_lshlrev_b32_e32 v2, 24, v2
	v_bfrev_b32_e32 v32, 60
	v_lshlrev_b32_e32 v1, 20, v1
	v_and_b32_e32 v2, 0x80000000, v2
	v_lshl_add_u32 v32, v33, 23, v32
	v_or3_b32 v1, v2, v32, v1
.LBB6_11844:                            ;   in Loop: Header=BB6_10813 Depth=3
	s_or_b64 exec, exec, s[48:49]
.LBB6_11845:                            ;   in Loop: Header=BB6_10813 Depth=3
	s_or_b64 exec, exec, s[40:41]
.LBB6_11846:                            ;   in Loop: Header=BB6_10813 Depth=3
	s_or_b64 exec, exec, s[38:39]
	v_cmp_lt_u64_e32 vcc, s[62:63], v[24:25]
	s_and_saveexec_b64 s[40:41], vcc
	s_cbranch_execz .LBB6_11852
; %bb.11847:                            ;   in Loop: Header=BB6_10813 Depth=3
	v_cmp_ne_u32_e32 vcc, s82, v0
	v_bfrev_b32_e32 v3, 1
	s_and_saveexec_b64 s[38:39], vcc
	s_cbranch_execz .LBB6_11851
; %bb.11848:                            ;   in Loop: Header=BB6_10813 Depth=3
	v_bfe_u32 v2, v25, 24, 7
	v_cmp_ne_u32_e32 vcc, s83, v2
	v_mov_b32_e32 v3, 0x7f800001
	s_and_saveexec_b64 s[48:49], vcc
	s_cbranch_execz .LBB6_11850
; %bb.11849:                            ;   in Loop: Header=BB6_10813 Depth=3
	v_and_b32_e32 v24, 7, v0
	v_lshrrev_b32_e32 v25, 3, v2
	v_cmp_gt_u32_e32 vcc, 8, v2
	v_ffbh_u32_e32 v2, v24
	v_min_u32_e32 v32, 32, v2
	v_subrev_u32_e32 v2, 28, v32
	v_lshlrev_b64 v[2:3], v2, v[0:1]
	v_sub_u32_e32 v3, 29, v32
	v_and_b32_e32 v2, 7, v2
	v_cndmask_b32_e32 v3, v25, v3, vcc
	v_cndmask_b32_e32 v2, v24, v2, vcc
	v_lshlrev_b32_e32 v0, 24, v0
	v_bfrev_b32_e32 v24, 60
	v_lshlrev_b32_e32 v2, 20, v2
	v_and_b32_e32 v0, 0x80000000, v0
	v_lshl_add_u32 v3, v3, 23, v24
	v_or3_b32 v3, v0, v3, v2
.LBB6_11850:                            ;   in Loop: Header=BB6_10813 Depth=3
	s_or_b64 exec, exec, s[48:49]
.LBB6_11851:                            ;   in Loop: Header=BB6_10813 Depth=3
	s_or_b64 exec, exec, s[38:39]
.LBB6_11852:                            ;   in Loop: Header=BB6_10813 Depth=3
	s_or_b64 exec, exec, s[40:41]
	v_max_f32_e32 v0, v3, v3
	v_max_f32_e32 v1, v1, v1
	v_min_f32_e32 v1, v1, v0
.LBB6_11853:                            ;   in Loop: Header=BB6_10813 Depth=3
	v_and_b32_e32 v52, 0x7f800000, v1
	v_cmp_ne_u64_e32 vcc, s[76:77], v[52:53]
                                        ; implicit-def: $vgpr32
	s_and_saveexec_b64 s[40:41], vcc
	s_xor_b64 s[38:39], exec, s[40:41]
	s_cbranch_execz .LBB6_11867
; %bb.11854:                            ;   in Loop: Header=BB6_10813 Depth=3
	v_and_b32_e32 v52, 0x7fffffff, v1
	v_cmp_gt_u64_e32 vcc, s[78:79], v[52:53]
	v_and_b32_sdwa v3, v1, s82 dst_sel:DWORD dst_unused:UNUSED_PAD src0_sel:BYTE_3 src1_sel:DWORD
                                        ; implicit-def: $vgpr32
	s_and_saveexec_b64 s[40:41], vcc
	s_xor_b64 s[48:49], exec, s[40:41]
	s_cbranch_execz .LBB6_11864
; %bb.11855:                            ;   in Loop: Header=BB6_10813 Depth=3
	v_mov_b32_e32 v32, 0
	v_cmp_ne_u32_e32 vcc, 0, v1
	s_and_saveexec_b64 s[50:51], vcc
	s_cbranch_execz .LBB6_11863
; %bb.11856:                            ;   in Loop: Header=BB6_10813 Depth=3
	v_bfe_u32 v24, v1, 23, 8
	v_and_b32_e32 v0, 0x7fffff, v1
	v_cmp_gt_u32_e64 s[40:41], s85, v24
	v_sub_u32_e32 v1, 0x79, v24
	v_cmp_eq_u32_e32 vcc, 0, v24
	v_cndmask_b32_e64 v1, 0, v1, s[40:41]
	v_mov_b32_e32 v25, 0x78
	v_or_b32_e32 v2, 0x800000, v0
	v_cndmask_b32_e32 v25, v1, v25, vcc
	v_cndmask_b32_e32 v52, v2, v0, vcc
	v_add_u32_e32 v0, 20, v25
	v_lshlrev_b64 v[0:1], v0, -1
	v_add_u32_e32 v2, 19, v25
	v_lshlrev_b64 v[32:33], v2, 1
	v_bfi_b32 v1, v1, 0, 0
	v_bfi_b32 v0, v0, 0, v52
	v_cmp_eq_u64_e64 s[40:41], v[0:1], v[32:33]
	v_lshrrev_b64 v[0:1], v25, v[52:53]
	v_mov_b32_e32 v2, v1
	v_mov_b32_e32 v1, v0
	s_and_saveexec_b64 s[52:53], s[40:41]
; %bb.11857:                            ;   in Loop: Header=BB6_10813 Depth=3
	v_bfe_u32 v1, v0, 20, 1
	v_add_co_u32_e64 v1, s[40:41], v0, v1
	v_add_co_u32_e64 v1, s[40:41], -1, v1
; %bb.11858:                            ;   in Loop: Header=BB6_10813 Depth=3
	s_or_b64 exec, exec, s[52:53]
	v_add_u32_e32 v2, 0xffffff81, v24
	v_mov_b32_e32 v24, 0xffffff82
	v_cndmask_b32_e32 v2, v2, v24, vcc
	v_lshrrev_b32_e32 v24, 23, v0
	v_add3_u32 v25, v25, v2, v24
	v_add_u32_e32 v24, 6, v25
	v_and_b32_e32 v1, 0xfffff, v1
	v_add_u32_e32 v52, v1, v0
	v_cmp_ne_u32_e32 vcc, 0, v24
                                        ; implicit-def: $vgpr0_vgpr1
                                        ; implicit-def: $vgpr2
	s_and_saveexec_b64 s[40:41], vcc
	s_xor_b64 s[40:41], exec, s[40:41]
; %bb.11859:                            ;   in Loop: Header=BB6_10813 Depth=3
	v_cmp_lt_u64_e32 vcc, s[88:89], v[52:53]
	v_add_u32_e32 v0, 7, v25
	v_cndmask_b32_e32 v2, v24, v0, vcc
	v_cndmask_b32_e64 v0, 0, 1, vcc
	v_lshrrev_b64 v[0:1], v0, v[52:53]
; %bb.11860:                            ;   in Loop: Header=BB6_10813 Depth=3
	s_andn2_saveexec_b64 s[40:41], s[40:41]
; %bb.11861:                            ;   in Loop: Header=BB6_10813 Depth=3
	v_mov_b32_e32 v0, v52
	v_bfe_u32 v2, v52, 23, 1
	v_mov_b32_e32 v1, v53
; %bb.11862:                            ;   in Loop: Header=BB6_10813 Depth=3
	s_or_b64 exec, exec, s[40:41]
	v_lshrrev_b64 v[0:1], 20, v[0:1]
	v_cmp_gt_i32_e32 vcc, 16, v2
	v_cndmask_b32_e32 v1, 0, v1, vcc
	v_cndmask_b32_e32 v0, 7, v0, vcc
	v_cmp_eq_u64_e64 s[40:41], 0, v[0:1]
	v_min_i32_e32 v1, 15, v2
	v_lshlrev_b32_e32 v1, 3, v1
	v_cmp_eq_u32_e32 vcc, 0, v2
	v_and_b32_e32 v1, 0xf8, v1
	v_and_or_b32 v0, v0, 7, v1
	s_and_b64 s[40:41], vcc, s[40:41]
	v_cndmask_b32_e64 v0, v0, 0, s[40:41]
	v_or_b32_e32 v32, v0, v3
.LBB6_11863:                            ;   in Loop: Header=BB6_10813 Depth=3
	s_or_b64 exec, exec, s[50:51]
                                        ; implicit-def: $vgpr3
.LBB6_11864:                            ;   in Loop: Header=BB6_10813 Depth=3
	s_andn2_saveexec_b64 s[40:41], s[48:49]
; %bb.11865:                            ;   in Loop: Header=BB6_10813 Depth=3
	v_or_b32_e32 v32, 0x7e, v3
; %bb.11866:                            ;   in Loop: Header=BB6_10813 Depth=3
	s_or_b64 exec, exec, s[40:41]
                                        ; implicit-def: $vgpr1
.LBB6_11867:                            ;   in Loop: Header=BB6_10813 Depth=3
	s_andn2_saveexec_b64 s[40:41], s[38:39]
; %bb.11868:                            ;   in Loop: Header=BB6_10813 Depth=3
	v_or_b32_sdwa v32, v1, s83 dst_sel:DWORD dst_unused:UNUSED_PAD src0_sel:BYTE_3 src1_sel:DWORD
; %bb.11869:                            ;   in Loop: Header=BB6_10813 Depth=3
	s_or_b64 exec, exec, s[40:41]
	v_cmp_ne_u16_sdwa s[40:41], v34, v53 src0_sel:BYTE_0 src1_sel:DWORD
	s_and_b64 vcc, exec, s[28:29]
	s_mov_b64 s[38:39], -1
                                        ; implicit-def: $vgpr0
	s_cbranch_vccnz .LBB6_11883
; %bb.11870:                            ;   in Loop: Header=BB6_10813 Depth=3
	v_mov_b32_e32 v1, 0
	v_mov_b32_e32 v0, 0
	s_and_saveexec_b64 s[38:39], s[40:41]
	s_cbranch_execz .LBB6_11876
; %bb.11871:                            ;   in Loop: Header=BB6_10813 Depth=3
	v_cmp_ne_u16_sdwa vcc, v34, s82 src0_sel:BYTE_0 src1_sel:DWORD
	v_bfrev_b32_e32 v0, 1
	s_and_saveexec_b64 s[48:49], vcc
	s_cbranch_execz .LBB6_11875
; %bb.11872:                            ;   in Loop: Header=BB6_10813 Depth=3
	v_and_b32_e32 v2, 0x7f, v34
	v_cmp_ne_u32_e32 vcc, s83, v2
	v_mov_b32_e32 v0, 0x7f800001
	s_and_saveexec_b64 s[50:51], vcc
	s_cbranch_execz .LBB6_11874
; %bb.11873:                            ;   in Loop: Header=BB6_10813 Depth=3
	v_and_b32_e32 v0, 7, v34
	v_ffbh_u32_e32 v0, v0
	v_min_u32_e32 v0, 32, v0
	v_lshrrev_b32_e32 v3, 3, v2
	v_cmp_gt_u32_e32 vcc, 8, v2
	v_subrev_u32_e32 v2, 28, v0
	v_sub_u32_e32 v0, 29, v0
	v_cndmask_b32_e32 v2, 0, v2, vcc
	v_cndmask_b32_e32 v0, v3, v0, vcc
	v_lshlrev_b64 v[2:3], v2, v[34:35]
	v_lshlrev_b32_e32 v3, 24, v34
	v_lshlrev_b32_e32 v2, 20, v2
	v_bfrev_b32_e32 v24, 60
	v_and_b32_e32 v2, 0x700000, v2
	v_and_b32_e32 v3, 0x80000000, v3
	v_lshl_add_u32 v0, v0, 23, v24
	v_or3_b32 v0, v3, v0, v2
.LBB6_11874:                            ;   in Loop: Header=BB6_10813 Depth=3
	s_or_b64 exec, exec, s[50:51]
.LBB6_11875:                            ;   in Loop: Header=BB6_10813 Depth=3
	s_or_b64 exec, exec, s[48:49]
.LBB6_11876:                            ;   in Loop: Header=BB6_10813 Depth=3
	s_or_b64 exec, exec, s[38:39]
	v_cmp_ne_u16_sdwa vcc, v26, v53 src0_sel:BYTE_0 src1_sel:DWORD
	s_and_saveexec_b64 s[38:39], vcc
	s_cbranch_execz .LBB6_11882
; %bb.11877:                            ;   in Loop: Header=BB6_10813 Depth=3
	v_cmp_ne_u16_sdwa vcc, v26, s82 src0_sel:BYTE_0 src1_sel:DWORD
	v_bfrev_b32_e32 v1, 1
	s_and_saveexec_b64 s[48:49], vcc
	s_cbranch_execz .LBB6_11881
; %bb.11878:                            ;   in Loop: Header=BB6_10813 Depth=3
	v_and_b32_e32 v2, 0x7f, v26
	v_cmp_ne_u32_e32 vcc, s83, v2
	v_mov_b32_e32 v1, 0x7f800001
	s_and_saveexec_b64 s[50:51], vcc
	s_cbranch_execz .LBB6_11880
; %bb.11879:                            ;   in Loop: Header=BB6_10813 Depth=3
	v_and_b32_e32 v1, 7, v26
	v_ffbh_u32_e32 v1, v1
	v_min_u32_e32 v1, 32, v1
	v_lshrrev_b32_e32 v3, 3, v2
	v_cmp_gt_u32_e32 vcc, 8, v2
	v_subrev_u32_e32 v2, 28, v1
	v_sub_u32_e32 v1, 29, v1
	v_cndmask_b32_e32 v3, v3, v1, vcc
	v_cndmask_b32_e32 v1, 0, v2, vcc
	v_lshlrev_b64 v[1:2], v1, v[26:27]
	v_lshlrev_b32_e32 v2, 24, v26
	v_lshlrev_b32_e32 v1, 20, v1
	v_bfrev_b32_e32 v24, 60
	v_and_b32_e32 v1, 0x700000, v1
	v_and_b32_e32 v2, 0x80000000, v2
	v_lshl_add_u32 v3, v3, 23, v24
	v_or3_b32 v1, v2, v3, v1
.LBB6_11880:                            ;   in Loop: Header=BB6_10813 Depth=3
	s_or_b64 exec, exec, s[50:51]
.LBB6_11881:                            ;   in Loop: Header=BB6_10813 Depth=3
	s_or_b64 exec, exec, s[48:49]
.LBB6_11882:                            ;   in Loop: Header=BB6_10813 Depth=3
	s_or_b64 exec, exec, s[38:39]
	v_max_f32_e32 v1, v1, v1
	v_max_f32_e32 v0, v0, v0
	v_max_f32_e32 v0, v0, v1
	s_mov_b64 s[38:39], 0
.LBB6_11883:                            ;   in Loop: Header=BB6_10813 Depth=3
	s_and_b64 vcc, exec, s[38:39]
	s_cbranch_vccz .LBB6_11897
; %bb.11884:                            ;   in Loop: Header=BB6_10813 Depth=3
	v_mov_b32_e32 v1, 0
	v_mov_b32_e32 v0, 0
	s_and_saveexec_b64 s[38:39], s[40:41]
	s_cbranch_execz .LBB6_11890
; %bb.11885:                            ;   in Loop: Header=BB6_10813 Depth=3
	v_cmp_ne_u16_sdwa vcc, v34, s82 src0_sel:BYTE_0 src1_sel:DWORD
	v_bfrev_b32_e32 v0, 1
	s_and_saveexec_b64 s[40:41], vcc
	s_cbranch_execz .LBB6_11889
; %bb.11886:                            ;   in Loop: Header=BB6_10813 Depth=3
	v_and_b32_e32 v2, 0x7f, v34
	v_cmp_ne_u32_e32 vcc, s83, v2
	v_mov_b32_e32 v0, 0x7f800001
	s_and_saveexec_b64 s[48:49], vcc
	s_cbranch_execz .LBB6_11888
; %bb.11887:                            ;   in Loop: Header=BB6_10813 Depth=3
	v_and_b32_e32 v0, 7, v34
	v_ffbh_u32_e32 v0, v0
	v_min_u32_e32 v0, 32, v0
	v_lshrrev_b32_e32 v3, 3, v2
	v_cmp_gt_u32_e32 vcc, 8, v2
	v_subrev_u32_e32 v2, 28, v0
	v_sub_u32_e32 v0, 29, v0
	v_cndmask_b32_e32 v2, 0, v2, vcc
	v_cndmask_b32_e32 v0, v3, v0, vcc
	v_lshlrev_b64 v[2:3], v2, v[34:35]
	v_lshlrev_b32_e32 v3, 24, v34
	v_lshlrev_b32_e32 v2, 20, v2
	v_bfrev_b32_e32 v24, 60
	v_and_b32_e32 v2, 0x700000, v2
	v_and_b32_e32 v3, 0x80000000, v3
	v_lshl_add_u32 v0, v0, 23, v24
	v_or3_b32 v0, v3, v0, v2
.LBB6_11888:                            ;   in Loop: Header=BB6_10813 Depth=3
	s_or_b64 exec, exec, s[48:49]
.LBB6_11889:                            ;   in Loop: Header=BB6_10813 Depth=3
	s_or_b64 exec, exec, s[40:41]
.LBB6_11890:                            ;   in Loop: Header=BB6_10813 Depth=3
	s_or_b64 exec, exec, s[38:39]
	v_cmp_ne_u16_sdwa vcc, v26, v53 src0_sel:BYTE_0 src1_sel:DWORD
	s_and_saveexec_b64 s[40:41], vcc
	s_cbranch_execz .LBB6_11896
; %bb.11891:                            ;   in Loop: Header=BB6_10813 Depth=3
	v_cmp_ne_u16_sdwa vcc, v26, s82 src0_sel:BYTE_0 src1_sel:DWORD
	v_bfrev_b32_e32 v1, 1
	s_and_saveexec_b64 s[38:39], vcc
	s_cbranch_execz .LBB6_11895
; %bb.11892:                            ;   in Loop: Header=BB6_10813 Depth=3
	v_and_b32_e32 v2, 0x7f, v26
	v_cmp_ne_u32_e32 vcc, s83, v2
	v_mov_b32_e32 v1, 0x7f800001
	s_and_saveexec_b64 s[48:49], vcc
	s_cbranch_execz .LBB6_11894
; %bb.11893:                            ;   in Loop: Header=BB6_10813 Depth=3
	v_and_b32_e32 v1, 7, v26
	v_ffbh_u32_e32 v1, v1
	v_min_u32_e32 v1, 32, v1
	v_lshrrev_b32_e32 v3, 3, v2
	v_cmp_gt_u32_e32 vcc, 8, v2
	v_subrev_u32_e32 v2, 28, v1
	v_sub_u32_e32 v1, 29, v1
	v_cndmask_b32_e32 v3, v3, v1, vcc
	v_cndmask_b32_e32 v1, 0, v2, vcc
	v_lshlrev_b64 v[1:2], v1, v[26:27]
	v_lshlrev_b32_e32 v2, 24, v26
	v_lshlrev_b32_e32 v1, 20, v1
	v_bfrev_b32_e32 v24, 60
	v_and_b32_e32 v1, 0x700000, v1
	v_and_b32_e32 v2, 0x80000000, v2
	v_lshl_add_u32 v3, v3, 23, v24
	v_or3_b32 v1, v2, v3, v1
.LBB6_11894:                            ;   in Loop: Header=BB6_10813 Depth=3
	s_or_b64 exec, exec, s[48:49]
.LBB6_11895:                            ;   in Loop: Header=BB6_10813 Depth=3
	s_or_b64 exec, exec, s[38:39]
.LBB6_11896:                            ;   in Loop: Header=BB6_10813 Depth=3
	s_or_b64 exec, exec, s[40:41]
	v_max_f32_e32 v1, v1, v1
	v_max_f32_e32 v0, v0, v0
	v_min_f32_e32 v0, v0, v1
.LBB6_11897:                            ;   in Loop: Header=BB6_10813 Depth=3
	v_and_b32_e32 v52, 0x7f800000, v0
	v_cmp_ne_u64_e32 vcc, s[76:77], v[52:53]
                                        ; implicit-def: $vgpr33
	s_and_saveexec_b64 s[40:41], vcc
	s_xor_b64 s[38:39], exec, s[40:41]
	s_cbranch_execz .LBB6_11911
; %bb.11898:                            ;   in Loop: Header=BB6_10813 Depth=3
	v_and_b32_e32 v52, 0x7fffffff, v0
	v_cmp_gt_u64_e32 vcc, s[78:79], v[52:53]
	v_and_b32_sdwa v3, v0, s82 dst_sel:DWORD dst_unused:UNUSED_PAD src0_sel:BYTE_3 src1_sel:DWORD
                                        ; implicit-def: $vgpr33
	s_and_saveexec_b64 s[40:41], vcc
	s_xor_b64 s[48:49], exec, s[40:41]
	s_cbranch_execz .LBB6_11908
; %bb.11899:                            ;   in Loop: Header=BB6_10813 Depth=3
	v_mov_b32_e32 v33, 0
	v_cmp_ne_u32_e32 vcc, 0, v0
	s_and_saveexec_b64 s[50:51], vcc
	s_cbranch_execz .LBB6_11907
; %bb.11900:                            ;   in Loop: Header=BB6_10813 Depth=3
	v_bfe_u32 v24, v0, 23, 8
	v_and_b32_e32 v1, 0x7fffff, v0
	v_cmp_gt_u32_e64 s[40:41], s85, v24
	v_sub_u32_e32 v0, 0x79, v24
	v_cmp_eq_u32_e32 vcc, 0, v24
	v_cndmask_b32_e64 v0, 0, v0, s[40:41]
	v_mov_b32_e32 v25, 0x78
	v_cndmask_b32_e32 v25, v0, v25, vcc
	v_or_b32_e32 v2, 0x800000, v1
	v_add_u32_e32 v0, 20, v25
	v_cndmask_b32_e32 v52, v2, v1, vcc
	v_lshlrev_b64 v[0:1], v0, -1
	v_add_u32_e32 v2, 19, v25
	v_lshlrev_b64 v[36:37], v2, 1
	v_bfi_b32 v1, v1, 0, 0
	v_bfi_b32 v0, v0, 0, v52
	v_cmp_eq_u64_e64 s[40:41], v[0:1], v[36:37]
	v_lshrrev_b64 v[0:1], v25, v[52:53]
	v_mov_b32_e32 v2, v1
	v_mov_b32_e32 v1, v0
	s_and_saveexec_b64 s[52:53], s[40:41]
; %bb.11901:                            ;   in Loop: Header=BB6_10813 Depth=3
	v_bfe_u32 v1, v0, 20, 1
	v_add_co_u32_e64 v1, s[40:41], v0, v1
	v_add_co_u32_e64 v1, s[40:41], -1, v1
; %bb.11902:                            ;   in Loop: Header=BB6_10813 Depth=3
	s_or_b64 exec, exec, s[52:53]
	v_add_u32_e32 v2, 0xffffff81, v24
	v_mov_b32_e32 v24, 0xffffff82
	v_cndmask_b32_e32 v2, v2, v24, vcc
	v_lshrrev_b32_e32 v24, 23, v0
	v_add3_u32 v25, v25, v2, v24
	v_add_u32_e32 v24, 6, v25
	v_and_b32_e32 v1, 0xfffff, v1
	v_add_u32_e32 v52, v1, v0
	v_cmp_ne_u32_e32 vcc, 0, v24
                                        ; implicit-def: $vgpr0_vgpr1
                                        ; implicit-def: $vgpr2
	s_and_saveexec_b64 s[40:41], vcc
	s_xor_b64 s[40:41], exec, s[40:41]
; %bb.11903:                            ;   in Loop: Header=BB6_10813 Depth=3
	v_cmp_lt_u64_e32 vcc, s[88:89], v[52:53]
	v_add_u32_e32 v0, 7, v25
	v_cndmask_b32_e32 v2, v24, v0, vcc
	v_cndmask_b32_e64 v0, 0, 1, vcc
	v_lshrrev_b64 v[0:1], v0, v[52:53]
; %bb.11904:                            ;   in Loop: Header=BB6_10813 Depth=3
	s_andn2_saveexec_b64 s[40:41], s[40:41]
; %bb.11905:                            ;   in Loop: Header=BB6_10813 Depth=3
	v_mov_b32_e32 v0, v52
	v_bfe_u32 v2, v52, 23, 1
	v_mov_b32_e32 v1, v53
; %bb.11906:                            ;   in Loop: Header=BB6_10813 Depth=3
	s_or_b64 exec, exec, s[40:41]
	v_lshrrev_b64 v[0:1], 20, v[0:1]
	v_cmp_gt_i32_e32 vcc, 16, v2
	v_cndmask_b32_e32 v1, 0, v1, vcc
	v_cndmask_b32_e32 v0, 7, v0, vcc
	v_cmp_eq_u64_e64 s[40:41], 0, v[0:1]
	v_min_i32_e32 v1, 15, v2
	v_lshlrev_b32_e32 v1, 3, v1
	v_cmp_eq_u32_e32 vcc, 0, v2
	v_and_b32_e32 v1, 0xf8, v1
	v_and_or_b32 v0, v0, 7, v1
	s_and_b64 s[40:41], vcc, s[40:41]
	v_cndmask_b32_e64 v0, v0, 0, s[40:41]
	v_or_b32_e32 v33, v0, v3
.LBB6_11907:                            ;   in Loop: Header=BB6_10813 Depth=3
	s_or_b64 exec, exec, s[50:51]
                                        ; implicit-def: $vgpr3
.LBB6_11908:                            ;   in Loop: Header=BB6_10813 Depth=3
	s_andn2_saveexec_b64 s[40:41], s[48:49]
; %bb.11909:                            ;   in Loop: Header=BB6_10813 Depth=3
	v_or_b32_e32 v33, 0x7e, v3
; %bb.11910:                            ;   in Loop: Header=BB6_10813 Depth=3
	s_or_b64 exec, exec, s[40:41]
                                        ; implicit-def: $vgpr0
.LBB6_11911:                            ;   in Loop: Header=BB6_10813 Depth=3
	s_andn2_saveexec_b64 s[40:41], s[38:39]
; %bb.11912:                            ;   in Loop: Header=BB6_10813 Depth=3
	v_or_b32_sdwa v33, v0, s83 dst_sel:DWORD dst_unused:UNUSED_PAD src0_sel:BYTE_3 src1_sel:DWORD
; %bb.11913:                            ;   in Loop: Header=BB6_10813 Depth=3
	s_or_b64 exec, exec, s[40:41]
	v_lshrrev_b16_e32 v2, 8, v34
	v_lshrrev_b16_e32 v0, 8, v26
	v_cmp_ne_u16_e64 s[40:41], 0, v2
	s_and_b64 vcc, exec, s[28:29]
	s_mov_b64 s[38:39], -1
                                        ; implicit-def: $vgpr1
	s_cbranch_vccnz .LBB6_11927
; %bb.11914:                            ;   in Loop: Header=BB6_10813 Depth=3
	v_mov_b32_e32 v3, 0
	v_mov_b32_e32 v1, 0
	s_and_saveexec_b64 s[38:39], s[40:41]
	s_cbranch_execz .LBB6_11920
; %bb.11915:                            ;   in Loop: Header=BB6_10813 Depth=3
	v_cmp_ne_u16_e32 vcc, s82, v2
	v_bfrev_b32_e32 v1, 1
	s_and_saveexec_b64 s[48:49], vcc
	s_cbranch_execz .LBB6_11919
; %bb.11916:                            ;   in Loop: Header=BB6_10813 Depth=3
	v_and_b32_e32 v24, 0x7f, v2
	v_cmp_ne_u32_e32 vcc, s83, v24
	v_mov_b32_e32 v1, 0x7f800001
	s_and_saveexec_b64 s[50:51], vcc
	s_cbranch_execz .LBB6_11918
; %bb.11917:                            ;   in Loop: Header=BB6_10813 Depth=3
	v_and_b32_e32 v1, 7, v2
	v_lshrrev_b32_e32 v36, 3, v24
	v_cmp_gt_u32_e32 vcc, 8, v24
	v_ffbh_u32_e32 v24, v1
	v_min_u32_e32 v37, 32, v24
	v_subrev_u32_e32 v24, 28, v37
	v_lshlrev_b64 v[24:25], v24, v[2:3]
	v_sub_u32_e32 v25, 29, v37
	v_and_b32_e32 v24, 7, v24
	v_cndmask_b32_e32 v25, v36, v25, vcc
	v_cndmask_b32_e32 v1, v1, v24, vcc
	v_lshlrev_b32_e32 v24, 16, v34
	v_bfrev_b32_e32 v36, 60
	v_lshlrev_b32_e32 v1, 20, v1
	v_and_b32_e32 v24, 0x80000000, v24
	v_lshl_add_u32 v25, v25, 23, v36
	v_or3_b32 v1, v24, v25, v1
.LBB6_11918:                            ;   in Loop: Header=BB6_10813 Depth=3
	s_or_b64 exec, exec, s[50:51]
.LBB6_11919:                            ;   in Loop: Header=BB6_10813 Depth=3
	s_or_b64 exec, exec, s[48:49]
.LBB6_11920:                            ;   in Loop: Header=BB6_10813 Depth=3
	s_or_b64 exec, exec, s[38:39]
	v_cmp_ne_u16_e32 vcc, 0, v0
	s_and_saveexec_b64 s[38:39], vcc
	s_cbranch_execz .LBB6_11926
; %bb.11921:                            ;   in Loop: Header=BB6_10813 Depth=3
	v_cmp_ne_u16_e32 vcc, s82, v0
	v_bfrev_b32_e32 v3, 1
	s_and_saveexec_b64 s[48:49], vcc
	s_cbranch_execz .LBB6_11925
; %bb.11922:                            ;   in Loop: Header=BB6_10813 Depth=3
	v_and_b32_e32 v24, 0x7f, v0
	v_cmp_ne_u32_e32 vcc, s83, v24
	v_mov_b32_e32 v3, 0x7f800001
	s_and_saveexec_b64 s[50:51], vcc
	s_cbranch_execz .LBB6_11924
; %bb.11923:                            ;   in Loop: Header=BB6_10813 Depth=3
	v_and_b32_e32 v3, 7, v0
	v_lshrrev_b32_e32 v36, 3, v24
	v_cmp_gt_u32_e32 vcc, 8, v24
	v_ffbh_u32_e32 v24, v3
	v_min_u32_e32 v37, 32, v24
	v_subrev_u32_e32 v24, 28, v37
	v_lshlrev_b64 v[24:25], v24, v[0:1]
	v_sub_u32_e32 v25, 29, v37
	v_and_b32_e32 v24, 7, v24
	v_cndmask_b32_e32 v25, v36, v25, vcc
	v_cndmask_b32_e32 v3, v3, v24, vcc
	v_lshlrev_b32_e32 v24, 16, v26
	v_bfrev_b32_e32 v36, 60
	v_lshlrev_b32_e32 v3, 20, v3
	v_and_b32_e32 v24, 0x80000000, v24
	v_lshl_add_u32 v25, v25, 23, v36
	v_or3_b32 v3, v24, v25, v3
.LBB6_11924:                            ;   in Loop: Header=BB6_10813 Depth=3
	s_or_b64 exec, exec, s[50:51]
.LBB6_11925:                            ;   in Loop: Header=BB6_10813 Depth=3
	s_or_b64 exec, exec, s[48:49]
.LBB6_11926:                            ;   in Loop: Header=BB6_10813 Depth=3
	s_or_b64 exec, exec, s[38:39]
	v_max_f32_e32 v3, v3, v3
	v_max_f32_e32 v1, v1, v1
	;; [unrolled: 1-line block ×3, first 2 shown]
	s_mov_b64 s[38:39], 0
.LBB6_11927:                            ;   in Loop: Header=BB6_10813 Depth=3
	s_and_b64 vcc, exec, s[38:39]
	s_cbranch_vccz .LBB6_11941
; %bb.11928:                            ;   in Loop: Header=BB6_10813 Depth=3
	v_mov_b32_e32 v3, 0
	v_mov_b32_e32 v1, 0
	s_and_saveexec_b64 s[38:39], s[40:41]
	s_cbranch_execz .LBB6_11934
; %bb.11929:                            ;   in Loop: Header=BB6_10813 Depth=3
	v_cmp_ne_u16_e32 vcc, s82, v2
	v_bfrev_b32_e32 v1, 1
	s_and_saveexec_b64 s[40:41], vcc
	s_cbranch_execz .LBB6_11933
; %bb.11930:                            ;   in Loop: Header=BB6_10813 Depth=3
	v_and_b32_e32 v24, 0x7f, v2
	v_cmp_ne_u32_e32 vcc, s83, v24
	v_mov_b32_e32 v1, 0x7f800001
	s_and_saveexec_b64 s[48:49], vcc
	s_cbranch_execz .LBB6_11932
; %bb.11931:                            ;   in Loop: Header=BB6_10813 Depth=3
	v_and_b32_e32 v25, 7, v2
	v_ffbh_u32_e32 v1, v25
	v_lshrrev_b32_e32 v36, 3, v24
	v_cmp_gt_u32_e32 vcc, 8, v24
	v_min_u32_e32 v24, 32, v1
	v_subrev_u32_e32 v1, 28, v24
	v_lshlrev_b64 v[1:2], v1, v[2:3]
	v_sub_u32_e32 v2, 29, v24
	v_and_b32_e32 v1, 7, v1
	v_cndmask_b32_e32 v2, v36, v2, vcc
	v_cndmask_b32_e32 v1, v25, v1, vcc
	v_lshlrev_b32_e32 v24, 16, v34
	v_bfrev_b32_e32 v25, 60
	v_lshlrev_b32_e32 v1, 20, v1
	v_and_b32_e32 v24, 0x80000000, v24
	v_lshl_add_u32 v2, v2, 23, v25
	v_or3_b32 v1, v24, v2, v1
.LBB6_11932:                            ;   in Loop: Header=BB6_10813 Depth=3
	s_or_b64 exec, exec, s[48:49]
.LBB6_11933:                            ;   in Loop: Header=BB6_10813 Depth=3
	s_or_b64 exec, exec, s[40:41]
.LBB6_11934:                            ;   in Loop: Header=BB6_10813 Depth=3
	s_or_b64 exec, exec, s[38:39]
	v_cmp_ne_u16_e32 vcc, 0, v0
	s_and_saveexec_b64 s[40:41], vcc
	s_cbranch_execz .LBB6_11940
; %bb.11935:                            ;   in Loop: Header=BB6_10813 Depth=3
	v_cmp_ne_u16_e32 vcc, s82, v0
	v_bfrev_b32_e32 v3, 1
	s_and_saveexec_b64 s[38:39], vcc
	s_cbranch_execz .LBB6_11939
; %bb.11936:                            ;   in Loop: Header=BB6_10813 Depth=3
	v_and_b32_e32 v2, 0x7f, v0
	v_cmp_ne_u32_e32 vcc, s83, v2
	v_mov_b32_e32 v3, 0x7f800001
	s_and_saveexec_b64 s[48:49], vcc
	s_cbranch_execz .LBB6_11938
; %bb.11937:                            ;   in Loop: Header=BB6_10813 Depth=3
	v_and_b32_e32 v24, 7, v0
	v_lshrrev_b32_e32 v25, 3, v2
	v_cmp_gt_u32_e32 vcc, 8, v2
	v_ffbh_u32_e32 v2, v24
	v_min_u32_e32 v36, 32, v2
	v_subrev_u32_e32 v2, 28, v36
	v_lshlrev_b64 v[2:3], v2, v[0:1]
	v_sub_u32_e32 v0, 29, v36
	v_and_b32_e32 v2, 7, v2
	v_cndmask_b32_e32 v0, v25, v0, vcc
	v_cndmask_b32_e32 v2, v24, v2, vcc
	v_lshlrev_b32_e32 v3, 16, v26
	v_bfrev_b32_e32 v24, 60
	v_lshlrev_b32_e32 v2, 20, v2
	v_and_b32_e32 v3, 0x80000000, v3
	v_lshl_add_u32 v0, v0, 23, v24
	v_or3_b32 v3, v3, v0, v2
.LBB6_11938:                            ;   in Loop: Header=BB6_10813 Depth=3
	s_or_b64 exec, exec, s[48:49]
.LBB6_11939:                            ;   in Loop: Header=BB6_10813 Depth=3
	s_or_b64 exec, exec, s[38:39]
.LBB6_11940:                            ;   in Loop: Header=BB6_10813 Depth=3
	s_or_b64 exec, exec, s[40:41]
	v_max_f32_e32 v0, v3, v3
	v_max_f32_e32 v1, v1, v1
	v_min_f32_e32 v1, v1, v0
.LBB6_11941:                            ;   in Loop: Header=BB6_10813 Depth=3
	v_and_b32_e32 v52, 0x7f800000, v1
	v_cmp_ne_u64_e32 vcc, s[76:77], v[52:53]
                                        ; implicit-def: $vgpr48
	s_and_saveexec_b64 s[40:41], vcc
	s_xor_b64 s[38:39], exec, s[40:41]
	s_cbranch_execz .LBB6_11955
; %bb.11942:                            ;   in Loop: Header=BB6_10813 Depth=3
	v_and_b32_e32 v52, 0x7fffffff, v1
	v_cmp_gt_u64_e32 vcc, s[78:79], v[52:53]
	v_and_b32_sdwa v3, v1, s82 dst_sel:DWORD dst_unused:UNUSED_PAD src0_sel:BYTE_3 src1_sel:DWORD
                                        ; implicit-def: $vgpr48
	s_and_saveexec_b64 s[40:41], vcc
	s_xor_b64 s[48:49], exec, s[40:41]
	s_cbranch_execz .LBB6_11952
; %bb.11943:                            ;   in Loop: Header=BB6_10813 Depth=3
	v_mov_b32_e32 v48, 0
	v_cmp_ne_u32_e32 vcc, 0, v1
	s_and_saveexec_b64 s[50:51], vcc
	s_cbranch_execz .LBB6_11951
; %bb.11944:                            ;   in Loop: Header=BB6_10813 Depth=3
	v_bfe_u32 v24, v1, 23, 8
	v_and_b32_e32 v0, 0x7fffff, v1
	v_cmp_gt_u32_e64 s[40:41], s85, v24
	v_sub_u32_e32 v1, 0x79, v24
	v_cmp_eq_u32_e32 vcc, 0, v24
	v_cndmask_b32_e64 v1, 0, v1, s[40:41]
	v_mov_b32_e32 v25, 0x78
	v_or_b32_e32 v2, 0x800000, v0
	v_cndmask_b32_e32 v25, v1, v25, vcc
	v_cndmask_b32_e32 v52, v2, v0, vcc
	v_add_u32_e32 v0, 20, v25
	v_lshlrev_b64 v[0:1], v0, -1
	v_add_u32_e32 v2, 19, v25
	v_lshlrev_b64 v[36:37], v2, 1
	v_bfi_b32 v1, v1, 0, 0
	v_bfi_b32 v0, v0, 0, v52
	v_cmp_eq_u64_e64 s[40:41], v[0:1], v[36:37]
	v_lshrrev_b64 v[0:1], v25, v[52:53]
	v_mov_b32_e32 v2, v1
	v_mov_b32_e32 v1, v0
	s_and_saveexec_b64 s[52:53], s[40:41]
; %bb.11945:                            ;   in Loop: Header=BB6_10813 Depth=3
	v_bfe_u32 v1, v0, 20, 1
	v_add_co_u32_e64 v1, s[40:41], v0, v1
	v_add_co_u32_e64 v1, s[40:41], -1, v1
; %bb.11946:                            ;   in Loop: Header=BB6_10813 Depth=3
	s_or_b64 exec, exec, s[52:53]
	v_add_u32_e32 v2, 0xffffff81, v24
	v_mov_b32_e32 v24, 0xffffff82
	v_cndmask_b32_e32 v2, v2, v24, vcc
	v_lshrrev_b32_e32 v24, 23, v0
	v_add3_u32 v25, v25, v2, v24
	v_add_u32_e32 v24, 6, v25
	v_and_b32_e32 v1, 0xfffff, v1
	v_add_u32_e32 v52, v1, v0
	v_cmp_ne_u32_e32 vcc, 0, v24
                                        ; implicit-def: $vgpr0_vgpr1
                                        ; implicit-def: $vgpr2
	s_and_saveexec_b64 s[40:41], vcc
	s_xor_b64 s[40:41], exec, s[40:41]
; %bb.11947:                            ;   in Loop: Header=BB6_10813 Depth=3
	v_cmp_lt_u64_e32 vcc, s[88:89], v[52:53]
	v_add_u32_e32 v0, 7, v25
	v_cndmask_b32_e32 v2, v24, v0, vcc
	v_cndmask_b32_e64 v0, 0, 1, vcc
	v_lshrrev_b64 v[0:1], v0, v[52:53]
; %bb.11948:                            ;   in Loop: Header=BB6_10813 Depth=3
	s_andn2_saveexec_b64 s[40:41], s[40:41]
; %bb.11949:                            ;   in Loop: Header=BB6_10813 Depth=3
	v_mov_b32_e32 v0, v52
	v_bfe_u32 v2, v52, 23, 1
	v_mov_b32_e32 v1, v53
; %bb.11950:                            ;   in Loop: Header=BB6_10813 Depth=3
	s_or_b64 exec, exec, s[40:41]
	v_lshrrev_b64 v[0:1], 20, v[0:1]
	v_cmp_gt_i32_e32 vcc, 16, v2
	v_cndmask_b32_e32 v1, 0, v1, vcc
	v_cndmask_b32_e32 v0, 7, v0, vcc
	v_cmp_eq_u64_e64 s[40:41], 0, v[0:1]
	v_min_i32_e32 v1, 15, v2
	v_lshlrev_b32_e32 v1, 3, v1
	v_cmp_eq_u32_e32 vcc, 0, v2
	v_and_b32_e32 v1, 0xf8, v1
	v_and_or_b32 v0, v0, 7, v1
	s_and_b64 s[40:41], vcc, s[40:41]
	v_cndmask_b32_e64 v0, v0, 0, s[40:41]
	v_or_b32_e32 v48, v0, v3
.LBB6_11951:                            ;   in Loop: Header=BB6_10813 Depth=3
	s_or_b64 exec, exec, s[50:51]
                                        ; implicit-def: $vgpr3
.LBB6_11952:                            ;   in Loop: Header=BB6_10813 Depth=3
	s_andn2_saveexec_b64 s[40:41], s[48:49]
; %bb.11953:                            ;   in Loop: Header=BB6_10813 Depth=3
	v_or_b32_e32 v48, 0x7e, v3
; %bb.11954:                            ;   in Loop: Header=BB6_10813 Depth=3
	s_or_b64 exec, exec, s[40:41]
                                        ; implicit-def: $vgpr1
.LBB6_11955:                            ;   in Loop: Header=BB6_10813 Depth=3
	s_andn2_saveexec_b64 s[40:41], s[38:39]
; %bb.11956:                            ;   in Loop: Header=BB6_10813 Depth=3
	v_or_b32_sdwa v48, v1, s83 dst_sel:DWORD dst_unused:UNUSED_PAD src0_sel:BYTE_3 src1_sel:DWORD
; %bb.11957:                            ;   in Loop: Header=BB6_10813 Depth=3
	s_or_b64 exec, exec, s[40:41]
	v_lshrrev_b32_e32 v2, 16, v34
	v_lshrrev_b32_e32 v0, 16, v26
	v_cmp_ne_u16_sdwa s[40:41], v2, v53 src0_sel:BYTE_0 src1_sel:DWORD
	s_and_b64 vcc, exec, s[28:29]
	s_mov_b64 s[38:39], -1
                                        ; implicit-def: $vgpr1
	s_cbranch_vccnz .LBB6_11971
; %bb.11958:                            ;   in Loop: Header=BB6_10813 Depth=3
	v_mov_b32_e32 v3, 0
	v_mov_b32_e32 v1, 0
	s_and_saveexec_b64 s[38:39], s[40:41]
	s_cbranch_execz .LBB6_11964
; %bb.11959:                            ;   in Loop: Header=BB6_10813 Depth=3
	v_cmp_ne_u16_sdwa vcc, v2, s82 src0_sel:BYTE_0 src1_sel:DWORD
	v_bfrev_b32_e32 v1, 1
	s_and_saveexec_b64 s[48:49], vcc
	s_cbranch_execz .LBB6_11963
; %bb.11960:                            ;   in Loop: Header=BB6_10813 Depth=3
	v_bfe_u32 v24, v34, 16, 7
	v_cmp_ne_u32_e32 vcc, s83, v24
	v_mov_b32_e32 v1, 0x7f800001
	s_and_saveexec_b64 s[50:51], vcc
	s_cbranch_execz .LBB6_11962
; %bb.11961:                            ;   in Loop: Header=BB6_10813 Depth=3
	v_and_b32_e32 v1, 7, v2
	v_lshrrev_b32_e32 v36, 3, v24
	v_cmp_gt_u32_e32 vcc, 8, v24
	v_ffbh_u32_e32 v24, v1
	v_min_u32_e32 v37, 32, v24
	v_subrev_u32_e32 v24, 28, v37
	v_lshlrev_b64 v[24:25], v24, v[2:3]
	v_sub_u32_e32 v25, 29, v37
	v_and_b32_e32 v24, 7, v24
	v_cndmask_b32_e32 v25, v36, v25, vcc
	v_cndmask_b32_e32 v1, v1, v24, vcc
	v_lshlrev_b32_e32 v24, 24, v2
	v_bfrev_b32_e32 v36, 60
	v_lshlrev_b32_e32 v1, 20, v1
	v_and_b32_e32 v24, 0x80000000, v24
	v_lshl_add_u32 v25, v25, 23, v36
	v_or3_b32 v1, v24, v25, v1
.LBB6_11962:                            ;   in Loop: Header=BB6_10813 Depth=3
	s_or_b64 exec, exec, s[50:51]
.LBB6_11963:                            ;   in Loop: Header=BB6_10813 Depth=3
	s_or_b64 exec, exec, s[48:49]
.LBB6_11964:                            ;   in Loop: Header=BB6_10813 Depth=3
	s_or_b64 exec, exec, s[38:39]
	v_cmp_ne_u16_sdwa vcc, v0, v53 src0_sel:BYTE_0 src1_sel:DWORD
	s_and_saveexec_b64 s[38:39], vcc
	s_cbranch_execz .LBB6_11970
; %bb.11965:                            ;   in Loop: Header=BB6_10813 Depth=3
	v_cmp_ne_u16_sdwa vcc, v0, s82 src0_sel:BYTE_0 src1_sel:DWORD
	v_bfrev_b32_e32 v3, 1
	s_and_saveexec_b64 s[48:49], vcc
	s_cbranch_execz .LBB6_11969
; %bb.11966:                            ;   in Loop: Header=BB6_10813 Depth=3
	v_bfe_u32 v24, v26, 16, 7
	v_cmp_ne_u32_e32 vcc, s83, v24
	v_mov_b32_e32 v3, 0x7f800001
	s_and_saveexec_b64 s[50:51], vcc
	s_cbranch_execz .LBB6_11968
; %bb.11967:                            ;   in Loop: Header=BB6_10813 Depth=3
	v_and_b32_e32 v3, 7, v0
	v_lshrrev_b32_e32 v36, 3, v24
	v_cmp_gt_u32_e32 vcc, 8, v24
	v_ffbh_u32_e32 v24, v3
	v_min_u32_e32 v37, 32, v24
	v_subrev_u32_e32 v24, 28, v37
	v_lshlrev_b64 v[24:25], v24, v[0:1]
	v_sub_u32_e32 v25, 29, v37
	v_and_b32_e32 v24, 7, v24
	v_cndmask_b32_e32 v25, v36, v25, vcc
	v_cndmask_b32_e32 v3, v3, v24, vcc
	v_lshlrev_b32_e32 v24, 24, v0
	v_bfrev_b32_e32 v36, 60
	v_lshlrev_b32_e32 v3, 20, v3
	v_and_b32_e32 v24, 0x80000000, v24
	v_lshl_add_u32 v25, v25, 23, v36
	v_or3_b32 v3, v24, v25, v3
.LBB6_11968:                            ;   in Loop: Header=BB6_10813 Depth=3
	s_or_b64 exec, exec, s[50:51]
.LBB6_11969:                            ;   in Loop: Header=BB6_10813 Depth=3
	s_or_b64 exec, exec, s[48:49]
.LBB6_11970:                            ;   in Loop: Header=BB6_10813 Depth=3
	s_or_b64 exec, exec, s[38:39]
	v_max_f32_e32 v3, v3, v3
	v_max_f32_e32 v1, v1, v1
	;; [unrolled: 1-line block ×3, first 2 shown]
	s_mov_b64 s[38:39], 0
.LBB6_11971:                            ;   in Loop: Header=BB6_10813 Depth=3
	s_and_b64 vcc, exec, s[38:39]
	s_cbranch_vccz .LBB6_11985
; %bb.11972:                            ;   in Loop: Header=BB6_10813 Depth=3
	v_mov_b32_e32 v3, 0
	v_mov_b32_e32 v1, 0
	s_and_saveexec_b64 s[38:39], s[40:41]
	s_cbranch_execz .LBB6_11978
; %bb.11973:                            ;   in Loop: Header=BB6_10813 Depth=3
	v_cmp_ne_u16_sdwa vcc, v2, s82 src0_sel:BYTE_0 src1_sel:DWORD
	v_bfrev_b32_e32 v1, 1
	s_and_saveexec_b64 s[40:41], vcc
	s_cbranch_execz .LBB6_11977
; %bb.11974:                            ;   in Loop: Header=BB6_10813 Depth=3
	v_bfe_u32 v24, v34, 16, 7
	v_cmp_ne_u32_e32 vcc, s83, v24
	v_mov_b32_e32 v1, 0x7f800001
	s_and_saveexec_b64 s[48:49], vcc
	s_cbranch_execz .LBB6_11976
; %bb.11975:                            ;   in Loop: Header=BB6_10813 Depth=3
	v_and_b32_e32 v1, 7, v2
	v_lshrrev_b32_e32 v36, 3, v24
	v_cmp_gt_u32_e32 vcc, 8, v24
	v_ffbh_u32_e32 v24, v1
	v_min_u32_e32 v37, 32, v24
	v_subrev_u32_e32 v24, 28, v37
	v_lshlrev_b64 v[24:25], v24, v[2:3]
	v_sub_u32_e32 v25, 29, v37
	v_and_b32_e32 v24, 7, v24
	v_cndmask_b32_e32 v25, v36, v25, vcc
	v_cndmask_b32_e32 v1, v1, v24, vcc
	v_lshlrev_b32_e32 v2, 24, v2
	v_bfrev_b32_e32 v24, 60
	v_lshlrev_b32_e32 v1, 20, v1
	v_and_b32_e32 v2, 0x80000000, v2
	v_lshl_add_u32 v24, v25, 23, v24
	v_or3_b32 v1, v2, v24, v1
.LBB6_11976:                            ;   in Loop: Header=BB6_10813 Depth=3
	s_or_b64 exec, exec, s[48:49]
.LBB6_11977:                            ;   in Loop: Header=BB6_10813 Depth=3
	s_or_b64 exec, exec, s[40:41]
.LBB6_11978:                            ;   in Loop: Header=BB6_10813 Depth=3
	s_or_b64 exec, exec, s[38:39]
	v_cmp_ne_u16_sdwa vcc, v0, v53 src0_sel:BYTE_0 src1_sel:DWORD
	s_and_saveexec_b64 s[40:41], vcc
	s_cbranch_execz .LBB6_11984
; %bb.11979:                            ;   in Loop: Header=BB6_10813 Depth=3
	v_cmp_ne_u16_sdwa vcc, v0, s82 src0_sel:BYTE_0 src1_sel:DWORD
	v_bfrev_b32_e32 v3, 1
	s_and_saveexec_b64 s[38:39], vcc
	s_cbranch_execz .LBB6_11983
; %bb.11980:                            ;   in Loop: Header=BB6_10813 Depth=3
	v_bfe_u32 v2, v26, 16, 7
	v_cmp_ne_u32_e32 vcc, s83, v2
	v_mov_b32_e32 v3, 0x7f800001
	s_and_saveexec_b64 s[48:49], vcc
	s_cbranch_execz .LBB6_11982
; %bb.11981:                            ;   in Loop: Header=BB6_10813 Depth=3
	v_and_b32_e32 v24, 7, v0
	v_lshrrev_b32_e32 v25, 3, v2
	v_cmp_gt_u32_e32 vcc, 8, v2
	v_ffbh_u32_e32 v2, v24
	v_min_u32_e32 v36, 32, v2
	v_subrev_u32_e32 v2, 28, v36
	v_lshlrev_b64 v[2:3], v2, v[0:1]
	v_sub_u32_e32 v3, 29, v36
	v_and_b32_e32 v2, 7, v2
	v_cndmask_b32_e32 v3, v25, v3, vcc
	v_cndmask_b32_e32 v2, v24, v2, vcc
	v_lshlrev_b32_e32 v0, 24, v0
	v_bfrev_b32_e32 v24, 60
	v_lshlrev_b32_e32 v2, 20, v2
	v_and_b32_e32 v0, 0x80000000, v0
	v_lshl_add_u32 v3, v3, 23, v24
	v_or3_b32 v3, v0, v3, v2
.LBB6_11982:                            ;   in Loop: Header=BB6_10813 Depth=3
	s_or_b64 exec, exec, s[48:49]
.LBB6_11983:                            ;   in Loop: Header=BB6_10813 Depth=3
	s_or_b64 exec, exec, s[38:39]
.LBB6_11984:                            ;   in Loop: Header=BB6_10813 Depth=3
	s_or_b64 exec, exec, s[40:41]
	v_max_f32_e32 v0, v3, v3
	v_max_f32_e32 v1, v1, v1
	v_min_f32_e32 v1, v1, v0
.LBB6_11985:                            ;   in Loop: Header=BB6_10813 Depth=3
	v_and_b32_e32 v52, 0x7f800000, v1
	v_cmp_ne_u64_e32 vcc, s[76:77], v[52:53]
	buffer_store_dword v43, off, s[0:3], s33 offset:104 ; 4-byte Folded Spill
                                        ; implicit-def: $vgpr49
	s_and_saveexec_b64 s[40:41], vcc
	s_xor_b64 s[38:39], exec, s[40:41]
	s_cbranch_execz .LBB6_11999
; %bb.11986:                            ;   in Loop: Header=BB6_10813 Depth=3
	v_and_b32_e32 v52, 0x7fffffff, v1
	v_cmp_gt_u64_e32 vcc, s[78:79], v[52:53]
	v_and_b32_sdwa v3, v1, s82 dst_sel:DWORD dst_unused:UNUSED_PAD src0_sel:BYTE_3 src1_sel:DWORD
                                        ; implicit-def: $vgpr49
	s_and_saveexec_b64 s[40:41], vcc
	s_xor_b64 s[48:49], exec, s[40:41]
	s_cbranch_execz .LBB6_11996
; %bb.11987:                            ;   in Loop: Header=BB6_10813 Depth=3
	v_mov_b32_e32 v49, 0
	v_cmp_ne_u32_e32 vcc, 0, v1
	s_and_saveexec_b64 s[50:51], vcc
	s_cbranch_execz .LBB6_11995
; %bb.11988:                            ;   in Loop: Header=BB6_10813 Depth=3
	v_bfe_u32 v24, v1, 23, 8
	v_and_b32_e32 v0, 0x7fffff, v1
	v_cmp_gt_u32_e64 s[40:41], s85, v24
	v_sub_u32_e32 v1, 0x79, v24
	v_cmp_eq_u32_e32 vcc, 0, v24
	v_cndmask_b32_e64 v1, 0, v1, s[40:41]
	v_mov_b32_e32 v25, 0x78
	v_or_b32_e32 v2, 0x800000, v0
	v_cndmask_b32_e32 v25, v1, v25, vcc
	v_cndmask_b32_e32 v52, v2, v0, vcc
	v_add_u32_e32 v0, 20, v25
	v_lshlrev_b64 v[0:1], v0, -1
	v_add_u32_e32 v2, 19, v25
	v_lshlrev_b64 v[36:37], v2, 1
	v_bfi_b32 v1, v1, 0, 0
	v_bfi_b32 v0, v0, 0, v52
	v_cmp_eq_u64_e64 s[40:41], v[0:1], v[36:37]
	v_lshrrev_b64 v[0:1], v25, v[52:53]
	v_mov_b32_e32 v2, v1
	v_mov_b32_e32 v1, v0
	s_and_saveexec_b64 s[52:53], s[40:41]
; %bb.11989:                            ;   in Loop: Header=BB6_10813 Depth=3
	v_bfe_u32 v1, v0, 20, 1
	v_add_co_u32_e64 v1, s[40:41], v0, v1
	v_add_co_u32_e64 v1, s[40:41], -1, v1
; %bb.11990:                            ;   in Loop: Header=BB6_10813 Depth=3
	s_or_b64 exec, exec, s[52:53]
	v_add_u32_e32 v2, 0xffffff81, v24
	v_mov_b32_e32 v24, 0xffffff82
	v_cndmask_b32_e32 v2, v2, v24, vcc
	v_lshrrev_b32_e32 v24, 23, v0
	v_add3_u32 v25, v25, v2, v24
	v_add_u32_e32 v24, 6, v25
	v_and_b32_e32 v1, 0xfffff, v1
	v_add_u32_e32 v52, v1, v0
	v_cmp_ne_u32_e32 vcc, 0, v24
                                        ; implicit-def: $vgpr0_vgpr1
                                        ; implicit-def: $vgpr2
	s_and_saveexec_b64 s[40:41], vcc
	s_xor_b64 s[40:41], exec, s[40:41]
; %bb.11991:                            ;   in Loop: Header=BB6_10813 Depth=3
	v_cmp_lt_u64_e32 vcc, s[88:89], v[52:53]
	v_add_u32_e32 v0, 7, v25
	v_cndmask_b32_e32 v2, v24, v0, vcc
	v_cndmask_b32_e64 v0, 0, 1, vcc
	v_lshrrev_b64 v[0:1], v0, v[52:53]
; %bb.11992:                            ;   in Loop: Header=BB6_10813 Depth=3
	s_andn2_saveexec_b64 s[40:41], s[40:41]
; %bb.11993:                            ;   in Loop: Header=BB6_10813 Depth=3
	v_mov_b32_e32 v0, v52
	v_bfe_u32 v2, v52, 23, 1
	v_mov_b32_e32 v1, v53
; %bb.11994:                            ;   in Loop: Header=BB6_10813 Depth=3
	s_or_b64 exec, exec, s[40:41]
	v_lshrrev_b64 v[0:1], 20, v[0:1]
	v_cmp_gt_i32_e32 vcc, 16, v2
	v_cndmask_b32_e32 v1, 0, v1, vcc
	v_cndmask_b32_e32 v0, 7, v0, vcc
	v_cmp_eq_u64_e64 s[40:41], 0, v[0:1]
	v_min_i32_e32 v1, 15, v2
	v_lshlrev_b32_e32 v1, 3, v1
	v_cmp_eq_u32_e32 vcc, 0, v2
	v_and_b32_e32 v1, 0xf8, v1
	v_and_or_b32 v0, v0, 7, v1
	s_and_b64 s[40:41], vcc, s[40:41]
	v_cndmask_b32_e64 v0, v0, 0, s[40:41]
	v_or_b32_e32 v49, v0, v3
.LBB6_11995:                            ;   in Loop: Header=BB6_10813 Depth=3
	s_or_b64 exec, exec, s[50:51]
                                        ; implicit-def: $vgpr3
.LBB6_11996:                            ;   in Loop: Header=BB6_10813 Depth=3
	s_andn2_saveexec_b64 s[40:41], s[48:49]
; %bb.11997:                            ;   in Loop: Header=BB6_10813 Depth=3
	v_or_b32_e32 v49, 0x7e, v3
; %bb.11998:                            ;   in Loop: Header=BB6_10813 Depth=3
	s_or_b64 exec, exec, s[40:41]
                                        ; implicit-def: $vgpr1
.LBB6_11999:                            ;   in Loop: Header=BB6_10813 Depth=3
	s_andn2_saveexec_b64 s[40:41], s[38:39]
; %bb.12000:                            ;   in Loop: Header=BB6_10813 Depth=3
	v_or_b32_sdwa v49, v1, s83 dst_sel:DWORD dst_unused:UNUSED_PAD src0_sel:BYTE_3 src1_sel:DWORD
; %bb.12001:                            ;   in Loop: Header=BB6_10813 Depth=3
	s_or_b64 exec, exec, s[40:41]
	v_lshrrev_b32_e32 v2, 24, v34
	v_lshrrev_b32_e32 v0, 24, v26
	v_cmp_lt_u32_e64 s[40:41], s63, v34
	s_and_b64 vcc, exec, s[28:29]
	s_mov_b64 s[38:39], -1
                                        ; implicit-def: $vgpr1
	s_cbranch_vccnz .LBB6_12015
; %bb.12002:                            ;   in Loop: Header=BB6_10813 Depth=3
	v_mov_b32_e32 v3, 0
	v_mov_b32_e32 v1, 0
	s_and_saveexec_b64 s[38:39], s[40:41]
	s_cbranch_execz .LBB6_12008
; %bb.12003:                            ;   in Loop: Header=BB6_10813 Depth=3
	v_cmp_ne_u32_e32 vcc, s82, v2
	v_bfrev_b32_e32 v1, 1
	s_and_saveexec_b64 s[48:49], vcc
	s_cbranch_execz .LBB6_12007
; %bb.12004:                            ;   in Loop: Header=BB6_10813 Depth=3
	v_bfe_u32 v24, v34, 24, 7
	v_cmp_ne_u32_e32 vcc, s83, v24
	v_mov_b32_e32 v1, 0x7f800001
	s_and_saveexec_b64 s[50:51], vcc
	s_cbranch_execz .LBB6_12006
; %bb.12005:                            ;   in Loop: Header=BB6_10813 Depth=3
	v_and_b32_e32 v1, 7, v2
	v_lshrrev_b32_e32 v36, 3, v24
	v_cmp_gt_u32_e32 vcc, 8, v24
	v_ffbh_u32_e32 v24, v1
	v_min_u32_e32 v37, 32, v24
	v_subrev_u32_e32 v24, 28, v37
	v_lshlrev_b64 v[24:25], v24, v[2:3]
	v_sub_u32_e32 v25, 29, v37
	v_and_b32_e32 v24, 7, v24
	v_cndmask_b32_e32 v25, v36, v25, vcc
	v_cndmask_b32_e32 v1, v1, v24, vcc
	v_lshlrev_b32_e32 v24, 24, v2
	v_bfrev_b32_e32 v36, 60
	v_lshlrev_b32_e32 v1, 20, v1
	v_and_b32_e32 v24, 0x80000000, v24
	v_lshl_add_u32 v25, v25, 23, v36
	v_or3_b32 v1, v24, v25, v1
.LBB6_12006:                            ;   in Loop: Header=BB6_10813 Depth=3
	s_or_b64 exec, exec, s[50:51]
.LBB6_12007:                            ;   in Loop: Header=BB6_10813 Depth=3
	s_or_b64 exec, exec, s[48:49]
.LBB6_12008:                            ;   in Loop: Header=BB6_10813 Depth=3
	s_or_b64 exec, exec, s[38:39]
	v_cmp_lt_u32_e32 vcc, s63, v26
	s_and_saveexec_b64 s[38:39], vcc
	s_cbranch_execz .LBB6_12014
; %bb.12009:                            ;   in Loop: Header=BB6_10813 Depth=3
	v_cmp_ne_u32_e32 vcc, s82, v0
	v_bfrev_b32_e32 v3, 1
	s_and_saveexec_b64 s[48:49], vcc
	s_cbranch_execz .LBB6_12013
; %bb.12010:                            ;   in Loop: Header=BB6_10813 Depth=3
	v_bfe_u32 v24, v26, 24, 7
	v_cmp_ne_u32_e32 vcc, s83, v24
	v_mov_b32_e32 v3, 0x7f800001
	s_and_saveexec_b64 s[50:51], vcc
	s_cbranch_execz .LBB6_12012
; %bb.12011:                            ;   in Loop: Header=BB6_10813 Depth=3
	v_and_b32_e32 v3, 7, v0
	v_lshrrev_b32_e32 v36, 3, v24
	v_cmp_gt_u32_e32 vcc, 8, v24
	v_ffbh_u32_e32 v24, v3
	v_min_u32_e32 v37, 32, v24
	v_subrev_u32_e32 v24, 28, v37
	v_lshlrev_b64 v[24:25], v24, v[0:1]
	v_sub_u32_e32 v25, 29, v37
	v_and_b32_e32 v24, 7, v24
	v_cndmask_b32_e32 v25, v36, v25, vcc
	v_cndmask_b32_e32 v3, v3, v24, vcc
	v_lshlrev_b32_e32 v24, 24, v0
	v_bfrev_b32_e32 v36, 60
	v_lshlrev_b32_e32 v3, 20, v3
	v_and_b32_e32 v24, 0x80000000, v24
	v_lshl_add_u32 v25, v25, 23, v36
	v_or3_b32 v3, v24, v25, v3
.LBB6_12012:                            ;   in Loop: Header=BB6_10813 Depth=3
	s_or_b64 exec, exec, s[50:51]
.LBB6_12013:                            ;   in Loop: Header=BB6_10813 Depth=3
	s_or_b64 exec, exec, s[48:49]
.LBB6_12014:                            ;   in Loop: Header=BB6_10813 Depth=3
	s_or_b64 exec, exec, s[38:39]
	v_max_f32_e32 v3, v3, v3
	v_max_f32_e32 v1, v1, v1
	;; [unrolled: 1-line block ×3, first 2 shown]
	s_mov_b64 s[38:39], 0
.LBB6_12015:                            ;   in Loop: Header=BB6_10813 Depth=3
	s_and_b64 vcc, exec, s[38:39]
	s_cbranch_vccz .LBB6_12029
; %bb.12016:                            ;   in Loop: Header=BB6_10813 Depth=3
	v_mov_b32_e32 v3, 0
	v_mov_b32_e32 v1, 0
	s_and_saveexec_b64 s[38:39], s[40:41]
	s_cbranch_execz .LBB6_12022
; %bb.12017:                            ;   in Loop: Header=BB6_10813 Depth=3
	v_cmp_ne_u32_e32 vcc, s82, v2
	v_bfrev_b32_e32 v1, 1
	s_and_saveexec_b64 s[40:41], vcc
	s_cbranch_execz .LBB6_12021
; %bb.12018:                            ;   in Loop: Header=BB6_10813 Depth=3
	v_bfe_u32 v24, v34, 24, 7
	v_cmp_ne_u32_e32 vcc, s83, v24
	v_mov_b32_e32 v1, 0x7f800001
	s_and_saveexec_b64 s[48:49], vcc
	s_cbranch_execz .LBB6_12020
; %bb.12019:                            ;   in Loop: Header=BB6_10813 Depth=3
	v_and_b32_e32 v1, 7, v2
	v_lshrrev_b32_e32 v36, 3, v24
	v_cmp_gt_u32_e32 vcc, 8, v24
	v_ffbh_u32_e32 v24, v1
	v_min_u32_e32 v37, 32, v24
	v_subrev_u32_e32 v24, 28, v37
	v_lshlrev_b64 v[24:25], v24, v[2:3]
	v_sub_u32_e32 v25, 29, v37
	v_and_b32_e32 v24, 7, v24
	v_cndmask_b32_e32 v25, v36, v25, vcc
	v_cndmask_b32_e32 v1, v1, v24, vcc
	v_lshlrev_b32_e32 v2, 24, v2
	v_bfrev_b32_e32 v24, 60
	v_lshlrev_b32_e32 v1, 20, v1
	v_and_b32_e32 v2, 0x80000000, v2
	v_lshl_add_u32 v24, v25, 23, v24
	v_or3_b32 v1, v2, v24, v1
.LBB6_12020:                            ;   in Loop: Header=BB6_10813 Depth=3
	s_or_b64 exec, exec, s[48:49]
.LBB6_12021:                            ;   in Loop: Header=BB6_10813 Depth=3
	s_or_b64 exec, exec, s[40:41]
.LBB6_12022:                            ;   in Loop: Header=BB6_10813 Depth=3
	s_or_b64 exec, exec, s[38:39]
	v_cmp_lt_u32_e32 vcc, s63, v26
	s_and_saveexec_b64 s[40:41], vcc
	s_cbranch_execz .LBB6_12028
; %bb.12023:                            ;   in Loop: Header=BB6_10813 Depth=3
	v_cmp_ne_u32_e32 vcc, s82, v0
	v_bfrev_b32_e32 v3, 1
	s_and_saveexec_b64 s[38:39], vcc
	s_cbranch_execz .LBB6_12027
; %bb.12024:                            ;   in Loop: Header=BB6_10813 Depth=3
	v_bfe_u32 v2, v26, 24, 7
	v_cmp_ne_u32_e32 vcc, s83, v2
	v_mov_b32_e32 v3, 0x7f800001
	s_and_saveexec_b64 s[48:49], vcc
	s_cbranch_execz .LBB6_12026
; %bb.12025:                            ;   in Loop: Header=BB6_10813 Depth=3
	v_and_b32_e32 v24, 7, v0
	v_lshrrev_b32_e32 v25, 3, v2
	v_cmp_gt_u32_e32 vcc, 8, v2
	v_ffbh_u32_e32 v2, v24
	v_min_u32_e32 v36, 32, v2
	v_subrev_u32_e32 v2, 28, v36
	v_lshlrev_b64 v[2:3], v2, v[0:1]
	v_sub_u32_e32 v3, 29, v36
	v_and_b32_e32 v2, 7, v2
	v_cndmask_b32_e32 v3, v25, v3, vcc
	v_cndmask_b32_e32 v2, v24, v2, vcc
	v_lshlrev_b32_e32 v0, 24, v0
	v_bfrev_b32_e32 v24, 60
	v_lshlrev_b32_e32 v2, 20, v2
	v_and_b32_e32 v0, 0x80000000, v0
	v_lshl_add_u32 v3, v3, 23, v24
	v_or3_b32 v3, v0, v3, v2
.LBB6_12026:                            ;   in Loop: Header=BB6_10813 Depth=3
	s_or_b64 exec, exec, s[48:49]
.LBB6_12027:                            ;   in Loop: Header=BB6_10813 Depth=3
	s_or_b64 exec, exec, s[38:39]
.LBB6_12028:                            ;   in Loop: Header=BB6_10813 Depth=3
	s_or_b64 exec, exec, s[40:41]
	v_max_f32_e32 v0, v3, v3
	v_max_f32_e32 v1, v1, v1
	v_min_f32_e32 v1, v1, v0
.LBB6_12029:                            ;   in Loop: Header=BB6_10813 Depth=3
	v_and_b32_e32 v52, 0x7f800000, v1
	v_cmp_ne_u64_e32 vcc, s[76:77], v[52:53]
                                        ; implicit-def: $vgpr55
	s_and_saveexec_b64 s[40:41], vcc
	s_xor_b64 s[38:39], exec, s[40:41]
	s_cbranch_execz .LBB6_12043
; %bb.12030:                            ;   in Loop: Header=BB6_10813 Depth=3
	v_and_b32_e32 v52, 0x7fffffff, v1
	v_cmp_gt_u64_e32 vcc, s[78:79], v[52:53]
	v_and_b32_sdwa v3, v1, s82 dst_sel:DWORD dst_unused:UNUSED_PAD src0_sel:BYTE_3 src1_sel:DWORD
                                        ; implicit-def: $vgpr55
	s_and_saveexec_b64 s[40:41], vcc
	s_xor_b64 s[48:49], exec, s[40:41]
	s_cbranch_execz .LBB6_12040
; %bb.12031:                            ;   in Loop: Header=BB6_10813 Depth=3
	v_mov_b32_e32 v55, 0
	v_cmp_ne_u32_e32 vcc, 0, v1
	s_and_saveexec_b64 s[50:51], vcc
	s_cbranch_execz .LBB6_12039
; %bb.12032:                            ;   in Loop: Header=BB6_10813 Depth=3
	v_bfe_u32 v24, v1, 23, 8
	v_and_b32_e32 v0, 0x7fffff, v1
	v_cmp_gt_u32_e64 s[40:41], s85, v24
	v_sub_u32_e32 v1, 0x79, v24
	v_cmp_eq_u32_e32 vcc, 0, v24
	v_cndmask_b32_e64 v1, 0, v1, s[40:41]
	v_mov_b32_e32 v25, 0x78
	v_or_b32_e32 v2, 0x800000, v0
	v_cndmask_b32_e32 v25, v1, v25, vcc
	v_cndmask_b32_e32 v52, v2, v0, vcc
	v_add_u32_e32 v0, 20, v25
	v_lshlrev_b64 v[0:1], v0, -1
	v_add_u32_e32 v2, 19, v25
	v_lshlrev_b64 v[36:37], v2, 1
	v_bfi_b32 v1, v1, 0, 0
	v_bfi_b32 v0, v0, 0, v52
	v_cmp_eq_u64_e64 s[40:41], v[0:1], v[36:37]
	v_lshrrev_b64 v[0:1], v25, v[52:53]
	v_mov_b32_e32 v2, v1
	v_mov_b32_e32 v1, v0
	s_and_saveexec_b64 s[52:53], s[40:41]
; %bb.12033:                            ;   in Loop: Header=BB6_10813 Depth=3
	v_bfe_u32 v1, v0, 20, 1
	v_add_co_u32_e64 v1, s[40:41], v0, v1
	v_add_co_u32_e64 v1, s[40:41], -1, v1
; %bb.12034:                            ;   in Loop: Header=BB6_10813 Depth=3
	s_or_b64 exec, exec, s[52:53]
	v_add_u32_e32 v2, 0xffffff81, v24
	v_mov_b32_e32 v24, 0xffffff82
	v_cndmask_b32_e32 v2, v2, v24, vcc
	v_lshrrev_b32_e32 v24, 23, v0
	v_add3_u32 v25, v25, v2, v24
	v_add_u32_e32 v24, 6, v25
	v_and_b32_e32 v1, 0xfffff, v1
	v_add_u32_e32 v52, v1, v0
	v_cmp_ne_u32_e32 vcc, 0, v24
                                        ; implicit-def: $vgpr0_vgpr1
                                        ; implicit-def: $vgpr2
	s_and_saveexec_b64 s[40:41], vcc
	s_xor_b64 s[40:41], exec, s[40:41]
; %bb.12035:                            ;   in Loop: Header=BB6_10813 Depth=3
	v_cmp_lt_u64_e32 vcc, s[88:89], v[52:53]
	v_add_u32_e32 v0, 7, v25
	v_cndmask_b32_e32 v2, v24, v0, vcc
	v_cndmask_b32_e64 v0, 0, 1, vcc
	v_lshrrev_b64 v[0:1], v0, v[52:53]
; %bb.12036:                            ;   in Loop: Header=BB6_10813 Depth=3
	s_andn2_saveexec_b64 s[40:41], s[40:41]
; %bb.12037:                            ;   in Loop: Header=BB6_10813 Depth=3
	v_mov_b32_e32 v0, v52
	v_bfe_u32 v2, v52, 23, 1
	v_mov_b32_e32 v1, v53
; %bb.12038:                            ;   in Loop: Header=BB6_10813 Depth=3
	s_or_b64 exec, exec, s[40:41]
	v_lshrrev_b64 v[0:1], 20, v[0:1]
	v_cmp_gt_i32_e32 vcc, 16, v2
	v_cndmask_b32_e32 v1, 0, v1, vcc
	v_cndmask_b32_e32 v0, 7, v0, vcc
	v_cmp_eq_u64_e64 s[40:41], 0, v[0:1]
	v_min_i32_e32 v1, 15, v2
	v_lshlrev_b32_e32 v1, 3, v1
	v_cmp_eq_u32_e32 vcc, 0, v2
	v_and_b32_e32 v1, 0xf8, v1
	v_and_or_b32 v0, v0, 7, v1
	s_and_b64 s[40:41], vcc, s[40:41]
	v_cndmask_b32_e64 v0, v0, 0, s[40:41]
	v_or_b32_e32 v55, v0, v3
.LBB6_12039:                            ;   in Loop: Header=BB6_10813 Depth=3
	s_or_b64 exec, exec, s[50:51]
                                        ; implicit-def: $vgpr3
.LBB6_12040:                            ;   in Loop: Header=BB6_10813 Depth=3
	s_andn2_saveexec_b64 s[40:41], s[48:49]
; %bb.12041:                            ;   in Loop: Header=BB6_10813 Depth=3
	v_or_b32_e32 v55, 0x7e, v3
; %bb.12042:                            ;   in Loop: Header=BB6_10813 Depth=3
	s_or_b64 exec, exec, s[40:41]
                                        ; implicit-def: $vgpr1
.LBB6_12043:                            ;   in Loop: Header=BB6_10813 Depth=3
	s_andn2_saveexec_b64 s[40:41], s[38:39]
; %bb.12044:                            ;   in Loop: Header=BB6_10813 Depth=3
	v_or_b32_sdwa v55, v1, s83 dst_sel:DWORD dst_unused:UNUSED_PAD src0_sel:BYTE_3 src1_sel:DWORD
; %bb.12045:                            ;   in Loop: Header=BB6_10813 Depth=3
	s_or_b64 exec, exec, s[40:41]
	v_mov_b32_e32 v52, v35
	v_mov_b32_e32 v2, v27
	;; [unrolled: 1-line block ×3, first 2 shown]
	v_cmp_ne_u16_sdwa s[40:41], v35, v53 src0_sel:BYTE_0 src1_sel:DWORD
	s_and_b64 vcc, exec, s[28:29]
	s_mov_b64 s[38:39], -1
                                        ; implicit-def: $vgpr0
	s_cbranch_vccnz .LBB6_12059
; %bb.12046:                            ;   in Loop: Header=BB6_10813 Depth=3
	v_mov_b32_e32 v1, 0
	v_mov_b32_e32 v0, 0
	s_and_saveexec_b64 s[38:39], s[40:41]
	s_cbranch_execz .LBB6_12052
; %bb.12047:                            ;   in Loop: Header=BB6_10813 Depth=3
	v_cmp_ne_u16_sdwa vcc, v35, s82 src0_sel:BYTE_0 src1_sel:DWORD
	v_bfrev_b32_e32 v0, 1
	s_and_saveexec_b64 s[48:49], vcc
	s_cbranch_execz .LBB6_12051
; %bb.12048:                            ;   in Loop: Header=BB6_10813 Depth=3
	v_and_b32_e32 v24, 0x7f, v35
	v_cmp_ne_u32_e32 vcc, s83, v24
	v_mov_b32_e32 v0, 0x7f800001
	s_and_saveexec_b64 s[50:51], vcc
	s_cbranch_execz .LBB6_12050
; %bb.12049:                            ;   in Loop: Header=BB6_10813 Depth=3
	v_and_b32_e32 v0, 7, v35
	v_ffbh_u32_e32 v0, v0
	v_min_u32_e32 v0, 32, v0
	v_lshrrev_b32_e32 v25, 3, v24
	v_cmp_gt_u32_e32 vcc, 8, v24
	v_subrev_u32_e32 v24, 28, v0
	v_sub_u32_e32 v0, 29, v0
	v_cndmask_b32_e32 v24, 0, v24, vcc
	v_cndmask_b32_e32 v0, v25, v0, vcc
	v_lshlrev_b64 v[24:25], v24, v[52:53]
	v_lshlrev_b32_e32 v25, 24, v52
	v_lshlrev_b32_e32 v24, 20, v24
	v_bfrev_b32_e32 v36, 60
	v_and_b32_e32 v24, 0x700000, v24
	v_and_b32_e32 v25, 0x80000000, v25
	v_lshl_add_u32 v0, v0, 23, v36
	v_or3_b32 v0, v25, v0, v24
.LBB6_12050:                            ;   in Loop: Header=BB6_10813 Depth=3
	s_or_b64 exec, exec, s[50:51]
.LBB6_12051:                            ;   in Loop: Header=BB6_10813 Depth=3
	s_or_b64 exec, exec, s[48:49]
.LBB6_12052:                            ;   in Loop: Header=BB6_10813 Depth=3
	s_or_b64 exec, exec, s[38:39]
	v_cmp_ne_u16_sdwa vcc, v27, v53 src0_sel:BYTE_0 src1_sel:DWORD
	s_and_saveexec_b64 s[38:39], vcc
	s_cbranch_execz .LBB6_12058
; %bb.12053:                            ;   in Loop: Header=BB6_10813 Depth=3
	v_cmp_ne_u16_sdwa vcc, v27, s82 src0_sel:BYTE_0 src1_sel:DWORD
	v_bfrev_b32_e32 v1, 1
	s_and_saveexec_b64 s[48:49], vcc
	s_cbranch_execz .LBB6_12057
; %bb.12054:                            ;   in Loop: Header=BB6_10813 Depth=3
	v_and_b32_e32 v24, 0x7f, v27
	v_cmp_ne_u32_e32 vcc, s83, v24
	v_mov_b32_e32 v1, 0x7f800001
	s_and_saveexec_b64 s[50:51], vcc
	s_cbranch_execz .LBB6_12056
; %bb.12055:                            ;   in Loop: Header=BB6_10813 Depth=3
	v_and_b32_e32 v1, 7, v27
	v_ffbh_u32_e32 v1, v1
	v_min_u32_e32 v1, 32, v1
	v_lshrrev_b32_e32 v25, 3, v24
	v_cmp_gt_u32_e32 vcc, 8, v24
	v_subrev_u32_e32 v24, 28, v1
	v_sub_u32_e32 v1, 29, v1
	v_cndmask_b32_e32 v24, 0, v24, vcc
	v_cndmask_b32_e32 v1, v25, v1, vcc
	v_lshlrev_b64 v[24:25], v24, v[2:3]
	v_lshlrev_b32_e32 v25, 24, v2
	v_lshlrev_b32_e32 v24, 20, v24
	v_bfrev_b32_e32 v36, 60
	v_and_b32_e32 v24, 0x700000, v24
	v_and_b32_e32 v25, 0x80000000, v25
	v_lshl_add_u32 v1, v1, 23, v36
	v_or3_b32 v1, v25, v1, v24
.LBB6_12056:                            ;   in Loop: Header=BB6_10813 Depth=3
	s_or_b64 exec, exec, s[50:51]
.LBB6_12057:                            ;   in Loop: Header=BB6_10813 Depth=3
	s_or_b64 exec, exec, s[48:49]
.LBB6_12058:                            ;   in Loop: Header=BB6_10813 Depth=3
	s_or_b64 exec, exec, s[38:39]
	v_max_f32_e32 v1, v1, v1
	v_max_f32_e32 v0, v0, v0
	;; [unrolled: 1-line block ×3, first 2 shown]
	s_mov_b64 s[38:39], 0
.LBB6_12059:                            ;   in Loop: Header=BB6_10813 Depth=3
	s_and_b64 vcc, exec, s[38:39]
	s_cbranch_vccz .LBB6_12073
; %bb.12060:                            ;   in Loop: Header=BB6_10813 Depth=3
	v_mov_b32_e32 v1, 0
	v_mov_b32_e32 v0, 0
	s_and_saveexec_b64 s[38:39], s[40:41]
	s_cbranch_execz .LBB6_12066
; %bb.12061:                            ;   in Loop: Header=BB6_10813 Depth=3
	v_cmp_ne_u16_sdwa vcc, v35, s82 src0_sel:BYTE_0 src1_sel:DWORD
	v_bfrev_b32_e32 v0, 1
	s_and_saveexec_b64 s[40:41], vcc
	s_cbranch_execz .LBB6_12065
; %bb.12062:                            ;   in Loop: Header=BB6_10813 Depth=3
	v_and_b32_e32 v24, 0x7f, v35
	v_cmp_ne_u32_e32 vcc, s83, v24
	v_mov_b32_e32 v0, 0x7f800001
	s_and_saveexec_b64 s[48:49], vcc
	s_cbranch_execz .LBB6_12064
; %bb.12063:                            ;   in Loop: Header=BB6_10813 Depth=3
	v_and_b32_e32 v0, 7, v35
	v_ffbh_u32_e32 v0, v0
	v_min_u32_e32 v0, 32, v0
	v_lshrrev_b32_e32 v25, 3, v24
	v_cmp_gt_u32_e32 vcc, 8, v24
	v_subrev_u32_e32 v24, 28, v0
	v_sub_u32_e32 v0, 29, v0
	v_cndmask_b32_e32 v24, 0, v24, vcc
	v_cndmask_b32_e32 v0, v25, v0, vcc
	v_lshlrev_b64 v[24:25], v24, v[52:53]
	v_lshlrev_b32_e32 v25, 24, v52
	v_lshlrev_b32_e32 v24, 20, v24
	v_bfrev_b32_e32 v36, 60
	v_and_b32_e32 v24, 0x700000, v24
	v_and_b32_e32 v25, 0x80000000, v25
	v_lshl_add_u32 v0, v0, 23, v36
	v_or3_b32 v0, v25, v0, v24
.LBB6_12064:                            ;   in Loop: Header=BB6_10813 Depth=3
	s_or_b64 exec, exec, s[48:49]
.LBB6_12065:                            ;   in Loop: Header=BB6_10813 Depth=3
	s_or_b64 exec, exec, s[40:41]
.LBB6_12066:                            ;   in Loop: Header=BB6_10813 Depth=3
	s_or_b64 exec, exec, s[38:39]
	v_cmp_ne_u16_sdwa vcc, v27, v53 src0_sel:BYTE_0 src1_sel:DWORD
	s_and_saveexec_b64 s[40:41], vcc
	s_cbranch_execz .LBB6_12072
; %bb.12067:                            ;   in Loop: Header=BB6_10813 Depth=3
	v_cmp_ne_u16_sdwa vcc, v27, s82 src0_sel:BYTE_0 src1_sel:DWORD
	v_bfrev_b32_e32 v1, 1
	s_and_saveexec_b64 s[38:39], vcc
	s_cbranch_execz .LBB6_12071
; %bb.12068:                            ;   in Loop: Header=BB6_10813 Depth=3
	v_and_b32_e32 v24, 0x7f, v27
	v_cmp_ne_u32_e32 vcc, s83, v24
	v_mov_b32_e32 v1, 0x7f800001
	s_and_saveexec_b64 s[48:49], vcc
	s_cbranch_execz .LBB6_12070
; %bb.12069:                            ;   in Loop: Header=BB6_10813 Depth=3
	v_and_b32_e32 v1, 7, v27
	v_ffbh_u32_e32 v1, v1
	v_min_u32_e32 v1, 32, v1
	v_lshrrev_b32_e32 v25, 3, v24
	v_cmp_gt_u32_e32 vcc, 8, v24
	v_subrev_u32_e32 v24, 28, v1
	v_sub_u32_e32 v1, 29, v1
	v_cndmask_b32_e32 v24, 0, v24, vcc
	v_cndmask_b32_e32 v1, v25, v1, vcc
	v_lshlrev_b64 v[24:25], v24, v[2:3]
	v_bfrev_b32_e32 v25, 60
	v_lshlrev_b32_e32 v3, 20, v24
	v_lshlrev_b32_e32 v24, 24, v2
	v_and_b32_e32 v3, 0x700000, v3
	v_and_b32_e32 v24, 0x80000000, v24
	v_lshl_add_u32 v1, v1, 23, v25
	v_or3_b32 v1, v24, v1, v3
.LBB6_12070:                            ;   in Loop: Header=BB6_10813 Depth=3
	s_or_b64 exec, exec, s[48:49]
.LBB6_12071:                            ;   in Loop: Header=BB6_10813 Depth=3
	s_or_b64 exec, exec, s[38:39]
.LBB6_12072:                            ;   in Loop: Header=BB6_10813 Depth=3
	s_or_b64 exec, exec, s[40:41]
	v_max_f32_e32 v1, v1, v1
	v_max_f32_e32 v0, v0, v0
	v_min_f32_e32 v0, v0, v1
.LBB6_12073:                            ;   in Loop: Header=BB6_10813 Depth=3
	v_and_b32_e32 v24, 0x7f800000, v0
	v_mov_b32_e32 v25, v53
	v_cmp_ne_u64_e32 vcc, s[76:77], v[24:25]
                                        ; implicit-def: $vgpr43
	s_and_saveexec_b64 s[40:41], vcc
	s_xor_b64 s[38:39], exec, s[40:41]
	s_cbranch_execz .LBB6_12087
; %bb.12074:                            ;   in Loop: Header=BB6_10813 Depth=3
	v_and_b32_e32 v24, 0x7fffffff, v0
	v_mov_b32_e32 v25, v53
	v_cmp_gt_u64_e32 vcc, s[78:79], v[24:25]
	v_and_b32_sdwa v3, v0, s82 dst_sel:DWORD dst_unused:UNUSED_PAD src0_sel:BYTE_3 src1_sel:DWORD
                                        ; implicit-def: $vgpr43
	s_and_saveexec_b64 s[40:41], vcc
	s_xor_b64 s[48:49], exec, s[40:41]
	s_cbranch_execz .LBB6_12084
; %bb.12075:                            ;   in Loop: Header=BB6_10813 Depth=3
	v_mov_b32_e32 v43, 0
	v_cmp_ne_u32_e32 vcc, 0, v0
	s_and_saveexec_b64 s[50:51], vcc
	s_cbranch_execz .LBB6_12083
; %bb.12076:                            ;   in Loop: Header=BB6_10813 Depth=3
	v_bfe_u32 v38, v0, 23, 8
	v_and_b32_e32 v1, 0x7fffff, v0
	v_cmp_gt_u32_e64 s[40:41], s85, v38
	v_sub_u32_e32 v0, 0x79, v38
	v_cmp_eq_u32_e32 vcc, 0, v38
	v_cndmask_b32_e64 v0, 0, v0, s[40:41]
	v_mov_b32_e32 v25, 0x78
	v_or_b32_e32 v24, 0x800000, v1
	v_cndmask_b32_e32 v39, v0, v25, vcc
	v_cndmask_b32_e32 v0, v24, v1, vcc
	v_add_u32_e32 v24, 20, v39
	v_lshlrev_b64 v[24:25], v24, -1
	v_mov_b32_e32 v1, v53
	v_add_u32_e32 v36, 19, v39
	v_bfi_b32 v24, v24, 0, v0
	v_lshlrev_b64 v[36:37], v36, 1
	v_lshrrev_b64 v[0:1], v39, v[0:1]
	v_bfi_b32 v25, v25, 0, 0
	v_cmp_eq_u64_e64 s[40:41], v[24:25], v[36:37]
	v_mov_b32_e32 v25, v1
	v_mov_b32_e32 v24, v0
	s_and_saveexec_b64 s[52:53], s[40:41]
; %bb.12077:                            ;   in Loop: Header=BB6_10813 Depth=3
	v_bfe_u32 v1, v0, 20, 1
	v_add_co_u32_e64 v1, s[40:41], v0, v1
	v_add_co_u32_e64 v24, s[40:41], -1, v1
; %bb.12078:                            ;   in Loop: Header=BB6_10813 Depth=3
	s_or_b64 exec, exec, s[52:53]
	v_add_u32_e32 v1, 0xffffff81, v38
	v_mov_b32_e32 v25, 0xffffff82
	v_cndmask_b32_e32 v1, v1, v25, vcc
	v_lshrrev_b32_e32 v25, 23, v0
	v_add3_u32 v38, v39, v1, v25
	v_add_u32_e32 v25, 6, v38
	v_and_b32_e32 v1, 0xfffff, v24
	v_add_u32_e32 v0, v1, v0
	v_mov_b32_e32 v1, v53
	v_cmp_ne_u32_e32 vcc, 0, v25
                                        ; implicit-def: $vgpr24
	s_and_saveexec_b64 s[40:41], vcc
	s_xor_b64 s[40:41], exec, s[40:41]
; %bb.12079:                            ;   in Loop: Header=BB6_10813 Depth=3
	v_cmp_lt_u64_e32 vcc, s[88:89], v[0:1]
	v_add_u32_e32 v24, 7, v38
	v_cndmask_b32_e32 v24, v25, v24, vcc
	v_cndmask_b32_e64 v25, 0, 1, vcc
	v_lshrrev_b64 v[0:1], v25, v[0:1]
; %bb.12080:                            ;   in Loop: Header=BB6_10813 Depth=3
	s_andn2_saveexec_b64 s[40:41], s[40:41]
; %bb.12081:                            ;   in Loop: Header=BB6_10813 Depth=3
	v_bfe_u32 v24, v0, 23, 1
; %bb.12082:                            ;   in Loop: Header=BB6_10813 Depth=3
	s_or_b64 exec, exec, s[40:41]
	v_lshrrev_b64 v[0:1], 20, v[0:1]
	v_cmp_gt_i32_e32 vcc, 16, v24
	v_cndmask_b32_e32 v1, 0, v1, vcc
	v_cndmask_b32_e32 v0, 7, v0, vcc
	v_cmp_eq_u64_e64 s[40:41], 0, v[0:1]
	v_min_i32_e32 v1, 15, v24
	v_lshlrev_b32_e32 v1, 3, v1
	v_cmp_eq_u32_e32 vcc, 0, v24
	v_and_b32_e32 v1, 0xf8, v1
	v_and_or_b32 v0, v0, 7, v1
	s_and_b64 s[40:41], vcc, s[40:41]
	v_cndmask_b32_e64 v0, v0, 0, s[40:41]
	v_or_b32_e32 v43, v0, v3
.LBB6_12083:                            ;   in Loop: Header=BB6_10813 Depth=3
	s_or_b64 exec, exec, s[50:51]
                                        ; implicit-def: $vgpr3
.LBB6_12084:                            ;   in Loop: Header=BB6_10813 Depth=3
	s_andn2_saveexec_b64 s[40:41], s[48:49]
; %bb.12085:                            ;   in Loop: Header=BB6_10813 Depth=3
	v_or_b32_e32 v43, 0x7e, v3
; %bb.12086:                            ;   in Loop: Header=BB6_10813 Depth=3
	s_or_b64 exec, exec, s[40:41]
                                        ; implicit-def: $vgpr0
.LBB6_12087:                            ;   in Loop: Header=BB6_10813 Depth=3
	s_andn2_saveexec_b64 s[40:41], s[38:39]
; %bb.12088:                            ;   in Loop: Header=BB6_10813 Depth=3
	v_or_b32_sdwa v43, v0, s83 dst_sel:DWORD dst_unused:UNUSED_PAD src0_sel:BYTE_3 src1_sel:DWORD
; %bb.12089:                            ;   in Loop: Header=BB6_10813 Depth=3
	s_or_b64 exec, exec, s[40:41]
	v_lshrrev_b16_e32 v24, 8, v52
	v_lshrrev_b16_e32 v3, 8, v2
	v_cmp_ne_u16_e64 s[40:41], 0, v24
	s_and_b64 vcc, exec, s[28:29]
	s_mov_b64 s[38:39], -1
                                        ; implicit-def: $vgpr0
	s_cbranch_vccnz .LBB6_12103
; %bb.12090:                            ;   in Loop: Header=BB6_10813 Depth=3
	v_mov_b32_e32 v1, 0
	v_mov_b32_e32 v0, 0
	s_and_saveexec_b64 s[38:39], s[40:41]
	s_cbranch_execz .LBB6_12096
; %bb.12091:                            ;   in Loop: Header=BB6_10813 Depth=3
	v_cmp_ne_u16_e32 vcc, s82, v24
	v_bfrev_b32_e32 v0, 1
	s_and_saveexec_b64 s[48:49], vcc
	s_cbranch_execz .LBB6_12095
; %bb.12092:                            ;   in Loop: Header=BB6_10813 Depth=3
	v_and_b32_e32 v25, 0x7f, v24
	v_cmp_ne_u32_e32 vcc, s83, v25
	v_mov_b32_e32 v0, 0x7f800001
	s_and_saveexec_b64 s[50:51], vcc
	s_cbranch_execz .LBB6_12094
; %bb.12093:                            ;   in Loop: Header=BB6_10813 Depth=3
	v_and_b32_e32 v0, 7, v24
	v_lshrrev_b32_e32 v38, 3, v25
	v_cmp_gt_u32_e32 vcc, 8, v25
	v_ffbh_u32_e32 v25, v0
	v_min_u32_e32 v25, 32, v25
	v_subrev_u32_e32 v36, 28, v25
	v_lshlrev_b64 v[36:37], v36, v[24:25]
	v_sub_u32_e32 v25, 29, v25
	v_and_b32_e32 v36, 7, v36
	v_cndmask_b32_e32 v25, v38, v25, vcc
	v_cndmask_b32_e32 v0, v0, v36, vcc
	v_lshlrev_b32_e32 v36, 16, v52
	v_bfrev_b32_e32 v37, 60
	v_lshlrev_b32_e32 v0, 20, v0
	v_and_b32_e32 v36, 0x80000000, v36
	v_lshl_add_u32 v25, v25, 23, v37
	v_or3_b32 v0, v36, v25, v0
.LBB6_12094:                            ;   in Loop: Header=BB6_10813 Depth=3
	s_or_b64 exec, exec, s[50:51]
.LBB6_12095:                            ;   in Loop: Header=BB6_10813 Depth=3
	s_or_b64 exec, exec, s[48:49]
.LBB6_12096:                            ;   in Loop: Header=BB6_10813 Depth=3
	s_or_b64 exec, exec, s[38:39]
	v_cmp_ne_u16_e32 vcc, 0, v3
	s_and_saveexec_b64 s[38:39], vcc
	s_cbranch_execz .LBB6_12102
; %bb.12097:                            ;   in Loop: Header=BB6_10813 Depth=3
	v_cmp_ne_u16_e32 vcc, s82, v3
	v_bfrev_b32_e32 v1, 1
	s_and_saveexec_b64 s[48:49], vcc
	s_cbranch_execz .LBB6_12101
; %bb.12098:                            ;   in Loop: Header=BB6_10813 Depth=3
	v_and_b32_e32 v25, 0x7f, v3
	v_cmp_ne_u32_e32 vcc, s83, v25
	v_mov_b32_e32 v1, 0x7f800001
	s_and_saveexec_b64 s[50:51], vcc
	s_cbranch_execz .LBB6_12100
; %bb.12099:                            ;   in Loop: Header=BB6_10813 Depth=3
	v_and_b32_e32 v1, 7, v3
	v_lshrrev_b32_e32 v38, 3, v25
	v_cmp_gt_u32_e32 vcc, 8, v25
	v_ffbh_u32_e32 v25, v1
	v_min_u32_e32 v25, 32, v25
	v_subrev_u32_e32 v36, 28, v25
	v_lshlrev_b64 v[36:37], v36, v[3:4]
	v_sub_u32_e32 v25, 29, v25
	v_and_b32_e32 v36, 7, v36
	v_cndmask_b32_e32 v25, v38, v25, vcc
	v_cndmask_b32_e32 v1, v1, v36, vcc
	v_lshlrev_b32_e32 v36, 16, v2
	v_bfrev_b32_e32 v37, 60
	v_lshlrev_b32_e32 v1, 20, v1
	v_and_b32_e32 v36, 0x80000000, v36
	v_lshl_add_u32 v25, v25, 23, v37
	v_or3_b32 v1, v36, v25, v1
.LBB6_12100:                            ;   in Loop: Header=BB6_10813 Depth=3
	s_or_b64 exec, exec, s[50:51]
.LBB6_12101:                            ;   in Loop: Header=BB6_10813 Depth=3
	s_or_b64 exec, exec, s[48:49]
.LBB6_12102:                            ;   in Loop: Header=BB6_10813 Depth=3
	s_or_b64 exec, exec, s[38:39]
	v_max_f32_e32 v1, v1, v1
	v_max_f32_e32 v0, v0, v0
	;; [unrolled: 1-line block ×3, first 2 shown]
	s_mov_b64 s[38:39], 0
.LBB6_12103:                            ;   in Loop: Header=BB6_10813 Depth=3
	s_and_b64 vcc, exec, s[38:39]
	s_cbranch_vccz .LBB6_12117
; %bb.12104:                            ;   in Loop: Header=BB6_10813 Depth=3
	v_mov_b32_e32 v1, 0
	v_mov_b32_e32 v0, 0
	s_and_saveexec_b64 s[38:39], s[40:41]
	s_cbranch_execz .LBB6_12110
; %bb.12105:                            ;   in Loop: Header=BB6_10813 Depth=3
	v_cmp_ne_u16_e32 vcc, s82, v24
	v_bfrev_b32_e32 v0, 1
	s_and_saveexec_b64 s[40:41], vcc
	s_cbranch_execz .LBB6_12109
; %bb.12106:                            ;   in Loop: Header=BB6_10813 Depth=3
	v_and_b32_e32 v25, 0x7f, v24
	v_cmp_ne_u32_e32 vcc, s83, v25
	v_mov_b32_e32 v0, 0x7f800001
	s_and_saveexec_b64 s[48:49], vcc
	s_cbranch_execz .LBB6_12108
; %bb.12107:                            ;   in Loop: Header=BB6_10813 Depth=3
	v_and_b32_e32 v0, 7, v24
	v_lshrrev_b32_e32 v36, 3, v25
	v_cmp_gt_u32_e32 vcc, 8, v25
	v_ffbh_u32_e32 v25, v0
	v_min_u32_e32 v37, 32, v25
	v_subrev_u32_e32 v25, 28, v37
	v_lshlrev_b64 v[24:25], v25, v[24:25]
	v_sub_u32_e32 v25, 29, v37
	v_and_b32_e32 v24, 7, v24
	v_cndmask_b32_e32 v25, v36, v25, vcc
	v_cndmask_b32_e32 v0, v0, v24, vcc
	v_lshlrev_b32_e32 v24, 16, v52
	v_bfrev_b32_e32 v36, 60
	v_lshlrev_b32_e32 v0, 20, v0
	v_and_b32_e32 v24, 0x80000000, v24
	v_lshl_add_u32 v25, v25, 23, v36
	v_or3_b32 v0, v24, v25, v0
.LBB6_12108:                            ;   in Loop: Header=BB6_10813 Depth=3
	s_or_b64 exec, exec, s[48:49]
.LBB6_12109:                            ;   in Loop: Header=BB6_10813 Depth=3
	s_or_b64 exec, exec, s[40:41]
.LBB6_12110:                            ;   in Loop: Header=BB6_10813 Depth=3
	s_or_b64 exec, exec, s[38:39]
	v_cmp_ne_u16_e32 vcc, 0, v3
	s_and_saveexec_b64 s[40:41], vcc
	s_cbranch_execz .LBB6_12116
; %bb.12111:                            ;   in Loop: Header=BB6_10813 Depth=3
	v_cmp_ne_u16_e32 vcc, s82, v3
	v_bfrev_b32_e32 v1, 1
	s_and_saveexec_b64 s[38:39], vcc
	s_cbranch_execz .LBB6_12115
; %bb.12112:                            ;   in Loop: Header=BB6_10813 Depth=3
	v_and_b32_e32 v24, 0x7f, v3
	v_cmp_ne_u32_e32 vcc, s83, v24
	v_mov_b32_e32 v1, 0x7f800001
	s_and_saveexec_b64 s[48:49], vcc
	s_cbranch_execz .LBB6_12114
; %bb.12113:                            ;   in Loop: Header=BB6_10813 Depth=3
	v_and_b32_e32 v1, 7, v3
	v_lshrrev_b32_e32 v36, 3, v24
	v_cmp_gt_u32_e32 vcc, 8, v24
	v_ffbh_u32_e32 v24, v1
	v_min_u32_e32 v37, 32, v24
	v_subrev_u32_e32 v24, 28, v37
	v_lshlrev_b64 v[24:25], v24, v[3:4]
	v_sub_u32_e32 v3, 29, v37
	v_and_b32_e32 v24, 7, v24
	v_cndmask_b32_e32 v3, v36, v3, vcc
	v_cndmask_b32_e32 v1, v1, v24, vcc
	v_lshlrev_b32_e32 v2, 16, v2
	v_bfrev_b32_e32 v24, 60
	v_lshlrev_b32_e32 v1, 20, v1
	v_and_b32_e32 v2, 0x80000000, v2
	v_lshl_add_u32 v3, v3, 23, v24
	v_or3_b32 v1, v2, v3, v1
.LBB6_12114:                            ;   in Loop: Header=BB6_10813 Depth=3
	s_or_b64 exec, exec, s[48:49]
.LBB6_12115:                            ;   in Loop: Header=BB6_10813 Depth=3
	s_or_b64 exec, exec, s[38:39]
.LBB6_12116:                            ;   in Loop: Header=BB6_10813 Depth=3
	s_or_b64 exec, exec, s[40:41]
	v_max_f32_e32 v1, v1, v1
	v_max_f32_e32 v0, v0, v0
	v_min_f32_e32 v0, v0, v1
.LBB6_12117:                            ;   in Loop: Header=BB6_10813 Depth=3
	v_and_b32_e32 v52, 0x7f800000, v0
	v_cmp_ne_u64_e32 vcc, s[76:77], v[52:53]
                                        ; implicit-def: $vgpr38
	s_and_saveexec_b64 s[40:41], vcc
	s_xor_b64 s[38:39], exec, s[40:41]
	s_cbranch_execz .LBB6_12131
; %bb.12118:                            ;   in Loop: Header=BB6_10813 Depth=3
	v_and_b32_e32 v52, 0x7fffffff, v0
	v_cmp_gt_u64_e32 vcc, s[78:79], v[52:53]
	v_and_b32_sdwa v3, v0, s82 dst_sel:DWORD dst_unused:UNUSED_PAD src0_sel:BYTE_3 src1_sel:DWORD
                                        ; implicit-def: $vgpr38
	s_and_saveexec_b64 s[40:41], vcc
	s_xor_b64 s[48:49], exec, s[40:41]
	s_cbranch_execz .LBB6_12128
; %bb.12119:                            ;   in Loop: Header=BB6_10813 Depth=3
	v_mov_b32_e32 v38, 0
	v_cmp_ne_u32_e32 vcc, 0, v0
	s_and_saveexec_b64 s[50:51], vcc
	s_cbranch_execz .LBB6_12127
; %bb.12120:                            ;   in Loop: Header=BB6_10813 Depth=3
	v_bfe_u32 v24, v0, 23, 8
	v_and_b32_e32 v1, 0x7fffff, v0
	v_cmp_gt_u32_e64 s[40:41], s85, v24
	v_sub_u32_e32 v0, 0x79, v24
	v_cmp_eq_u32_e32 vcc, 0, v24
	v_cndmask_b32_e64 v0, 0, v0, s[40:41]
	v_mov_b32_e32 v25, 0x78
	v_cndmask_b32_e32 v25, v0, v25, vcc
	v_or_b32_e32 v2, 0x800000, v1
	v_add_u32_e32 v0, 20, v25
	v_cndmask_b32_e32 v52, v2, v1, vcc
	v_lshlrev_b64 v[0:1], v0, -1
	v_add_u32_e32 v2, 19, v25
	v_lshlrev_b64 v[36:37], v2, 1
	v_bfi_b32 v1, v1, 0, 0
	v_bfi_b32 v0, v0, 0, v52
	v_cmp_eq_u64_e64 s[40:41], v[0:1], v[36:37]
	v_lshrrev_b64 v[0:1], v25, v[52:53]
	v_mov_b32_e32 v2, v1
	v_mov_b32_e32 v1, v0
	s_and_saveexec_b64 s[52:53], s[40:41]
; %bb.12121:                            ;   in Loop: Header=BB6_10813 Depth=3
	v_bfe_u32 v1, v0, 20, 1
	v_add_co_u32_e64 v1, s[40:41], v0, v1
	v_add_co_u32_e64 v1, s[40:41], -1, v1
; %bb.12122:                            ;   in Loop: Header=BB6_10813 Depth=3
	s_or_b64 exec, exec, s[52:53]
	v_add_u32_e32 v2, 0xffffff81, v24
	v_mov_b32_e32 v24, 0xffffff82
	v_cndmask_b32_e32 v2, v2, v24, vcc
	v_lshrrev_b32_e32 v24, 23, v0
	v_add3_u32 v25, v25, v2, v24
	v_add_u32_e32 v24, 6, v25
	v_and_b32_e32 v1, 0xfffff, v1
	v_add_u32_e32 v52, v1, v0
	v_cmp_ne_u32_e32 vcc, 0, v24
                                        ; implicit-def: $vgpr0_vgpr1
                                        ; implicit-def: $vgpr2
	s_and_saveexec_b64 s[40:41], vcc
	s_xor_b64 s[40:41], exec, s[40:41]
; %bb.12123:                            ;   in Loop: Header=BB6_10813 Depth=3
	v_cmp_lt_u64_e32 vcc, s[88:89], v[52:53]
	v_add_u32_e32 v0, 7, v25
	v_cndmask_b32_e32 v2, v24, v0, vcc
	v_cndmask_b32_e64 v0, 0, 1, vcc
	v_lshrrev_b64 v[0:1], v0, v[52:53]
; %bb.12124:                            ;   in Loop: Header=BB6_10813 Depth=3
	s_andn2_saveexec_b64 s[40:41], s[40:41]
; %bb.12125:                            ;   in Loop: Header=BB6_10813 Depth=3
	v_mov_b32_e32 v0, v52
	v_bfe_u32 v2, v52, 23, 1
	v_mov_b32_e32 v1, v53
; %bb.12126:                            ;   in Loop: Header=BB6_10813 Depth=3
	s_or_b64 exec, exec, s[40:41]
	v_lshrrev_b64 v[0:1], 20, v[0:1]
	v_cmp_gt_i32_e32 vcc, 16, v2
	v_cndmask_b32_e32 v1, 0, v1, vcc
	v_cndmask_b32_e32 v0, 7, v0, vcc
	v_cmp_eq_u64_e64 s[40:41], 0, v[0:1]
	v_min_i32_e32 v1, 15, v2
	v_lshlrev_b32_e32 v1, 3, v1
	v_cmp_eq_u32_e32 vcc, 0, v2
	v_and_b32_e32 v1, 0xf8, v1
	v_and_or_b32 v0, v0, 7, v1
	s_and_b64 s[40:41], vcc, s[40:41]
	v_cndmask_b32_e64 v0, v0, 0, s[40:41]
	v_or_b32_e32 v38, v0, v3
.LBB6_12127:                            ;   in Loop: Header=BB6_10813 Depth=3
	s_or_b64 exec, exec, s[50:51]
                                        ; implicit-def: $vgpr3
.LBB6_12128:                            ;   in Loop: Header=BB6_10813 Depth=3
	s_andn2_saveexec_b64 s[40:41], s[48:49]
; %bb.12129:                            ;   in Loop: Header=BB6_10813 Depth=3
	v_or_b32_e32 v38, 0x7e, v3
; %bb.12130:                            ;   in Loop: Header=BB6_10813 Depth=3
	s_or_b64 exec, exec, s[40:41]
                                        ; implicit-def: $vgpr0
.LBB6_12131:                            ;   in Loop: Header=BB6_10813 Depth=3
	s_andn2_saveexec_b64 s[40:41], s[38:39]
; %bb.12132:                            ;   in Loop: Header=BB6_10813 Depth=3
	v_or_b32_sdwa v38, v0, s83 dst_sel:DWORD dst_unused:UNUSED_PAD src0_sel:BYTE_3 src1_sel:DWORD
; %bb.12133:                            ;   in Loop: Header=BB6_10813 Depth=3
	s_or_b64 exec, exec, s[40:41]
	v_lshrrev_b32_e32 v2, 16, v35
	v_lshrrev_b32_e32 v0, 16, v27
	v_cmp_ne_u16_sdwa s[40:41], v2, v53 src0_sel:BYTE_0 src1_sel:DWORD
	s_and_b64 vcc, exec, s[28:29]
	s_mov_b64 s[38:39], -1
                                        ; implicit-def: $vgpr1
	s_cbranch_vccnz .LBB6_12147
; %bb.12134:                            ;   in Loop: Header=BB6_10813 Depth=3
	v_mov_b32_e32 v3, 0
	v_mov_b32_e32 v1, 0
	s_and_saveexec_b64 s[38:39], s[40:41]
	s_cbranch_execz .LBB6_12140
; %bb.12135:                            ;   in Loop: Header=BB6_10813 Depth=3
	v_cmp_ne_u16_sdwa vcc, v2, s82 src0_sel:BYTE_0 src1_sel:DWORD
	v_bfrev_b32_e32 v1, 1
	s_and_saveexec_b64 s[48:49], vcc
	s_cbranch_execz .LBB6_12139
; %bb.12136:                            ;   in Loop: Header=BB6_10813 Depth=3
	v_bfe_u32 v24, v35, 16, 7
	v_cmp_ne_u32_e32 vcc, s83, v24
	v_mov_b32_e32 v1, 0x7f800001
	s_and_saveexec_b64 s[50:51], vcc
	s_cbranch_execz .LBB6_12138
; %bb.12137:                            ;   in Loop: Header=BB6_10813 Depth=3
	v_and_b32_e32 v1, 7, v2
	v_lshrrev_b32_e32 v36, 3, v24
	v_cmp_gt_u32_e32 vcc, 8, v24
	v_ffbh_u32_e32 v24, v1
	v_min_u32_e32 v37, 32, v24
	v_subrev_u32_e32 v24, 28, v37
	v_lshlrev_b64 v[24:25], v24, v[2:3]
	v_sub_u32_e32 v25, 29, v37
	v_and_b32_e32 v24, 7, v24
	v_cndmask_b32_e32 v25, v36, v25, vcc
	v_cndmask_b32_e32 v1, v1, v24, vcc
	v_lshlrev_b32_e32 v24, 24, v2
	v_bfrev_b32_e32 v36, 60
	v_lshlrev_b32_e32 v1, 20, v1
	v_and_b32_e32 v24, 0x80000000, v24
	v_lshl_add_u32 v25, v25, 23, v36
	v_or3_b32 v1, v24, v25, v1
.LBB6_12138:                            ;   in Loop: Header=BB6_10813 Depth=3
	s_or_b64 exec, exec, s[50:51]
.LBB6_12139:                            ;   in Loop: Header=BB6_10813 Depth=3
	s_or_b64 exec, exec, s[48:49]
.LBB6_12140:                            ;   in Loop: Header=BB6_10813 Depth=3
	s_or_b64 exec, exec, s[38:39]
	v_cmp_ne_u16_sdwa vcc, v0, v53 src0_sel:BYTE_0 src1_sel:DWORD
	s_and_saveexec_b64 s[38:39], vcc
	s_cbranch_execz .LBB6_12146
; %bb.12141:                            ;   in Loop: Header=BB6_10813 Depth=3
	v_cmp_ne_u16_sdwa vcc, v0, s82 src0_sel:BYTE_0 src1_sel:DWORD
	v_bfrev_b32_e32 v3, 1
	s_and_saveexec_b64 s[48:49], vcc
	s_cbranch_execz .LBB6_12145
; %bb.12142:                            ;   in Loop: Header=BB6_10813 Depth=3
	v_bfe_u32 v24, v27, 16, 7
	v_cmp_ne_u32_e32 vcc, s83, v24
	v_mov_b32_e32 v3, 0x7f800001
	s_and_saveexec_b64 s[50:51], vcc
	s_cbranch_execz .LBB6_12144
; %bb.12143:                            ;   in Loop: Header=BB6_10813 Depth=3
	v_and_b32_e32 v3, 7, v0
	v_lshrrev_b32_e32 v36, 3, v24
	v_cmp_gt_u32_e32 vcc, 8, v24
	v_ffbh_u32_e32 v24, v3
	v_min_u32_e32 v37, 32, v24
	v_subrev_u32_e32 v24, 28, v37
	v_lshlrev_b64 v[24:25], v24, v[0:1]
	v_sub_u32_e32 v25, 29, v37
	v_and_b32_e32 v24, 7, v24
	v_cndmask_b32_e32 v25, v36, v25, vcc
	v_cndmask_b32_e32 v3, v3, v24, vcc
	v_lshlrev_b32_e32 v24, 24, v0
	v_bfrev_b32_e32 v36, 60
	v_lshlrev_b32_e32 v3, 20, v3
	v_and_b32_e32 v24, 0x80000000, v24
	v_lshl_add_u32 v25, v25, 23, v36
	v_or3_b32 v3, v24, v25, v3
.LBB6_12144:                            ;   in Loop: Header=BB6_10813 Depth=3
	s_or_b64 exec, exec, s[50:51]
.LBB6_12145:                            ;   in Loop: Header=BB6_10813 Depth=3
	s_or_b64 exec, exec, s[48:49]
.LBB6_12146:                            ;   in Loop: Header=BB6_10813 Depth=3
	s_or_b64 exec, exec, s[38:39]
	v_max_f32_e32 v3, v3, v3
	v_max_f32_e32 v1, v1, v1
	;; [unrolled: 1-line block ×3, first 2 shown]
	s_mov_b64 s[38:39], 0
.LBB6_12147:                            ;   in Loop: Header=BB6_10813 Depth=3
	s_and_b64 vcc, exec, s[38:39]
	s_cbranch_vccz .LBB6_12161
; %bb.12148:                            ;   in Loop: Header=BB6_10813 Depth=3
	v_mov_b32_e32 v3, 0
	v_mov_b32_e32 v1, 0
	s_and_saveexec_b64 s[38:39], s[40:41]
	s_cbranch_execz .LBB6_12154
; %bb.12149:                            ;   in Loop: Header=BB6_10813 Depth=3
	v_cmp_ne_u16_sdwa vcc, v2, s82 src0_sel:BYTE_0 src1_sel:DWORD
	v_bfrev_b32_e32 v1, 1
	s_and_saveexec_b64 s[40:41], vcc
	s_cbranch_execz .LBB6_12153
; %bb.12150:                            ;   in Loop: Header=BB6_10813 Depth=3
	v_bfe_u32 v24, v35, 16, 7
	v_cmp_ne_u32_e32 vcc, s83, v24
	v_mov_b32_e32 v1, 0x7f800001
	s_and_saveexec_b64 s[48:49], vcc
	s_cbranch_execz .LBB6_12152
; %bb.12151:                            ;   in Loop: Header=BB6_10813 Depth=3
	v_and_b32_e32 v1, 7, v2
	v_lshrrev_b32_e32 v36, 3, v24
	v_cmp_gt_u32_e32 vcc, 8, v24
	v_ffbh_u32_e32 v24, v1
	v_min_u32_e32 v37, 32, v24
	v_subrev_u32_e32 v24, 28, v37
	v_lshlrev_b64 v[24:25], v24, v[2:3]
	v_sub_u32_e32 v25, 29, v37
	v_and_b32_e32 v24, 7, v24
	v_cndmask_b32_e32 v25, v36, v25, vcc
	v_cndmask_b32_e32 v1, v1, v24, vcc
	v_lshlrev_b32_e32 v2, 24, v2
	v_bfrev_b32_e32 v24, 60
	v_lshlrev_b32_e32 v1, 20, v1
	v_and_b32_e32 v2, 0x80000000, v2
	v_lshl_add_u32 v24, v25, 23, v24
	v_or3_b32 v1, v2, v24, v1
.LBB6_12152:                            ;   in Loop: Header=BB6_10813 Depth=3
	s_or_b64 exec, exec, s[48:49]
.LBB6_12153:                            ;   in Loop: Header=BB6_10813 Depth=3
	s_or_b64 exec, exec, s[40:41]
.LBB6_12154:                            ;   in Loop: Header=BB6_10813 Depth=3
	s_or_b64 exec, exec, s[38:39]
	v_cmp_ne_u16_sdwa vcc, v0, v53 src0_sel:BYTE_0 src1_sel:DWORD
	s_and_saveexec_b64 s[40:41], vcc
	s_cbranch_execz .LBB6_12160
; %bb.12155:                            ;   in Loop: Header=BB6_10813 Depth=3
	v_cmp_ne_u16_sdwa vcc, v0, s82 src0_sel:BYTE_0 src1_sel:DWORD
	v_bfrev_b32_e32 v3, 1
	s_and_saveexec_b64 s[38:39], vcc
	s_cbranch_execz .LBB6_12159
; %bb.12156:                            ;   in Loop: Header=BB6_10813 Depth=3
	v_bfe_u32 v2, v27, 16, 7
	v_cmp_ne_u32_e32 vcc, s83, v2
	v_mov_b32_e32 v3, 0x7f800001
	s_and_saveexec_b64 s[48:49], vcc
	s_cbranch_execz .LBB6_12158
; %bb.12157:                            ;   in Loop: Header=BB6_10813 Depth=3
	v_and_b32_e32 v24, 7, v0
	v_lshrrev_b32_e32 v25, 3, v2
	v_cmp_gt_u32_e32 vcc, 8, v2
	v_ffbh_u32_e32 v2, v24
	v_min_u32_e32 v36, 32, v2
	v_subrev_u32_e32 v2, 28, v36
	v_lshlrev_b64 v[2:3], v2, v[0:1]
	v_sub_u32_e32 v3, 29, v36
	v_and_b32_e32 v2, 7, v2
	v_cndmask_b32_e32 v3, v25, v3, vcc
	v_cndmask_b32_e32 v2, v24, v2, vcc
	v_lshlrev_b32_e32 v0, 24, v0
	v_bfrev_b32_e32 v24, 60
	v_lshlrev_b32_e32 v2, 20, v2
	v_and_b32_e32 v0, 0x80000000, v0
	v_lshl_add_u32 v3, v3, 23, v24
	v_or3_b32 v3, v0, v3, v2
.LBB6_12158:                            ;   in Loop: Header=BB6_10813 Depth=3
	s_or_b64 exec, exec, s[48:49]
.LBB6_12159:                            ;   in Loop: Header=BB6_10813 Depth=3
	s_or_b64 exec, exec, s[38:39]
.LBB6_12160:                            ;   in Loop: Header=BB6_10813 Depth=3
	s_or_b64 exec, exec, s[40:41]
	v_max_f32_e32 v0, v3, v3
	v_max_f32_e32 v1, v1, v1
	v_min_f32_e32 v1, v1, v0
.LBB6_12161:                            ;   in Loop: Header=BB6_10813 Depth=3
	v_and_b32_e32 v52, 0x7f800000, v1
	v_cmp_ne_u64_e32 vcc, s[76:77], v[52:53]
	buffer_store_dword v38, off, s[0:3], s33 offset:164 ; 4-byte Folded Spill
                                        ; implicit-def: $vgpr37
	s_and_saveexec_b64 s[40:41], vcc
	s_xor_b64 s[38:39], exec, s[40:41]
	s_cbranch_execz .LBB6_12175
; %bb.12162:                            ;   in Loop: Header=BB6_10813 Depth=3
	v_and_b32_e32 v52, 0x7fffffff, v1
	v_cmp_gt_u64_e32 vcc, s[78:79], v[52:53]
	v_and_b32_sdwa v3, v1, s82 dst_sel:DWORD dst_unused:UNUSED_PAD src0_sel:BYTE_3 src1_sel:DWORD
                                        ; implicit-def: $vgpr37
	s_and_saveexec_b64 s[40:41], vcc
	s_xor_b64 s[48:49], exec, s[40:41]
	s_cbranch_execz .LBB6_12172
; %bb.12163:                            ;   in Loop: Header=BB6_10813 Depth=3
	v_mov_b32_e32 v37, 0
	v_cmp_ne_u32_e32 vcc, 0, v1
	s_and_saveexec_b64 s[50:51], vcc
	s_cbranch_execz .LBB6_12171
; %bb.12164:                            ;   in Loop: Header=BB6_10813 Depth=3
	v_bfe_u32 v24, v1, 23, 8
	v_and_b32_e32 v0, 0x7fffff, v1
	v_cmp_gt_u32_e64 s[40:41], s85, v24
	v_sub_u32_e32 v1, 0x79, v24
	v_cmp_eq_u32_e32 vcc, 0, v24
	v_cndmask_b32_e64 v1, 0, v1, s[40:41]
	v_mov_b32_e32 v25, 0x78
	v_or_b32_e32 v2, 0x800000, v0
	v_cndmask_b32_e32 v25, v1, v25, vcc
	v_cndmask_b32_e32 v52, v2, v0, vcc
	v_add_u32_e32 v0, 20, v25
	v_lshlrev_b64 v[0:1], v0, -1
	v_add_u32_e32 v2, 19, v25
	v_lshlrev_b64 v[36:37], v2, 1
	v_bfi_b32 v1, v1, 0, 0
	v_bfi_b32 v0, v0, 0, v52
	v_cmp_eq_u64_e64 s[40:41], v[0:1], v[36:37]
	v_lshrrev_b64 v[0:1], v25, v[52:53]
	v_mov_b32_e32 v2, v1
	v_mov_b32_e32 v1, v0
	s_and_saveexec_b64 s[52:53], s[40:41]
; %bb.12165:                            ;   in Loop: Header=BB6_10813 Depth=3
	v_bfe_u32 v1, v0, 20, 1
	v_add_co_u32_e64 v1, s[40:41], v0, v1
	v_add_co_u32_e64 v1, s[40:41], -1, v1
; %bb.12166:                            ;   in Loop: Header=BB6_10813 Depth=3
	s_or_b64 exec, exec, s[52:53]
	v_add_u32_e32 v2, 0xffffff81, v24
	v_mov_b32_e32 v24, 0xffffff82
	v_cndmask_b32_e32 v2, v2, v24, vcc
	v_lshrrev_b32_e32 v24, 23, v0
	v_add3_u32 v25, v25, v2, v24
	v_add_u32_e32 v24, 6, v25
	v_and_b32_e32 v1, 0xfffff, v1
	v_add_u32_e32 v52, v1, v0
	v_cmp_ne_u32_e32 vcc, 0, v24
                                        ; implicit-def: $vgpr0_vgpr1
                                        ; implicit-def: $vgpr2
	s_and_saveexec_b64 s[40:41], vcc
	s_xor_b64 s[40:41], exec, s[40:41]
; %bb.12167:                            ;   in Loop: Header=BB6_10813 Depth=3
	v_cmp_lt_u64_e32 vcc, s[88:89], v[52:53]
	v_add_u32_e32 v0, 7, v25
	v_cndmask_b32_e32 v2, v24, v0, vcc
	v_cndmask_b32_e64 v0, 0, 1, vcc
	v_lshrrev_b64 v[0:1], v0, v[52:53]
; %bb.12168:                            ;   in Loop: Header=BB6_10813 Depth=3
	s_andn2_saveexec_b64 s[40:41], s[40:41]
; %bb.12169:                            ;   in Loop: Header=BB6_10813 Depth=3
	v_mov_b32_e32 v0, v52
	v_bfe_u32 v2, v52, 23, 1
	v_mov_b32_e32 v1, v53
; %bb.12170:                            ;   in Loop: Header=BB6_10813 Depth=3
	s_or_b64 exec, exec, s[40:41]
	v_lshrrev_b64 v[0:1], 20, v[0:1]
	v_cmp_gt_i32_e32 vcc, 16, v2
	v_cndmask_b32_e32 v1, 0, v1, vcc
	v_cndmask_b32_e32 v0, 7, v0, vcc
	v_cmp_eq_u64_e64 s[40:41], 0, v[0:1]
	v_min_i32_e32 v1, 15, v2
	v_lshlrev_b32_e32 v1, 3, v1
	v_cmp_eq_u32_e32 vcc, 0, v2
	v_and_b32_e32 v1, 0xf8, v1
	v_and_or_b32 v0, v0, 7, v1
	s_and_b64 s[40:41], vcc, s[40:41]
	v_cndmask_b32_e64 v0, v0, 0, s[40:41]
	v_or_b32_e32 v37, v0, v3
.LBB6_12171:                            ;   in Loop: Header=BB6_10813 Depth=3
	s_or_b64 exec, exec, s[50:51]
                                        ; implicit-def: $vgpr3
.LBB6_12172:                            ;   in Loop: Header=BB6_10813 Depth=3
	s_andn2_saveexec_b64 s[40:41], s[48:49]
; %bb.12173:                            ;   in Loop: Header=BB6_10813 Depth=3
	v_or_b32_e32 v37, 0x7e, v3
; %bb.12174:                            ;   in Loop: Header=BB6_10813 Depth=3
	s_or_b64 exec, exec, s[40:41]
                                        ; implicit-def: $vgpr1
.LBB6_12175:                            ;   in Loop: Header=BB6_10813 Depth=3
	s_andn2_saveexec_b64 s[40:41], s[38:39]
; %bb.12176:                            ;   in Loop: Header=BB6_10813 Depth=3
	v_or_b32_sdwa v37, v1, s83 dst_sel:DWORD dst_unused:UNUSED_PAD src0_sel:BYTE_3 src1_sel:DWORD
; %bb.12177:                            ;   in Loop: Header=BB6_10813 Depth=3
	s_or_b64 exec, exec, s[40:41]
	v_cmp_lt_u64_e64 s[40:41], s[62:63], v[34:35]
	v_lshrrev_b32_e32 v2, 24, v35
	v_lshrrev_b32_e32 v0, 24, v27
	s_and_b64 vcc, exec, s[28:29]
	s_mov_b64 s[38:39], -1
                                        ; implicit-def: $vgpr1
	s_cbranch_vccnz .LBB6_12191
; %bb.12178:                            ;   in Loop: Header=BB6_10813 Depth=3
	v_mov_b32_e32 v3, 0
	v_mov_b32_e32 v1, 0
	s_and_saveexec_b64 s[38:39], s[40:41]
	s_cbranch_execz .LBB6_12184
; %bb.12179:                            ;   in Loop: Header=BB6_10813 Depth=3
	v_cmp_ne_u32_e32 vcc, s82, v2
	v_bfrev_b32_e32 v1, 1
	s_and_saveexec_b64 s[48:49], vcc
	s_cbranch_execz .LBB6_12183
; %bb.12180:                            ;   in Loop: Header=BB6_10813 Depth=3
	v_bfe_u32 v24, v35, 24, 7
	v_cmp_ne_u32_e32 vcc, s83, v24
	v_mov_b32_e32 v1, 0x7f800001
	s_and_saveexec_b64 s[50:51], vcc
	s_cbranch_execz .LBB6_12182
; %bb.12181:                            ;   in Loop: Header=BB6_10813 Depth=3
	v_and_b32_e32 v1, 7, v2
	v_lshrrev_b32_e32 v34, 3, v24
	v_cmp_gt_u32_e32 vcc, 8, v24
	v_ffbh_u32_e32 v24, v1
	v_min_u32_e32 v36, 32, v24
	v_subrev_u32_e32 v24, 28, v36
	v_lshlrev_b64 v[24:25], v24, v[2:3]
	v_sub_u32_e32 v25, 29, v36
	v_and_b32_e32 v24, 7, v24
	v_cndmask_b32_e32 v25, v34, v25, vcc
	v_cndmask_b32_e32 v1, v1, v24, vcc
	v_lshlrev_b32_e32 v24, 24, v2
	v_bfrev_b32_e32 v34, 60
	v_lshlrev_b32_e32 v1, 20, v1
	v_and_b32_e32 v24, 0x80000000, v24
	v_lshl_add_u32 v25, v25, 23, v34
	v_or3_b32 v1, v24, v25, v1
.LBB6_12182:                            ;   in Loop: Header=BB6_10813 Depth=3
	s_or_b64 exec, exec, s[50:51]
.LBB6_12183:                            ;   in Loop: Header=BB6_10813 Depth=3
	s_or_b64 exec, exec, s[48:49]
.LBB6_12184:                            ;   in Loop: Header=BB6_10813 Depth=3
	s_or_b64 exec, exec, s[38:39]
	v_cmp_lt_u64_e32 vcc, s[62:63], v[26:27]
	s_and_saveexec_b64 s[38:39], vcc
	s_cbranch_execz .LBB6_12190
; %bb.12185:                            ;   in Loop: Header=BB6_10813 Depth=3
	v_cmp_ne_u32_e32 vcc, s82, v0
	v_bfrev_b32_e32 v3, 1
	s_and_saveexec_b64 s[48:49], vcc
	s_cbranch_execz .LBB6_12189
; %bb.12186:                            ;   in Loop: Header=BB6_10813 Depth=3
	v_bfe_u32 v24, v27, 24, 7
	v_cmp_ne_u32_e32 vcc, s83, v24
	v_mov_b32_e32 v3, 0x7f800001
	s_and_saveexec_b64 s[50:51], vcc
	s_cbranch_execz .LBB6_12188
; %bb.12187:                            ;   in Loop: Header=BB6_10813 Depth=3
	v_and_b32_e32 v3, 7, v0
	v_lshrrev_b32_e32 v34, 3, v24
	v_cmp_gt_u32_e32 vcc, 8, v24
	v_ffbh_u32_e32 v24, v3
	v_min_u32_e32 v36, 32, v24
	v_subrev_u32_e32 v24, 28, v36
	v_lshlrev_b64 v[24:25], v24, v[0:1]
	v_sub_u32_e32 v25, 29, v36
	v_and_b32_e32 v24, 7, v24
	v_cndmask_b32_e32 v25, v34, v25, vcc
	v_cndmask_b32_e32 v3, v3, v24, vcc
	v_lshlrev_b32_e32 v24, 24, v0
	v_bfrev_b32_e32 v34, 60
	v_lshlrev_b32_e32 v3, 20, v3
	v_and_b32_e32 v24, 0x80000000, v24
	v_lshl_add_u32 v25, v25, 23, v34
	v_or3_b32 v3, v24, v25, v3
.LBB6_12188:                            ;   in Loop: Header=BB6_10813 Depth=3
	s_or_b64 exec, exec, s[50:51]
.LBB6_12189:                            ;   in Loop: Header=BB6_10813 Depth=3
	s_or_b64 exec, exec, s[48:49]
.LBB6_12190:                            ;   in Loop: Header=BB6_10813 Depth=3
	s_or_b64 exec, exec, s[38:39]
	v_max_f32_e32 v3, v3, v3
	v_max_f32_e32 v1, v1, v1
	;; [unrolled: 1-line block ×3, first 2 shown]
	s_mov_b64 s[38:39], 0
.LBB6_12191:                            ;   in Loop: Header=BB6_10813 Depth=3
	s_and_b64 vcc, exec, s[38:39]
	s_cbranch_vccz .LBB6_12205
; %bb.12192:                            ;   in Loop: Header=BB6_10813 Depth=3
	v_mov_b32_e32 v3, 0
	v_mov_b32_e32 v1, 0
	s_and_saveexec_b64 s[38:39], s[40:41]
	s_cbranch_execz .LBB6_12198
; %bb.12193:                            ;   in Loop: Header=BB6_10813 Depth=3
	v_cmp_ne_u32_e32 vcc, s82, v2
	v_bfrev_b32_e32 v1, 1
	s_and_saveexec_b64 s[40:41], vcc
	s_cbranch_execz .LBB6_12197
; %bb.12194:                            ;   in Loop: Header=BB6_10813 Depth=3
	v_bfe_u32 v24, v35, 24, 7
	v_cmp_ne_u32_e32 vcc, s83, v24
	v_mov_b32_e32 v1, 0x7f800001
	s_and_saveexec_b64 s[48:49], vcc
	s_cbranch_execz .LBB6_12196
; %bb.12195:                            ;   in Loop: Header=BB6_10813 Depth=3
	v_and_b32_e32 v1, 7, v2
	v_lshrrev_b32_e32 v34, 3, v24
	v_cmp_gt_u32_e32 vcc, 8, v24
	v_ffbh_u32_e32 v24, v1
	v_min_u32_e32 v35, 32, v24
	v_subrev_u32_e32 v24, 28, v35
	v_lshlrev_b64 v[24:25], v24, v[2:3]
	v_sub_u32_e32 v25, 29, v35
	v_and_b32_e32 v24, 7, v24
	v_cndmask_b32_e32 v25, v34, v25, vcc
	v_cndmask_b32_e32 v1, v1, v24, vcc
	v_lshlrev_b32_e32 v2, 24, v2
	v_bfrev_b32_e32 v24, 60
	v_lshlrev_b32_e32 v1, 20, v1
	v_and_b32_e32 v2, 0x80000000, v2
	v_lshl_add_u32 v24, v25, 23, v24
	v_or3_b32 v1, v2, v24, v1
.LBB6_12196:                            ;   in Loop: Header=BB6_10813 Depth=3
	s_or_b64 exec, exec, s[48:49]
.LBB6_12197:                            ;   in Loop: Header=BB6_10813 Depth=3
	s_or_b64 exec, exec, s[40:41]
.LBB6_12198:                            ;   in Loop: Header=BB6_10813 Depth=3
	s_or_b64 exec, exec, s[38:39]
	v_cmp_lt_u64_e32 vcc, s[62:63], v[26:27]
	s_and_saveexec_b64 s[40:41], vcc
	s_cbranch_execz .LBB6_12204
; %bb.12199:                            ;   in Loop: Header=BB6_10813 Depth=3
	v_cmp_ne_u32_e32 vcc, s82, v0
	v_bfrev_b32_e32 v3, 1
	s_and_saveexec_b64 s[38:39], vcc
	s_cbranch_execz .LBB6_12203
; %bb.12200:                            ;   in Loop: Header=BB6_10813 Depth=3
	v_bfe_u32 v2, v27, 24, 7
	v_cmp_ne_u32_e32 vcc, s83, v2
	v_mov_b32_e32 v3, 0x7f800001
	s_and_saveexec_b64 s[48:49], vcc
	s_cbranch_execz .LBB6_12202
; %bb.12201:                            ;   in Loop: Header=BB6_10813 Depth=3
	v_and_b32_e32 v24, 7, v0
	v_lshrrev_b32_e32 v25, 3, v2
	v_cmp_gt_u32_e32 vcc, 8, v2
	v_ffbh_u32_e32 v2, v24
	v_min_u32_e32 v26, 32, v2
	v_subrev_u32_e32 v2, 28, v26
	v_lshlrev_b64 v[2:3], v2, v[0:1]
	v_sub_u32_e32 v3, 29, v26
	v_and_b32_e32 v2, 7, v2
	v_cndmask_b32_e32 v3, v25, v3, vcc
	v_cndmask_b32_e32 v2, v24, v2, vcc
	v_lshlrev_b32_e32 v0, 24, v0
	v_bfrev_b32_e32 v24, 60
	v_lshlrev_b32_e32 v2, 20, v2
	v_and_b32_e32 v0, 0x80000000, v0
	v_lshl_add_u32 v3, v3, 23, v24
	v_or3_b32 v3, v0, v3, v2
.LBB6_12202:                            ;   in Loop: Header=BB6_10813 Depth=3
	s_or_b64 exec, exec, s[48:49]
.LBB6_12203:                            ;   in Loop: Header=BB6_10813 Depth=3
	s_or_b64 exec, exec, s[38:39]
.LBB6_12204:                            ;   in Loop: Header=BB6_10813 Depth=3
	s_or_b64 exec, exec, s[40:41]
	v_max_f32_e32 v0, v3, v3
	v_max_f32_e32 v1, v1, v1
	v_min_f32_e32 v1, v1, v0
.LBB6_12205:                            ;   in Loop: Header=BB6_10813 Depth=3
	v_and_b32_e32 v52, 0x7f800000, v1
	v_cmp_ne_u64_e32 vcc, s[76:77], v[52:53]
	buffer_store_dword v37, off, s[0:3], s33 offset:168 ; 4-byte Folded Spill
                                        ; implicit-def: $vgpr26
	s_and_saveexec_b64 s[40:41], vcc
	s_xor_b64 s[38:39], exec, s[40:41]
	s_cbranch_execz .LBB6_12219
; %bb.12206:                            ;   in Loop: Header=BB6_10813 Depth=3
	v_and_b32_e32 v52, 0x7fffffff, v1
	v_cmp_gt_u64_e32 vcc, s[78:79], v[52:53]
	v_and_b32_sdwa v3, v1, s82 dst_sel:DWORD dst_unused:UNUSED_PAD src0_sel:BYTE_3 src1_sel:DWORD
                                        ; implicit-def: $vgpr26
	s_and_saveexec_b64 s[40:41], vcc
	s_xor_b64 s[48:49], exec, s[40:41]
	s_cbranch_execz .LBB6_12216
; %bb.12207:                            ;   in Loop: Header=BB6_10813 Depth=3
	v_mov_b32_e32 v26, 0
	v_cmp_ne_u32_e32 vcc, 0, v1
	s_and_saveexec_b64 s[50:51], vcc
	s_cbranch_execz .LBB6_12215
; %bb.12208:                            ;   in Loop: Header=BB6_10813 Depth=3
	v_bfe_u32 v24, v1, 23, 8
	v_and_b32_e32 v0, 0x7fffff, v1
	v_cmp_gt_u32_e64 s[40:41], s85, v24
	v_sub_u32_e32 v1, 0x79, v24
	v_cmp_eq_u32_e32 vcc, 0, v24
	v_cndmask_b32_e64 v1, 0, v1, s[40:41]
	v_mov_b32_e32 v25, 0x78
	v_or_b32_e32 v2, 0x800000, v0
	v_cndmask_b32_e32 v25, v1, v25, vcc
	v_cndmask_b32_e32 v52, v2, v0, vcc
	v_add_u32_e32 v0, 20, v25
	v_lshlrev_b64 v[0:1], v0, -1
	v_add_u32_e32 v2, 19, v25
	v_lshlrev_b64 v[26:27], v2, 1
	v_bfi_b32 v1, v1, 0, 0
	v_bfi_b32 v0, v0, 0, v52
	v_cmp_eq_u64_e64 s[40:41], v[0:1], v[26:27]
	v_lshrrev_b64 v[0:1], v25, v[52:53]
	v_mov_b32_e32 v2, v1
	v_mov_b32_e32 v1, v0
	s_and_saveexec_b64 s[52:53], s[40:41]
; %bb.12209:                            ;   in Loop: Header=BB6_10813 Depth=3
	v_bfe_u32 v1, v0, 20, 1
	v_add_co_u32_e64 v1, s[40:41], v0, v1
	v_add_co_u32_e64 v1, s[40:41], -1, v1
; %bb.12210:                            ;   in Loop: Header=BB6_10813 Depth=3
	s_or_b64 exec, exec, s[52:53]
	v_add_u32_e32 v2, 0xffffff81, v24
	v_mov_b32_e32 v24, 0xffffff82
	v_cndmask_b32_e32 v2, v2, v24, vcc
	v_lshrrev_b32_e32 v24, 23, v0
	v_add3_u32 v25, v25, v2, v24
	v_add_u32_e32 v24, 6, v25
	v_and_b32_e32 v1, 0xfffff, v1
	v_add_u32_e32 v52, v1, v0
	v_cmp_ne_u32_e32 vcc, 0, v24
                                        ; implicit-def: $vgpr0_vgpr1
                                        ; implicit-def: $vgpr2
	s_and_saveexec_b64 s[40:41], vcc
	s_xor_b64 s[40:41], exec, s[40:41]
; %bb.12211:                            ;   in Loop: Header=BB6_10813 Depth=3
	v_cmp_lt_u64_e32 vcc, s[88:89], v[52:53]
	v_add_u32_e32 v0, 7, v25
	v_cndmask_b32_e32 v2, v24, v0, vcc
	v_cndmask_b32_e64 v0, 0, 1, vcc
	v_lshrrev_b64 v[0:1], v0, v[52:53]
; %bb.12212:                            ;   in Loop: Header=BB6_10813 Depth=3
	s_andn2_saveexec_b64 s[40:41], s[40:41]
; %bb.12213:                            ;   in Loop: Header=BB6_10813 Depth=3
	v_mov_b32_e32 v0, v52
	v_bfe_u32 v2, v52, 23, 1
	v_mov_b32_e32 v1, v53
; %bb.12214:                            ;   in Loop: Header=BB6_10813 Depth=3
	s_or_b64 exec, exec, s[40:41]
	v_lshrrev_b64 v[0:1], 20, v[0:1]
	v_cmp_gt_i32_e32 vcc, 16, v2
	v_cndmask_b32_e32 v1, 0, v1, vcc
	v_cndmask_b32_e32 v0, 7, v0, vcc
	v_cmp_eq_u64_e64 s[40:41], 0, v[0:1]
	v_min_i32_e32 v1, 15, v2
	v_lshlrev_b32_e32 v1, 3, v1
	v_cmp_eq_u32_e32 vcc, 0, v2
	v_and_b32_e32 v1, 0xf8, v1
	v_and_or_b32 v0, v0, 7, v1
	s_and_b64 s[40:41], vcc, s[40:41]
	v_cndmask_b32_e64 v0, v0, 0, s[40:41]
	v_or_b32_e32 v26, v0, v3
.LBB6_12215:                            ;   in Loop: Header=BB6_10813 Depth=3
	s_or_b64 exec, exec, s[50:51]
                                        ; implicit-def: $vgpr3
.LBB6_12216:                            ;   in Loop: Header=BB6_10813 Depth=3
	s_andn2_saveexec_b64 s[40:41], s[48:49]
; %bb.12217:                            ;   in Loop: Header=BB6_10813 Depth=3
	v_or_b32_e32 v26, 0x7e, v3
; %bb.12218:                            ;   in Loop: Header=BB6_10813 Depth=3
	s_or_b64 exec, exec, s[40:41]
                                        ; implicit-def: $vgpr1
.LBB6_12219:                            ;   in Loop: Header=BB6_10813 Depth=3
	s_andn2_saveexec_b64 s[40:41], s[38:39]
; %bb.12220:                            ;   in Loop: Header=BB6_10813 Depth=3
	v_or_b32_sdwa v26, v1, s83 dst_sel:DWORD dst_unused:UNUSED_PAD src0_sel:BYTE_3 src1_sel:DWORD
; %bb.12221:                            ;   in Loop: Header=BB6_10813 Depth=3
	s_or_b64 exec, exec, s[40:41]
	v_cmp_ne_u16_sdwa s[40:41], v20, v53 src0_sel:BYTE_0 src1_sel:DWORD
	s_and_b64 vcc, exec, s[28:29]
	s_mov_b64 s[38:39], -1
                                        ; implicit-def: $vgpr0
	s_cbranch_vccnz .LBB6_12235
; %bb.12222:                            ;   in Loop: Header=BB6_10813 Depth=3
	v_mov_b32_e32 v1, 0
	v_mov_b32_e32 v0, 0
	s_and_saveexec_b64 s[38:39], s[40:41]
	s_cbranch_execz .LBB6_12228
; %bb.12223:                            ;   in Loop: Header=BB6_10813 Depth=3
	v_cmp_ne_u16_sdwa vcc, v20, s82 src0_sel:BYTE_0 src1_sel:DWORD
	v_bfrev_b32_e32 v0, 1
	s_and_saveexec_b64 s[48:49], vcc
	s_cbranch_execz .LBB6_12227
; %bb.12224:                            ;   in Loop: Header=BB6_10813 Depth=3
	v_and_b32_e32 v2, 0x7f, v20
	v_cmp_ne_u32_e32 vcc, s83, v2
	v_mov_b32_e32 v0, 0x7f800001
	s_and_saveexec_b64 s[50:51], vcc
	s_cbranch_execz .LBB6_12226
; %bb.12225:                            ;   in Loop: Header=BB6_10813 Depth=3
	v_and_b32_e32 v0, 7, v20
	v_ffbh_u32_e32 v0, v0
	v_min_u32_e32 v0, 32, v0
	v_lshrrev_b32_e32 v3, 3, v2
	v_cmp_gt_u32_e32 vcc, 8, v2
	v_subrev_u32_e32 v2, 28, v0
	v_sub_u32_e32 v0, 29, v0
	v_cndmask_b32_e32 v2, 0, v2, vcc
	v_cndmask_b32_e32 v0, v3, v0, vcc
	v_lshlrev_b64 v[2:3], v2, v[20:21]
	v_lshlrev_b32_e32 v3, 24, v20
	v_lshlrev_b32_e32 v2, 20, v2
	v_bfrev_b32_e32 v24, 60
	v_and_b32_e32 v2, 0x700000, v2
	v_and_b32_e32 v3, 0x80000000, v3
	v_lshl_add_u32 v0, v0, 23, v24
	v_or3_b32 v0, v3, v0, v2
.LBB6_12226:                            ;   in Loop: Header=BB6_10813 Depth=3
	s_or_b64 exec, exec, s[50:51]
.LBB6_12227:                            ;   in Loop: Header=BB6_10813 Depth=3
	s_or_b64 exec, exec, s[48:49]
.LBB6_12228:                            ;   in Loop: Header=BB6_10813 Depth=3
	s_or_b64 exec, exec, s[38:39]
	s_waitcnt vmcnt(15)
	v_cmp_ne_u16_sdwa vcc, v16, v53 src0_sel:BYTE_0 src1_sel:DWORD
	s_and_saveexec_b64 s[38:39], vcc
	s_cbranch_execz .LBB6_12234
; %bb.12229:                            ;   in Loop: Header=BB6_10813 Depth=3
	v_cmp_ne_u16_sdwa vcc, v16, s82 src0_sel:BYTE_0 src1_sel:DWORD
	v_bfrev_b32_e32 v1, 1
	s_and_saveexec_b64 s[48:49], vcc
	s_cbranch_execz .LBB6_12233
; %bb.12230:                            ;   in Loop: Header=BB6_10813 Depth=3
	v_and_b32_e32 v2, 0x7f, v16
	v_cmp_ne_u32_e32 vcc, s83, v2
	v_mov_b32_e32 v1, 0x7f800001
	s_and_saveexec_b64 s[50:51], vcc
	s_cbranch_execz .LBB6_12232
; %bb.12231:                            ;   in Loop: Header=BB6_10813 Depth=3
	v_and_b32_e32 v1, 7, v16
	v_ffbh_u32_e32 v1, v1
	v_min_u32_e32 v1, 32, v1
	v_lshrrev_b32_e32 v3, 3, v2
	v_cmp_gt_u32_e32 vcc, 8, v2
	v_subrev_u32_e32 v2, 28, v1
	v_sub_u32_e32 v1, 29, v1
	v_cndmask_b32_e32 v3, v3, v1, vcc
	v_cndmask_b32_e32 v1, 0, v2, vcc
	v_lshlrev_b64 v[1:2], v1, v[16:17]
	v_lshlrev_b32_e32 v2, 24, v16
	v_lshlrev_b32_e32 v1, 20, v1
	v_bfrev_b32_e32 v24, 60
	v_and_b32_e32 v1, 0x700000, v1
	v_and_b32_e32 v2, 0x80000000, v2
	v_lshl_add_u32 v3, v3, 23, v24
	v_or3_b32 v1, v2, v3, v1
.LBB6_12232:                            ;   in Loop: Header=BB6_10813 Depth=3
	s_or_b64 exec, exec, s[50:51]
.LBB6_12233:                            ;   in Loop: Header=BB6_10813 Depth=3
	s_or_b64 exec, exec, s[48:49]
.LBB6_12234:                            ;   in Loop: Header=BB6_10813 Depth=3
	s_or_b64 exec, exec, s[38:39]
	v_max_f32_e32 v1, v1, v1
	v_max_f32_e32 v0, v0, v0
	;; [unrolled: 1-line block ×3, first 2 shown]
	s_mov_b64 s[38:39], 0
.LBB6_12235:                            ;   in Loop: Header=BB6_10813 Depth=3
	s_and_b64 vcc, exec, s[38:39]
	s_cbranch_vccz .LBB6_12249
; %bb.12236:                            ;   in Loop: Header=BB6_10813 Depth=3
	v_mov_b32_e32 v1, 0
	v_mov_b32_e32 v0, 0
	s_and_saveexec_b64 s[38:39], s[40:41]
	s_cbranch_execz .LBB6_12242
; %bb.12237:                            ;   in Loop: Header=BB6_10813 Depth=3
	v_cmp_ne_u16_sdwa vcc, v20, s82 src0_sel:BYTE_0 src1_sel:DWORD
	v_bfrev_b32_e32 v0, 1
	s_and_saveexec_b64 s[40:41], vcc
	s_cbranch_execz .LBB6_12241
; %bb.12238:                            ;   in Loop: Header=BB6_10813 Depth=3
	v_and_b32_e32 v2, 0x7f, v20
	v_cmp_ne_u32_e32 vcc, s83, v2
	v_mov_b32_e32 v0, 0x7f800001
	s_and_saveexec_b64 s[48:49], vcc
	s_cbranch_execz .LBB6_12240
; %bb.12239:                            ;   in Loop: Header=BB6_10813 Depth=3
	v_and_b32_e32 v0, 7, v20
	v_ffbh_u32_e32 v0, v0
	v_min_u32_e32 v0, 32, v0
	v_lshrrev_b32_e32 v3, 3, v2
	v_cmp_gt_u32_e32 vcc, 8, v2
	v_subrev_u32_e32 v2, 28, v0
	v_sub_u32_e32 v0, 29, v0
	v_cndmask_b32_e32 v2, 0, v2, vcc
	v_cndmask_b32_e32 v0, v3, v0, vcc
	v_lshlrev_b64 v[2:3], v2, v[20:21]
	v_lshlrev_b32_e32 v3, 24, v20
	v_lshlrev_b32_e32 v2, 20, v2
	v_bfrev_b32_e32 v24, 60
	v_and_b32_e32 v2, 0x700000, v2
	v_and_b32_e32 v3, 0x80000000, v3
	v_lshl_add_u32 v0, v0, 23, v24
	v_or3_b32 v0, v3, v0, v2
.LBB6_12240:                            ;   in Loop: Header=BB6_10813 Depth=3
	s_or_b64 exec, exec, s[48:49]
.LBB6_12241:                            ;   in Loop: Header=BB6_10813 Depth=3
	s_or_b64 exec, exec, s[40:41]
.LBB6_12242:                            ;   in Loop: Header=BB6_10813 Depth=3
	s_or_b64 exec, exec, s[38:39]
	s_waitcnt vmcnt(15)
	v_cmp_ne_u16_sdwa vcc, v16, v53 src0_sel:BYTE_0 src1_sel:DWORD
	s_and_saveexec_b64 s[40:41], vcc
	s_cbranch_execz .LBB6_12248
; %bb.12243:                            ;   in Loop: Header=BB6_10813 Depth=3
	v_cmp_ne_u16_sdwa vcc, v16, s82 src0_sel:BYTE_0 src1_sel:DWORD
	v_bfrev_b32_e32 v1, 1
	s_and_saveexec_b64 s[38:39], vcc
	s_cbranch_execz .LBB6_12247
; %bb.12244:                            ;   in Loop: Header=BB6_10813 Depth=3
	v_and_b32_e32 v2, 0x7f, v16
	v_cmp_ne_u32_e32 vcc, s83, v2
	v_mov_b32_e32 v1, 0x7f800001
	s_and_saveexec_b64 s[48:49], vcc
	s_cbranch_execz .LBB6_12246
; %bb.12245:                            ;   in Loop: Header=BB6_10813 Depth=3
	v_and_b32_e32 v1, 7, v16
	v_ffbh_u32_e32 v1, v1
	v_min_u32_e32 v1, 32, v1
	v_lshrrev_b32_e32 v3, 3, v2
	v_cmp_gt_u32_e32 vcc, 8, v2
	v_subrev_u32_e32 v2, 28, v1
	v_sub_u32_e32 v1, 29, v1
	v_cndmask_b32_e32 v3, v3, v1, vcc
	v_cndmask_b32_e32 v1, 0, v2, vcc
	v_lshlrev_b64 v[1:2], v1, v[16:17]
	v_lshlrev_b32_e32 v2, 24, v16
	v_lshlrev_b32_e32 v1, 20, v1
	v_bfrev_b32_e32 v24, 60
	v_and_b32_e32 v1, 0x700000, v1
	v_and_b32_e32 v2, 0x80000000, v2
	v_lshl_add_u32 v3, v3, 23, v24
	v_or3_b32 v1, v2, v3, v1
.LBB6_12246:                            ;   in Loop: Header=BB6_10813 Depth=3
	s_or_b64 exec, exec, s[48:49]
.LBB6_12247:                            ;   in Loop: Header=BB6_10813 Depth=3
	s_or_b64 exec, exec, s[38:39]
.LBB6_12248:                            ;   in Loop: Header=BB6_10813 Depth=3
	s_or_b64 exec, exec, s[40:41]
	v_max_f32_e32 v1, v1, v1
	v_max_f32_e32 v0, v0, v0
	v_min_f32_e32 v0, v0, v1
.LBB6_12249:                            ;   in Loop: Header=BB6_10813 Depth=3
	v_and_b32_e32 v52, 0x7f800000, v0
	v_cmp_ne_u64_e32 vcc, s[76:77], v[52:53]
                                        ; implicit-def: $vgpr27
	s_and_saveexec_b64 s[40:41], vcc
	s_xor_b64 s[38:39], exec, s[40:41]
	s_cbranch_execz .LBB6_12263
; %bb.12250:                            ;   in Loop: Header=BB6_10813 Depth=3
	v_and_b32_e32 v52, 0x7fffffff, v0
	v_cmp_gt_u64_e32 vcc, s[78:79], v[52:53]
	v_and_b32_sdwa v3, v0, s82 dst_sel:DWORD dst_unused:UNUSED_PAD src0_sel:BYTE_3 src1_sel:DWORD
                                        ; implicit-def: $vgpr27
	s_and_saveexec_b64 s[40:41], vcc
	s_xor_b64 s[48:49], exec, s[40:41]
	s_cbranch_execz .LBB6_12260
; %bb.12251:                            ;   in Loop: Header=BB6_10813 Depth=3
	v_mov_b32_e32 v27, 0
	v_cmp_ne_u32_e32 vcc, 0, v0
	s_and_saveexec_b64 s[50:51], vcc
	s_cbranch_execz .LBB6_12259
; %bb.12252:                            ;   in Loop: Header=BB6_10813 Depth=3
	v_bfe_u32 v24, v0, 23, 8
	v_and_b32_e32 v1, 0x7fffff, v0
	v_cmp_gt_u32_e64 s[40:41], s85, v24
	v_sub_u32_e32 v0, 0x79, v24
	v_cmp_eq_u32_e32 vcc, 0, v24
	v_cndmask_b32_e64 v0, 0, v0, s[40:41]
	v_mov_b32_e32 v25, 0x78
	v_cndmask_b32_e32 v25, v0, v25, vcc
	v_or_b32_e32 v2, 0x800000, v1
	v_add_u32_e32 v0, 20, v25
	v_cndmask_b32_e32 v52, v2, v1, vcc
	v_lshlrev_b64 v[0:1], v0, -1
	v_add_u32_e32 v2, 19, v25
	v_lshlrev_b64 v[34:35], v2, 1
	v_bfi_b32 v1, v1, 0, 0
	v_bfi_b32 v0, v0, 0, v52
	v_cmp_eq_u64_e64 s[40:41], v[0:1], v[34:35]
	v_lshrrev_b64 v[0:1], v25, v[52:53]
	v_mov_b32_e32 v2, v1
	v_mov_b32_e32 v1, v0
	s_and_saveexec_b64 s[52:53], s[40:41]
; %bb.12253:                            ;   in Loop: Header=BB6_10813 Depth=3
	v_bfe_u32 v1, v0, 20, 1
	v_add_co_u32_e64 v1, s[40:41], v0, v1
	v_add_co_u32_e64 v1, s[40:41], -1, v1
; %bb.12254:                            ;   in Loop: Header=BB6_10813 Depth=3
	s_or_b64 exec, exec, s[52:53]
	v_add_u32_e32 v2, 0xffffff81, v24
	v_mov_b32_e32 v24, 0xffffff82
	v_cndmask_b32_e32 v2, v2, v24, vcc
	v_lshrrev_b32_e32 v24, 23, v0
	v_add3_u32 v25, v25, v2, v24
	v_add_u32_e32 v24, 6, v25
	v_and_b32_e32 v1, 0xfffff, v1
	v_add_u32_e32 v52, v1, v0
	v_cmp_ne_u32_e32 vcc, 0, v24
                                        ; implicit-def: $vgpr0_vgpr1
                                        ; implicit-def: $vgpr2
	s_and_saveexec_b64 s[40:41], vcc
	s_xor_b64 s[40:41], exec, s[40:41]
; %bb.12255:                            ;   in Loop: Header=BB6_10813 Depth=3
	v_cmp_lt_u64_e32 vcc, s[88:89], v[52:53]
	v_add_u32_e32 v0, 7, v25
	v_cndmask_b32_e32 v2, v24, v0, vcc
	v_cndmask_b32_e64 v0, 0, 1, vcc
	v_lshrrev_b64 v[0:1], v0, v[52:53]
; %bb.12256:                            ;   in Loop: Header=BB6_10813 Depth=3
	s_andn2_saveexec_b64 s[40:41], s[40:41]
; %bb.12257:                            ;   in Loop: Header=BB6_10813 Depth=3
	v_mov_b32_e32 v0, v52
	v_bfe_u32 v2, v52, 23, 1
	v_mov_b32_e32 v1, v53
; %bb.12258:                            ;   in Loop: Header=BB6_10813 Depth=3
	s_or_b64 exec, exec, s[40:41]
	v_lshrrev_b64 v[0:1], 20, v[0:1]
	v_cmp_gt_i32_e32 vcc, 16, v2
	v_cndmask_b32_e32 v1, 0, v1, vcc
	v_cndmask_b32_e32 v0, 7, v0, vcc
	v_cmp_eq_u64_e64 s[40:41], 0, v[0:1]
	v_min_i32_e32 v1, 15, v2
	v_lshlrev_b32_e32 v1, 3, v1
	v_cmp_eq_u32_e32 vcc, 0, v2
	v_and_b32_e32 v1, 0xf8, v1
	v_and_or_b32 v0, v0, 7, v1
	s_and_b64 s[40:41], vcc, s[40:41]
	v_cndmask_b32_e64 v0, v0, 0, s[40:41]
	v_or_b32_e32 v27, v0, v3
.LBB6_12259:                            ;   in Loop: Header=BB6_10813 Depth=3
	s_or_b64 exec, exec, s[50:51]
                                        ; implicit-def: $vgpr3
.LBB6_12260:                            ;   in Loop: Header=BB6_10813 Depth=3
	s_andn2_saveexec_b64 s[40:41], s[48:49]
; %bb.12261:                            ;   in Loop: Header=BB6_10813 Depth=3
	v_or_b32_e32 v27, 0x7e, v3
; %bb.12262:                            ;   in Loop: Header=BB6_10813 Depth=3
	s_or_b64 exec, exec, s[40:41]
                                        ; implicit-def: $vgpr0
.LBB6_12263:                            ;   in Loop: Header=BB6_10813 Depth=3
	s_andn2_saveexec_b64 s[40:41], s[38:39]
; %bb.12264:                            ;   in Loop: Header=BB6_10813 Depth=3
	v_or_b32_sdwa v27, v0, s83 dst_sel:DWORD dst_unused:UNUSED_PAD src0_sel:BYTE_3 src1_sel:DWORD
; %bb.12265:                            ;   in Loop: Header=BB6_10813 Depth=3
	s_or_b64 exec, exec, s[40:41]
	v_lshrrev_b16_e32 v2, 8, v20
	s_waitcnt vmcnt(15)
	v_lshrrev_b16_e32 v0, 8, v16
	v_cmp_ne_u16_e64 s[40:41], 0, v2
	s_and_b64 vcc, exec, s[28:29]
	s_mov_b64 s[38:39], -1
                                        ; implicit-def: $vgpr1
	s_cbranch_vccnz .LBB6_12279
; %bb.12266:                            ;   in Loop: Header=BB6_10813 Depth=3
	v_mov_b32_e32 v3, 0
	v_mov_b32_e32 v1, 0
	s_and_saveexec_b64 s[38:39], s[40:41]
	s_cbranch_execz .LBB6_12272
; %bb.12267:                            ;   in Loop: Header=BB6_10813 Depth=3
	v_cmp_ne_u16_e32 vcc, s82, v2
	v_bfrev_b32_e32 v1, 1
	s_and_saveexec_b64 s[48:49], vcc
	s_cbranch_execz .LBB6_12271
; %bb.12268:                            ;   in Loop: Header=BB6_10813 Depth=3
	v_and_b32_e32 v24, 0x7f, v2
	v_cmp_ne_u32_e32 vcc, s83, v24
	v_mov_b32_e32 v1, 0x7f800001
	s_and_saveexec_b64 s[50:51], vcc
	s_cbranch_execz .LBB6_12270
; %bb.12269:                            ;   in Loop: Header=BB6_10813 Depth=3
	v_and_b32_e32 v1, 7, v2
	v_lshrrev_b32_e32 v34, 3, v24
	v_cmp_gt_u32_e32 vcc, 8, v24
	v_ffbh_u32_e32 v24, v1
	v_min_u32_e32 v35, 32, v24
	v_subrev_u32_e32 v24, 28, v35
	v_lshlrev_b64 v[24:25], v24, v[2:3]
	v_sub_u32_e32 v25, 29, v35
	v_and_b32_e32 v24, 7, v24
	v_cndmask_b32_e32 v25, v34, v25, vcc
	v_cndmask_b32_e32 v1, v1, v24, vcc
	v_lshlrev_b32_e32 v24, 16, v20
	v_bfrev_b32_e32 v34, 60
	v_lshlrev_b32_e32 v1, 20, v1
	v_and_b32_e32 v24, 0x80000000, v24
	v_lshl_add_u32 v25, v25, 23, v34
	v_or3_b32 v1, v24, v25, v1
.LBB6_12270:                            ;   in Loop: Header=BB6_10813 Depth=3
	s_or_b64 exec, exec, s[50:51]
.LBB6_12271:                            ;   in Loop: Header=BB6_10813 Depth=3
	s_or_b64 exec, exec, s[48:49]
.LBB6_12272:                            ;   in Loop: Header=BB6_10813 Depth=3
	s_or_b64 exec, exec, s[38:39]
	v_cmp_ne_u16_e32 vcc, 0, v0
	s_and_saveexec_b64 s[38:39], vcc
	s_cbranch_execz .LBB6_12278
; %bb.12273:                            ;   in Loop: Header=BB6_10813 Depth=3
	v_cmp_ne_u16_e32 vcc, s82, v0
	v_bfrev_b32_e32 v3, 1
	s_and_saveexec_b64 s[48:49], vcc
	s_cbranch_execz .LBB6_12277
; %bb.12274:                            ;   in Loop: Header=BB6_10813 Depth=3
	v_and_b32_e32 v24, 0x7f, v0
	v_cmp_ne_u32_e32 vcc, s83, v24
	v_mov_b32_e32 v3, 0x7f800001
	s_and_saveexec_b64 s[50:51], vcc
	s_cbranch_execz .LBB6_12276
; %bb.12275:                            ;   in Loop: Header=BB6_10813 Depth=3
	v_and_b32_e32 v3, 7, v0
	v_lshrrev_b32_e32 v34, 3, v24
	v_cmp_gt_u32_e32 vcc, 8, v24
	v_ffbh_u32_e32 v24, v3
	v_min_u32_e32 v35, 32, v24
	v_subrev_u32_e32 v24, 28, v35
	v_lshlrev_b64 v[24:25], v24, v[0:1]
	v_sub_u32_e32 v25, 29, v35
	v_and_b32_e32 v24, 7, v24
	v_cndmask_b32_e32 v25, v34, v25, vcc
	v_cndmask_b32_e32 v3, v3, v24, vcc
	v_lshlrev_b32_e32 v24, 16, v16
	v_bfrev_b32_e32 v34, 60
	v_lshlrev_b32_e32 v3, 20, v3
	v_and_b32_e32 v24, 0x80000000, v24
	v_lshl_add_u32 v25, v25, 23, v34
	v_or3_b32 v3, v24, v25, v3
.LBB6_12276:                            ;   in Loop: Header=BB6_10813 Depth=3
	s_or_b64 exec, exec, s[50:51]
.LBB6_12277:                            ;   in Loop: Header=BB6_10813 Depth=3
	s_or_b64 exec, exec, s[48:49]
.LBB6_12278:                            ;   in Loop: Header=BB6_10813 Depth=3
	s_or_b64 exec, exec, s[38:39]
	v_max_f32_e32 v3, v3, v3
	v_max_f32_e32 v1, v1, v1
	;; [unrolled: 1-line block ×3, first 2 shown]
	s_mov_b64 s[38:39], 0
.LBB6_12279:                            ;   in Loop: Header=BB6_10813 Depth=3
	s_and_b64 vcc, exec, s[38:39]
	s_cbranch_vccz .LBB6_12293
; %bb.12280:                            ;   in Loop: Header=BB6_10813 Depth=3
	v_mov_b32_e32 v3, 0
	v_mov_b32_e32 v1, 0
	s_and_saveexec_b64 s[38:39], s[40:41]
	s_cbranch_execz .LBB6_12286
; %bb.12281:                            ;   in Loop: Header=BB6_10813 Depth=3
	v_cmp_ne_u16_e32 vcc, s82, v2
	v_bfrev_b32_e32 v1, 1
	s_and_saveexec_b64 s[40:41], vcc
	s_cbranch_execz .LBB6_12285
; %bb.12282:                            ;   in Loop: Header=BB6_10813 Depth=3
	v_and_b32_e32 v24, 0x7f, v2
	v_cmp_ne_u32_e32 vcc, s83, v24
	v_mov_b32_e32 v1, 0x7f800001
	s_and_saveexec_b64 s[48:49], vcc
	s_cbranch_execz .LBB6_12284
; %bb.12283:                            ;   in Loop: Header=BB6_10813 Depth=3
	v_and_b32_e32 v25, 7, v2
	v_ffbh_u32_e32 v1, v25
	v_lshrrev_b32_e32 v34, 3, v24
	v_cmp_gt_u32_e32 vcc, 8, v24
	v_min_u32_e32 v24, 32, v1
	v_subrev_u32_e32 v1, 28, v24
	v_lshlrev_b64 v[1:2], v1, v[2:3]
	v_sub_u32_e32 v2, 29, v24
	v_and_b32_e32 v1, 7, v1
	v_cndmask_b32_e32 v2, v34, v2, vcc
	v_cndmask_b32_e32 v1, v25, v1, vcc
	v_lshlrev_b32_e32 v24, 16, v20
	v_bfrev_b32_e32 v25, 60
	v_lshlrev_b32_e32 v1, 20, v1
	v_and_b32_e32 v24, 0x80000000, v24
	v_lshl_add_u32 v2, v2, 23, v25
	v_or3_b32 v1, v24, v2, v1
.LBB6_12284:                            ;   in Loop: Header=BB6_10813 Depth=3
	s_or_b64 exec, exec, s[48:49]
.LBB6_12285:                            ;   in Loop: Header=BB6_10813 Depth=3
	s_or_b64 exec, exec, s[40:41]
.LBB6_12286:                            ;   in Loop: Header=BB6_10813 Depth=3
	s_or_b64 exec, exec, s[38:39]
	v_cmp_ne_u16_e32 vcc, 0, v0
	s_and_saveexec_b64 s[40:41], vcc
	s_cbranch_execz .LBB6_12292
; %bb.12287:                            ;   in Loop: Header=BB6_10813 Depth=3
	v_cmp_ne_u16_e32 vcc, s82, v0
	v_bfrev_b32_e32 v3, 1
	s_and_saveexec_b64 s[38:39], vcc
	s_cbranch_execz .LBB6_12291
; %bb.12288:                            ;   in Loop: Header=BB6_10813 Depth=3
	v_and_b32_e32 v2, 0x7f, v0
	v_cmp_ne_u32_e32 vcc, s83, v2
	v_mov_b32_e32 v3, 0x7f800001
	s_and_saveexec_b64 s[48:49], vcc
	s_cbranch_execz .LBB6_12290
; %bb.12289:                            ;   in Loop: Header=BB6_10813 Depth=3
	v_and_b32_e32 v24, 7, v0
	v_lshrrev_b32_e32 v25, 3, v2
	v_cmp_gt_u32_e32 vcc, 8, v2
	v_ffbh_u32_e32 v2, v24
	v_min_u32_e32 v34, 32, v2
	v_subrev_u32_e32 v2, 28, v34
	v_lshlrev_b64 v[2:3], v2, v[0:1]
	v_sub_u32_e32 v0, 29, v34
	v_and_b32_e32 v2, 7, v2
	v_cndmask_b32_e32 v0, v25, v0, vcc
	v_cndmask_b32_e32 v2, v24, v2, vcc
	v_lshlrev_b32_e32 v3, 16, v16
	v_bfrev_b32_e32 v24, 60
	v_lshlrev_b32_e32 v2, 20, v2
	v_and_b32_e32 v3, 0x80000000, v3
	v_lshl_add_u32 v0, v0, 23, v24
	v_or3_b32 v3, v3, v0, v2
.LBB6_12290:                            ;   in Loop: Header=BB6_10813 Depth=3
	s_or_b64 exec, exec, s[48:49]
.LBB6_12291:                            ;   in Loop: Header=BB6_10813 Depth=3
	s_or_b64 exec, exec, s[38:39]
.LBB6_12292:                            ;   in Loop: Header=BB6_10813 Depth=3
	s_or_b64 exec, exec, s[40:41]
	v_max_f32_e32 v0, v3, v3
	v_max_f32_e32 v1, v1, v1
	v_min_f32_e32 v1, v1, v0
.LBB6_12293:                            ;   in Loop: Header=BB6_10813 Depth=3
	v_and_b32_e32 v52, 0x7f800000, v1
	v_cmp_ne_u64_e32 vcc, s[76:77], v[52:53]
                                        ; implicit-def: $vgpr34
	s_and_saveexec_b64 s[40:41], vcc
	s_xor_b64 s[38:39], exec, s[40:41]
	s_cbranch_execz .LBB6_12307
; %bb.12294:                            ;   in Loop: Header=BB6_10813 Depth=3
	v_and_b32_e32 v52, 0x7fffffff, v1
	v_cmp_gt_u64_e32 vcc, s[78:79], v[52:53]
	v_and_b32_sdwa v3, v1, s82 dst_sel:DWORD dst_unused:UNUSED_PAD src0_sel:BYTE_3 src1_sel:DWORD
                                        ; implicit-def: $vgpr34
	s_and_saveexec_b64 s[40:41], vcc
	s_xor_b64 s[48:49], exec, s[40:41]
	s_cbranch_execz .LBB6_12304
; %bb.12295:                            ;   in Loop: Header=BB6_10813 Depth=3
	v_mov_b32_e32 v34, 0
	v_cmp_ne_u32_e32 vcc, 0, v1
	s_and_saveexec_b64 s[50:51], vcc
	s_cbranch_execz .LBB6_12303
; %bb.12296:                            ;   in Loop: Header=BB6_10813 Depth=3
	v_bfe_u32 v24, v1, 23, 8
	v_and_b32_e32 v0, 0x7fffff, v1
	v_cmp_gt_u32_e64 s[40:41], s85, v24
	v_sub_u32_e32 v1, 0x79, v24
	v_cmp_eq_u32_e32 vcc, 0, v24
	v_cndmask_b32_e64 v1, 0, v1, s[40:41]
	v_mov_b32_e32 v25, 0x78
	v_or_b32_e32 v2, 0x800000, v0
	v_cndmask_b32_e32 v25, v1, v25, vcc
	v_cndmask_b32_e32 v52, v2, v0, vcc
	v_add_u32_e32 v0, 20, v25
	v_lshlrev_b64 v[0:1], v0, -1
	v_add_u32_e32 v2, 19, v25
	v_lshlrev_b64 v[34:35], v2, 1
	v_bfi_b32 v1, v1, 0, 0
	v_bfi_b32 v0, v0, 0, v52
	v_cmp_eq_u64_e64 s[40:41], v[0:1], v[34:35]
	v_lshrrev_b64 v[0:1], v25, v[52:53]
	v_mov_b32_e32 v2, v1
	v_mov_b32_e32 v1, v0
	s_and_saveexec_b64 s[52:53], s[40:41]
; %bb.12297:                            ;   in Loop: Header=BB6_10813 Depth=3
	v_bfe_u32 v1, v0, 20, 1
	v_add_co_u32_e64 v1, s[40:41], v0, v1
	v_add_co_u32_e64 v1, s[40:41], -1, v1
; %bb.12298:                            ;   in Loop: Header=BB6_10813 Depth=3
	s_or_b64 exec, exec, s[52:53]
	v_add_u32_e32 v2, 0xffffff81, v24
	v_mov_b32_e32 v24, 0xffffff82
	v_cndmask_b32_e32 v2, v2, v24, vcc
	v_lshrrev_b32_e32 v24, 23, v0
	v_add3_u32 v25, v25, v2, v24
	v_add_u32_e32 v24, 6, v25
	v_and_b32_e32 v1, 0xfffff, v1
	v_add_u32_e32 v52, v1, v0
	v_cmp_ne_u32_e32 vcc, 0, v24
                                        ; implicit-def: $vgpr0_vgpr1
                                        ; implicit-def: $vgpr2
	s_and_saveexec_b64 s[40:41], vcc
	s_xor_b64 s[40:41], exec, s[40:41]
; %bb.12299:                            ;   in Loop: Header=BB6_10813 Depth=3
	v_cmp_lt_u64_e32 vcc, s[88:89], v[52:53]
	v_add_u32_e32 v0, 7, v25
	v_cndmask_b32_e32 v2, v24, v0, vcc
	v_cndmask_b32_e64 v0, 0, 1, vcc
	v_lshrrev_b64 v[0:1], v0, v[52:53]
; %bb.12300:                            ;   in Loop: Header=BB6_10813 Depth=3
	s_andn2_saveexec_b64 s[40:41], s[40:41]
; %bb.12301:                            ;   in Loop: Header=BB6_10813 Depth=3
	v_mov_b32_e32 v0, v52
	v_bfe_u32 v2, v52, 23, 1
	v_mov_b32_e32 v1, v53
; %bb.12302:                            ;   in Loop: Header=BB6_10813 Depth=3
	s_or_b64 exec, exec, s[40:41]
	v_lshrrev_b64 v[0:1], 20, v[0:1]
	v_cmp_gt_i32_e32 vcc, 16, v2
	v_cndmask_b32_e32 v1, 0, v1, vcc
	v_cndmask_b32_e32 v0, 7, v0, vcc
	v_cmp_eq_u64_e64 s[40:41], 0, v[0:1]
	v_min_i32_e32 v1, 15, v2
	v_lshlrev_b32_e32 v1, 3, v1
	v_cmp_eq_u32_e32 vcc, 0, v2
	v_and_b32_e32 v1, 0xf8, v1
	v_and_or_b32 v0, v0, 7, v1
	s_and_b64 s[40:41], vcc, s[40:41]
	v_cndmask_b32_e64 v0, v0, 0, s[40:41]
	v_or_b32_e32 v34, v0, v3
.LBB6_12303:                            ;   in Loop: Header=BB6_10813 Depth=3
	s_or_b64 exec, exec, s[50:51]
                                        ; implicit-def: $vgpr3
.LBB6_12304:                            ;   in Loop: Header=BB6_10813 Depth=3
	s_andn2_saveexec_b64 s[40:41], s[48:49]
; %bb.12305:                            ;   in Loop: Header=BB6_10813 Depth=3
	v_or_b32_e32 v34, 0x7e, v3
; %bb.12306:                            ;   in Loop: Header=BB6_10813 Depth=3
	s_or_b64 exec, exec, s[40:41]
                                        ; implicit-def: $vgpr1
.LBB6_12307:                            ;   in Loop: Header=BB6_10813 Depth=3
	s_andn2_saveexec_b64 s[40:41], s[38:39]
; %bb.12308:                            ;   in Loop: Header=BB6_10813 Depth=3
	v_or_b32_sdwa v34, v1, s83 dst_sel:DWORD dst_unused:UNUSED_PAD src0_sel:BYTE_3 src1_sel:DWORD
; %bb.12309:                            ;   in Loop: Header=BB6_10813 Depth=3
	s_or_b64 exec, exec, s[40:41]
	v_lshrrev_b32_e32 v2, 16, v20
	v_lshrrev_b32_e32 v0, 16, v16
	v_cmp_ne_u16_sdwa s[40:41], v2, v53 src0_sel:BYTE_0 src1_sel:DWORD
	s_and_b64 vcc, exec, s[28:29]
	s_mov_b64 s[38:39], -1
                                        ; implicit-def: $vgpr1
	s_cbranch_vccnz .LBB6_12323
; %bb.12310:                            ;   in Loop: Header=BB6_10813 Depth=3
	v_mov_b32_e32 v3, 0
	v_mov_b32_e32 v1, 0
	s_and_saveexec_b64 s[38:39], s[40:41]
	s_cbranch_execz .LBB6_12316
; %bb.12311:                            ;   in Loop: Header=BB6_10813 Depth=3
	v_cmp_ne_u16_sdwa vcc, v2, s82 src0_sel:BYTE_0 src1_sel:DWORD
	v_bfrev_b32_e32 v1, 1
	s_and_saveexec_b64 s[48:49], vcc
	s_cbranch_execz .LBB6_12315
; %bb.12312:                            ;   in Loop: Header=BB6_10813 Depth=3
	v_bfe_u32 v24, v20, 16, 7
	v_cmp_ne_u32_e32 vcc, s83, v24
	v_mov_b32_e32 v1, 0x7f800001
	s_and_saveexec_b64 s[50:51], vcc
	s_cbranch_execz .LBB6_12314
; %bb.12313:                            ;   in Loop: Header=BB6_10813 Depth=3
	v_and_b32_e32 v1, 7, v2
	v_lshrrev_b32_e32 v35, 3, v24
	v_cmp_gt_u32_e32 vcc, 8, v24
	v_ffbh_u32_e32 v24, v1
	v_min_u32_e32 v36, 32, v24
	v_subrev_u32_e32 v24, 28, v36
	v_lshlrev_b64 v[24:25], v24, v[2:3]
	v_sub_u32_e32 v25, 29, v36
	v_and_b32_e32 v24, 7, v24
	v_cndmask_b32_e32 v25, v35, v25, vcc
	v_cndmask_b32_e32 v1, v1, v24, vcc
	v_lshlrev_b32_e32 v24, 24, v2
	v_bfrev_b32_e32 v35, 60
	v_lshlrev_b32_e32 v1, 20, v1
	v_and_b32_e32 v24, 0x80000000, v24
	v_lshl_add_u32 v25, v25, 23, v35
	v_or3_b32 v1, v24, v25, v1
.LBB6_12314:                            ;   in Loop: Header=BB6_10813 Depth=3
	s_or_b64 exec, exec, s[50:51]
.LBB6_12315:                            ;   in Loop: Header=BB6_10813 Depth=3
	s_or_b64 exec, exec, s[48:49]
.LBB6_12316:                            ;   in Loop: Header=BB6_10813 Depth=3
	s_or_b64 exec, exec, s[38:39]
	v_cmp_ne_u16_sdwa vcc, v0, v53 src0_sel:BYTE_0 src1_sel:DWORD
	s_and_saveexec_b64 s[38:39], vcc
	s_cbranch_execz .LBB6_12322
; %bb.12317:                            ;   in Loop: Header=BB6_10813 Depth=3
	v_cmp_ne_u16_sdwa vcc, v0, s82 src0_sel:BYTE_0 src1_sel:DWORD
	v_bfrev_b32_e32 v3, 1
	s_and_saveexec_b64 s[48:49], vcc
	s_cbranch_execz .LBB6_12321
; %bb.12318:                            ;   in Loop: Header=BB6_10813 Depth=3
	v_bfe_u32 v24, v16, 16, 7
	v_cmp_ne_u32_e32 vcc, s83, v24
	v_mov_b32_e32 v3, 0x7f800001
	s_and_saveexec_b64 s[50:51], vcc
	s_cbranch_execz .LBB6_12320
; %bb.12319:                            ;   in Loop: Header=BB6_10813 Depth=3
	v_and_b32_e32 v3, 7, v0
	v_lshrrev_b32_e32 v35, 3, v24
	v_cmp_gt_u32_e32 vcc, 8, v24
	v_ffbh_u32_e32 v24, v3
	v_min_u32_e32 v36, 32, v24
	v_subrev_u32_e32 v24, 28, v36
	v_lshlrev_b64 v[24:25], v24, v[0:1]
	v_sub_u32_e32 v25, 29, v36
	v_and_b32_e32 v24, 7, v24
	v_cndmask_b32_e32 v25, v35, v25, vcc
	v_cndmask_b32_e32 v3, v3, v24, vcc
	v_lshlrev_b32_e32 v24, 24, v0
	v_bfrev_b32_e32 v35, 60
	v_lshlrev_b32_e32 v3, 20, v3
	v_and_b32_e32 v24, 0x80000000, v24
	v_lshl_add_u32 v25, v25, 23, v35
	v_or3_b32 v3, v24, v25, v3
.LBB6_12320:                            ;   in Loop: Header=BB6_10813 Depth=3
	s_or_b64 exec, exec, s[50:51]
.LBB6_12321:                            ;   in Loop: Header=BB6_10813 Depth=3
	s_or_b64 exec, exec, s[48:49]
.LBB6_12322:                            ;   in Loop: Header=BB6_10813 Depth=3
	s_or_b64 exec, exec, s[38:39]
	v_max_f32_e32 v3, v3, v3
	v_max_f32_e32 v1, v1, v1
	;; [unrolled: 1-line block ×3, first 2 shown]
	s_mov_b64 s[38:39], 0
.LBB6_12323:                            ;   in Loop: Header=BB6_10813 Depth=3
	s_and_b64 vcc, exec, s[38:39]
	s_cbranch_vccz .LBB6_12337
; %bb.12324:                            ;   in Loop: Header=BB6_10813 Depth=3
	v_mov_b32_e32 v3, 0
	v_mov_b32_e32 v1, 0
	s_and_saveexec_b64 s[38:39], s[40:41]
	s_cbranch_execz .LBB6_12330
; %bb.12325:                            ;   in Loop: Header=BB6_10813 Depth=3
	v_cmp_ne_u16_sdwa vcc, v2, s82 src0_sel:BYTE_0 src1_sel:DWORD
	v_bfrev_b32_e32 v1, 1
	s_and_saveexec_b64 s[40:41], vcc
	s_cbranch_execz .LBB6_12329
; %bb.12326:                            ;   in Loop: Header=BB6_10813 Depth=3
	v_bfe_u32 v24, v20, 16, 7
	v_cmp_ne_u32_e32 vcc, s83, v24
	v_mov_b32_e32 v1, 0x7f800001
	s_and_saveexec_b64 s[48:49], vcc
	s_cbranch_execz .LBB6_12328
; %bb.12327:                            ;   in Loop: Header=BB6_10813 Depth=3
	v_and_b32_e32 v1, 7, v2
	v_lshrrev_b32_e32 v35, 3, v24
	v_cmp_gt_u32_e32 vcc, 8, v24
	v_ffbh_u32_e32 v24, v1
	v_min_u32_e32 v36, 32, v24
	v_subrev_u32_e32 v24, 28, v36
	v_lshlrev_b64 v[24:25], v24, v[2:3]
	v_sub_u32_e32 v25, 29, v36
	v_and_b32_e32 v24, 7, v24
	v_cndmask_b32_e32 v25, v35, v25, vcc
	v_cndmask_b32_e32 v1, v1, v24, vcc
	v_lshlrev_b32_e32 v2, 24, v2
	v_bfrev_b32_e32 v24, 60
	v_lshlrev_b32_e32 v1, 20, v1
	v_and_b32_e32 v2, 0x80000000, v2
	v_lshl_add_u32 v24, v25, 23, v24
	v_or3_b32 v1, v2, v24, v1
.LBB6_12328:                            ;   in Loop: Header=BB6_10813 Depth=3
	s_or_b64 exec, exec, s[48:49]
.LBB6_12329:                            ;   in Loop: Header=BB6_10813 Depth=3
	s_or_b64 exec, exec, s[40:41]
.LBB6_12330:                            ;   in Loop: Header=BB6_10813 Depth=3
	s_or_b64 exec, exec, s[38:39]
	v_cmp_ne_u16_sdwa vcc, v0, v53 src0_sel:BYTE_0 src1_sel:DWORD
	s_and_saveexec_b64 s[40:41], vcc
	s_cbranch_execz .LBB6_12336
; %bb.12331:                            ;   in Loop: Header=BB6_10813 Depth=3
	v_cmp_ne_u16_sdwa vcc, v0, s82 src0_sel:BYTE_0 src1_sel:DWORD
	v_bfrev_b32_e32 v3, 1
	s_and_saveexec_b64 s[38:39], vcc
	s_cbranch_execz .LBB6_12335
; %bb.12332:                            ;   in Loop: Header=BB6_10813 Depth=3
	v_bfe_u32 v2, v16, 16, 7
	v_cmp_ne_u32_e32 vcc, s83, v2
	v_mov_b32_e32 v3, 0x7f800001
	s_and_saveexec_b64 s[48:49], vcc
	s_cbranch_execz .LBB6_12334
; %bb.12333:                            ;   in Loop: Header=BB6_10813 Depth=3
	v_and_b32_e32 v24, 7, v0
	v_lshrrev_b32_e32 v25, 3, v2
	v_cmp_gt_u32_e32 vcc, 8, v2
	v_ffbh_u32_e32 v2, v24
	v_min_u32_e32 v35, 32, v2
	v_subrev_u32_e32 v2, 28, v35
	v_lshlrev_b64 v[2:3], v2, v[0:1]
	v_sub_u32_e32 v3, 29, v35
	v_and_b32_e32 v2, 7, v2
	v_cndmask_b32_e32 v3, v25, v3, vcc
	v_cndmask_b32_e32 v2, v24, v2, vcc
	v_lshlrev_b32_e32 v0, 24, v0
	v_bfrev_b32_e32 v24, 60
	v_lshlrev_b32_e32 v2, 20, v2
	v_and_b32_e32 v0, 0x80000000, v0
	v_lshl_add_u32 v3, v3, 23, v24
	v_or3_b32 v3, v0, v3, v2
.LBB6_12334:                            ;   in Loop: Header=BB6_10813 Depth=3
	s_or_b64 exec, exec, s[48:49]
.LBB6_12335:                            ;   in Loop: Header=BB6_10813 Depth=3
	s_or_b64 exec, exec, s[38:39]
.LBB6_12336:                            ;   in Loop: Header=BB6_10813 Depth=3
	s_or_b64 exec, exec, s[40:41]
	v_max_f32_e32 v0, v3, v3
	v_max_f32_e32 v1, v1, v1
	v_min_f32_e32 v1, v1, v0
.LBB6_12337:                            ;   in Loop: Header=BB6_10813 Depth=3
	v_and_b32_e32 v52, 0x7f800000, v1
	v_cmp_ne_u64_e32 vcc, s[76:77], v[52:53]
                                        ; implicit-def: $vgpr35
	s_and_saveexec_b64 s[40:41], vcc
	s_xor_b64 s[38:39], exec, s[40:41]
	s_cbranch_execz .LBB6_12351
; %bb.12338:                            ;   in Loop: Header=BB6_10813 Depth=3
	v_and_b32_e32 v52, 0x7fffffff, v1
	v_cmp_gt_u64_e32 vcc, s[78:79], v[52:53]
	v_and_b32_sdwa v3, v1, s82 dst_sel:DWORD dst_unused:UNUSED_PAD src0_sel:BYTE_3 src1_sel:DWORD
                                        ; implicit-def: $vgpr35
	s_and_saveexec_b64 s[40:41], vcc
	s_xor_b64 s[48:49], exec, s[40:41]
	s_cbranch_execz .LBB6_12348
; %bb.12339:                            ;   in Loop: Header=BB6_10813 Depth=3
	v_mov_b32_e32 v35, 0
	v_cmp_ne_u32_e32 vcc, 0, v1
	s_and_saveexec_b64 s[50:51], vcc
	s_cbranch_execz .LBB6_12347
; %bb.12340:                            ;   in Loop: Header=BB6_10813 Depth=3
	v_bfe_u32 v24, v1, 23, 8
	v_and_b32_e32 v0, 0x7fffff, v1
	v_cmp_gt_u32_e64 s[40:41], s85, v24
	v_sub_u32_e32 v1, 0x79, v24
	v_cmp_eq_u32_e32 vcc, 0, v24
	v_cndmask_b32_e64 v1, 0, v1, s[40:41]
	v_mov_b32_e32 v25, 0x78
	v_or_b32_e32 v2, 0x800000, v0
	v_cndmask_b32_e32 v25, v1, v25, vcc
	v_cndmask_b32_e32 v52, v2, v0, vcc
	v_add_u32_e32 v0, 20, v25
	v_lshlrev_b64 v[0:1], v0, -1
	v_add_u32_e32 v2, 19, v25
	v_lshlrev_b64 v[35:36], v2, 1
	v_bfi_b32 v1, v1, 0, 0
	v_bfi_b32 v0, v0, 0, v52
	v_cmp_eq_u64_e64 s[40:41], v[0:1], v[35:36]
	v_lshrrev_b64 v[0:1], v25, v[52:53]
	v_mov_b32_e32 v2, v1
	v_mov_b32_e32 v1, v0
	s_and_saveexec_b64 s[52:53], s[40:41]
; %bb.12341:                            ;   in Loop: Header=BB6_10813 Depth=3
	v_bfe_u32 v1, v0, 20, 1
	v_add_co_u32_e64 v1, s[40:41], v0, v1
	v_add_co_u32_e64 v1, s[40:41], -1, v1
; %bb.12342:                            ;   in Loop: Header=BB6_10813 Depth=3
	s_or_b64 exec, exec, s[52:53]
	v_add_u32_e32 v2, 0xffffff81, v24
	v_mov_b32_e32 v24, 0xffffff82
	v_cndmask_b32_e32 v2, v2, v24, vcc
	v_lshrrev_b32_e32 v24, 23, v0
	v_add3_u32 v25, v25, v2, v24
	v_add_u32_e32 v24, 6, v25
	v_and_b32_e32 v1, 0xfffff, v1
	v_add_u32_e32 v52, v1, v0
	v_cmp_ne_u32_e32 vcc, 0, v24
                                        ; implicit-def: $vgpr0_vgpr1
                                        ; implicit-def: $vgpr2
	s_and_saveexec_b64 s[40:41], vcc
	s_xor_b64 s[40:41], exec, s[40:41]
; %bb.12343:                            ;   in Loop: Header=BB6_10813 Depth=3
	v_cmp_lt_u64_e32 vcc, s[88:89], v[52:53]
	v_add_u32_e32 v0, 7, v25
	v_cndmask_b32_e32 v2, v24, v0, vcc
	v_cndmask_b32_e64 v0, 0, 1, vcc
	v_lshrrev_b64 v[0:1], v0, v[52:53]
; %bb.12344:                            ;   in Loop: Header=BB6_10813 Depth=3
	s_andn2_saveexec_b64 s[40:41], s[40:41]
; %bb.12345:                            ;   in Loop: Header=BB6_10813 Depth=3
	v_mov_b32_e32 v0, v52
	v_bfe_u32 v2, v52, 23, 1
	v_mov_b32_e32 v1, v53
; %bb.12346:                            ;   in Loop: Header=BB6_10813 Depth=3
	s_or_b64 exec, exec, s[40:41]
	v_lshrrev_b64 v[0:1], 20, v[0:1]
	v_cmp_gt_i32_e32 vcc, 16, v2
	v_cndmask_b32_e32 v1, 0, v1, vcc
	v_cndmask_b32_e32 v0, 7, v0, vcc
	v_cmp_eq_u64_e64 s[40:41], 0, v[0:1]
	v_min_i32_e32 v1, 15, v2
	v_lshlrev_b32_e32 v1, 3, v1
	v_cmp_eq_u32_e32 vcc, 0, v2
	v_and_b32_e32 v1, 0xf8, v1
	v_and_or_b32 v0, v0, 7, v1
	s_and_b64 s[40:41], vcc, s[40:41]
	v_cndmask_b32_e64 v0, v0, 0, s[40:41]
	v_or_b32_e32 v35, v0, v3
.LBB6_12347:                            ;   in Loop: Header=BB6_10813 Depth=3
	s_or_b64 exec, exec, s[50:51]
                                        ; implicit-def: $vgpr3
.LBB6_12348:                            ;   in Loop: Header=BB6_10813 Depth=3
	s_andn2_saveexec_b64 s[40:41], s[48:49]
; %bb.12349:                            ;   in Loop: Header=BB6_10813 Depth=3
	v_or_b32_e32 v35, 0x7e, v3
; %bb.12350:                            ;   in Loop: Header=BB6_10813 Depth=3
	s_or_b64 exec, exec, s[40:41]
                                        ; implicit-def: $vgpr1
.LBB6_12351:                            ;   in Loop: Header=BB6_10813 Depth=3
	s_andn2_saveexec_b64 s[40:41], s[38:39]
; %bb.12352:                            ;   in Loop: Header=BB6_10813 Depth=3
	v_or_b32_sdwa v35, v1, s83 dst_sel:DWORD dst_unused:UNUSED_PAD src0_sel:BYTE_3 src1_sel:DWORD
; %bb.12353:                            ;   in Loop: Header=BB6_10813 Depth=3
	s_or_b64 exec, exec, s[40:41]
	v_lshrrev_b32_e32 v2, 24, v20
	v_lshrrev_b32_e32 v0, 24, v16
	v_cmp_lt_u32_e64 s[40:41], s63, v20
	s_and_b64 vcc, exec, s[28:29]
	s_mov_b64 s[38:39], -1
                                        ; implicit-def: $vgpr1
	s_cbranch_vccnz .LBB6_12367
; %bb.12354:                            ;   in Loop: Header=BB6_10813 Depth=3
	v_mov_b32_e32 v3, 0
	v_mov_b32_e32 v1, 0
	s_and_saveexec_b64 s[38:39], s[40:41]
	s_cbranch_execz .LBB6_12360
; %bb.12355:                            ;   in Loop: Header=BB6_10813 Depth=3
	v_cmp_ne_u32_e32 vcc, s82, v2
	v_bfrev_b32_e32 v1, 1
	s_and_saveexec_b64 s[48:49], vcc
	s_cbranch_execz .LBB6_12359
; %bb.12356:                            ;   in Loop: Header=BB6_10813 Depth=3
	v_bfe_u32 v24, v20, 24, 7
	v_cmp_ne_u32_e32 vcc, s83, v24
	v_mov_b32_e32 v1, 0x7f800001
	s_and_saveexec_b64 s[50:51], vcc
	s_cbranch_execz .LBB6_12358
; %bb.12357:                            ;   in Loop: Header=BB6_10813 Depth=3
	v_and_b32_e32 v1, 7, v2
	v_lshrrev_b32_e32 v36, 3, v24
	v_cmp_gt_u32_e32 vcc, 8, v24
	v_ffbh_u32_e32 v24, v1
	v_min_u32_e32 v37, 32, v24
	v_subrev_u32_e32 v24, 28, v37
	v_lshlrev_b64 v[24:25], v24, v[2:3]
	v_sub_u32_e32 v25, 29, v37
	v_and_b32_e32 v24, 7, v24
	v_cndmask_b32_e32 v25, v36, v25, vcc
	v_cndmask_b32_e32 v1, v1, v24, vcc
	v_lshlrev_b32_e32 v24, 24, v2
	v_bfrev_b32_e32 v36, 60
	v_lshlrev_b32_e32 v1, 20, v1
	v_and_b32_e32 v24, 0x80000000, v24
	v_lshl_add_u32 v25, v25, 23, v36
	v_or3_b32 v1, v24, v25, v1
.LBB6_12358:                            ;   in Loop: Header=BB6_10813 Depth=3
	s_or_b64 exec, exec, s[50:51]
.LBB6_12359:                            ;   in Loop: Header=BB6_10813 Depth=3
	s_or_b64 exec, exec, s[48:49]
.LBB6_12360:                            ;   in Loop: Header=BB6_10813 Depth=3
	s_or_b64 exec, exec, s[38:39]
	v_cmp_lt_u32_e32 vcc, s63, v16
	s_and_saveexec_b64 s[38:39], vcc
	s_cbranch_execz .LBB6_12366
; %bb.12361:                            ;   in Loop: Header=BB6_10813 Depth=3
	v_cmp_ne_u32_e32 vcc, s82, v0
	v_bfrev_b32_e32 v3, 1
	s_and_saveexec_b64 s[48:49], vcc
	s_cbranch_execz .LBB6_12365
; %bb.12362:                            ;   in Loop: Header=BB6_10813 Depth=3
	v_bfe_u32 v24, v16, 24, 7
	v_cmp_ne_u32_e32 vcc, s83, v24
	v_mov_b32_e32 v3, 0x7f800001
	s_and_saveexec_b64 s[50:51], vcc
	s_cbranch_execz .LBB6_12364
; %bb.12363:                            ;   in Loop: Header=BB6_10813 Depth=3
	v_and_b32_e32 v3, 7, v0
	v_lshrrev_b32_e32 v36, 3, v24
	v_cmp_gt_u32_e32 vcc, 8, v24
	v_ffbh_u32_e32 v24, v3
	v_min_u32_e32 v37, 32, v24
	v_subrev_u32_e32 v24, 28, v37
	v_lshlrev_b64 v[24:25], v24, v[0:1]
	v_sub_u32_e32 v25, 29, v37
	v_and_b32_e32 v24, 7, v24
	v_cndmask_b32_e32 v25, v36, v25, vcc
	v_cndmask_b32_e32 v3, v3, v24, vcc
	v_lshlrev_b32_e32 v24, 24, v0
	v_bfrev_b32_e32 v36, 60
	v_lshlrev_b32_e32 v3, 20, v3
	v_and_b32_e32 v24, 0x80000000, v24
	v_lshl_add_u32 v25, v25, 23, v36
	v_or3_b32 v3, v24, v25, v3
.LBB6_12364:                            ;   in Loop: Header=BB6_10813 Depth=3
	s_or_b64 exec, exec, s[50:51]
.LBB6_12365:                            ;   in Loop: Header=BB6_10813 Depth=3
	s_or_b64 exec, exec, s[48:49]
.LBB6_12366:                            ;   in Loop: Header=BB6_10813 Depth=3
	s_or_b64 exec, exec, s[38:39]
	v_max_f32_e32 v3, v3, v3
	v_max_f32_e32 v1, v1, v1
	;; [unrolled: 1-line block ×3, first 2 shown]
	s_mov_b64 s[38:39], 0
.LBB6_12367:                            ;   in Loop: Header=BB6_10813 Depth=3
	s_and_b64 vcc, exec, s[38:39]
	s_cbranch_vccz .LBB6_12381
; %bb.12368:                            ;   in Loop: Header=BB6_10813 Depth=3
	v_mov_b32_e32 v3, 0
	v_mov_b32_e32 v1, 0
	s_and_saveexec_b64 s[38:39], s[40:41]
	s_cbranch_execz .LBB6_12374
; %bb.12369:                            ;   in Loop: Header=BB6_10813 Depth=3
	v_cmp_ne_u32_e32 vcc, s82, v2
	v_bfrev_b32_e32 v1, 1
	s_and_saveexec_b64 s[40:41], vcc
	s_cbranch_execz .LBB6_12373
; %bb.12370:                            ;   in Loop: Header=BB6_10813 Depth=3
	v_bfe_u32 v24, v20, 24, 7
	v_cmp_ne_u32_e32 vcc, s83, v24
	v_mov_b32_e32 v1, 0x7f800001
	s_and_saveexec_b64 s[48:49], vcc
	s_cbranch_execz .LBB6_12372
; %bb.12371:                            ;   in Loop: Header=BB6_10813 Depth=3
	v_and_b32_e32 v1, 7, v2
	v_lshrrev_b32_e32 v36, 3, v24
	v_cmp_gt_u32_e32 vcc, 8, v24
	v_ffbh_u32_e32 v24, v1
	v_min_u32_e32 v37, 32, v24
	v_subrev_u32_e32 v24, 28, v37
	v_lshlrev_b64 v[24:25], v24, v[2:3]
	v_sub_u32_e32 v25, 29, v37
	v_and_b32_e32 v24, 7, v24
	v_cndmask_b32_e32 v25, v36, v25, vcc
	v_cndmask_b32_e32 v1, v1, v24, vcc
	v_lshlrev_b32_e32 v2, 24, v2
	v_bfrev_b32_e32 v24, 60
	v_lshlrev_b32_e32 v1, 20, v1
	v_and_b32_e32 v2, 0x80000000, v2
	v_lshl_add_u32 v24, v25, 23, v24
	v_or3_b32 v1, v2, v24, v1
.LBB6_12372:                            ;   in Loop: Header=BB6_10813 Depth=3
	s_or_b64 exec, exec, s[48:49]
.LBB6_12373:                            ;   in Loop: Header=BB6_10813 Depth=3
	s_or_b64 exec, exec, s[40:41]
.LBB6_12374:                            ;   in Loop: Header=BB6_10813 Depth=3
	s_or_b64 exec, exec, s[38:39]
	v_cmp_lt_u32_e32 vcc, s63, v16
	s_and_saveexec_b64 s[40:41], vcc
	s_cbranch_execz .LBB6_12380
; %bb.12375:                            ;   in Loop: Header=BB6_10813 Depth=3
	v_cmp_ne_u32_e32 vcc, s82, v0
	v_bfrev_b32_e32 v3, 1
	s_and_saveexec_b64 s[38:39], vcc
	s_cbranch_execz .LBB6_12379
; %bb.12376:                            ;   in Loop: Header=BB6_10813 Depth=3
	v_bfe_u32 v2, v16, 24, 7
	v_cmp_ne_u32_e32 vcc, s83, v2
	v_mov_b32_e32 v3, 0x7f800001
	s_and_saveexec_b64 s[48:49], vcc
	s_cbranch_execz .LBB6_12378
; %bb.12377:                            ;   in Loop: Header=BB6_10813 Depth=3
	v_and_b32_e32 v24, 7, v0
	v_lshrrev_b32_e32 v25, 3, v2
	v_cmp_gt_u32_e32 vcc, 8, v2
	v_ffbh_u32_e32 v2, v24
	v_min_u32_e32 v36, 32, v2
	v_subrev_u32_e32 v2, 28, v36
	v_lshlrev_b64 v[2:3], v2, v[0:1]
	v_sub_u32_e32 v3, 29, v36
	v_and_b32_e32 v2, 7, v2
	v_cndmask_b32_e32 v3, v25, v3, vcc
	v_cndmask_b32_e32 v2, v24, v2, vcc
	v_lshlrev_b32_e32 v0, 24, v0
	v_bfrev_b32_e32 v24, 60
	v_lshlrev_b32_e32 v2, 20, v2
	v_and_b32_e32 v0, 0x80000000, v0
	v_lshl_add_u32 v3, v3, 23, v24
	v_or3_b32 v3, v0, v3, v2
.LBB6_12378:                            ;   in Loop: Header=BB6_10813 Depth=3
	s_or_b64 exec, exec, s[48:49]
.LBB6_12379:                            ;   in Loop: Header=BB6_10813 Depth=3
	s_or_b64 exec, exec, s[38:39]
.LBB6_12380:                            ;   in Loop: Header=BB6_10813 Depth=3
	s_or_b64 exec, exec, s[40:41]
	v_max_f32_e32 v0, v3, v3
	v_max_f32_e32 v1, v1, v1
	v_min_f32_e32 v1, v1, v0
.LBB6_12381:                            ;   in Loop: Header=BB6_10813 Depth=3
	v_and_b32_e32 v52, 0x7f800000, v1
	v_cmp_ne_u64_e32 vcc, s[76:77], v[52:53]
	buffer_store_dword v31, off, s[0:3], s33 offset:156 ; 4-byte Folded Spill
	buffer_store_dword v46, off, s[0:3], s33 offset:152 ; 4-byte Folded Spill
                                        ; implicit-def: $vgpr31
	s_and_saveexec_b64 s[40:41], vcc
	s_xor_b64 s[38:39], exec, s[40:41]
	s_cbranch_execz .LBB6_12395
; %bb.12382:                            ;   in Loop: Header=BB6_10813 Depth=3
	v_and_b32_e32 v52, 0x7fffffff, v1
	v_cmp_gt_u64_e32 vcc, s[78:79], v[52:53]
	v_and_b32_sdwa v3, v1, s82 dst_sel:DWORD dst_unused:UNUSED_PAD src0_sel:BYTE_3 src1_sel:DWORD
                                        ; implicit-def: $vgpr31
	s_and_saveexec_b64 s[40:41], vcc
	s_xor_b64 s[48:49], exec, s[40:41]
	s_cbranch_execz .LBB6_12392
; %bb.12383:                            ;   in Loop: Header=BB6_10813 Depth=3
	v_mov_b32_e32 v31, 0
	v_cmp_ne_u32_e32 vcc, 0, v1
	s_and_saveexec_b64 s[50:51], vcc
	s_cbranch_execz .LBB6_12391
; %bb.12384:                            ;   in Loop: Header=BB6_10813 Depth=3
	v_bfe_u32 v24, v1, 23, 8
	v_and_b32_e32 v0, 0x7fffff, v1
	v_cmp_gt_u32_e64 s[40:41], s85, v24
	v_sub_u32_e32 v1, 0x79, v24
	v_cmp_eq_u32_e32 vcc, 0, v24
	v_cndmask_b32_e64 v1, 0, v1, s[40:41]
	v_mov_b32_e32 v25, 0x78
	v_or_b32_e32 v2, 0x800000, v0
	v_cndmask_b32_e32 v25, v1, v25, vcc
	v_cndmask_b32_e32 v52, v2, v0, vcc
	v_add_u32_e32 v0, 20, v25
	v_lshlrev_b64 v[0:1], v0, -1
	v_add_u32_e32 v2, 19, v25
	v_lshlrev_b64 v[36:37], v2, 1
	v_bfi_b32 v1, v1, 0, 0
	v_bfi_b32 v0, v0, 0, v52
	v_cmp_eq_u64_e64 s[40:41], v[0:1], v[36:37]
	v_lshrrev_b64 v[0:1], v25, v[52:53]
	v_mov_b32_e32 v2, v1
	v_mov_b32_e32 v1, v0
	s_and_saveexec_b64 s[52:53], s[40:41]
; %bb.12385:                            ;   in Loop: Header=BB6_10813 Depth=3
	v_bfe_u32 v1, v0, 20, 1
	v_add_co_u32_e64 v1, s[40:41], v0, v1
	v_add_co_u32_e64 v1, s[40:41], -1, v1
; %bb.12386:                            ;   in Loop: Header=BB6_10813 Depth=3
	s_or_b64 exec, exec, s[52:53]
	v_add_u32_e32 v2, 0xffffff81, v24
	v_mov_b32_e32 v24, 0xffffff82
	v_cndmask_b32_e32 v2, v2, v24, vcc
	v_lshrrev_b32_e32 v24, 23, v0
	v_add3_u32 v25, v25, v2, v24
	v_add_u32_e32 v24, 6, v25
	v_and_b32_e32 v1, 0xfffff, v1
	v_add_u32_e32 v52, v1, v0
	v_cmp_ne_u32_e32 vcc, 0, v24
                                        ; implicit-def: $vgpr0_vgpr1
                                        ; implicit-def: $vgpr2
	s_and_saveexec_b64 s[40:41], vcc
	s_xor_b64 s[40:41], exec, s[40:41]
; %bb.12387:                            ;   in Loop: Header=BB6_10813 Depth=3
	v_cmp_lt_u64_e32 vcc, s[88:89], v[52:53]
	v_add_u32_e32 v0, 7, v25
	v_cndmask_b32_e32 v2, v24, v0, vcc
	v_cndmask_b32_e64 v0, 0, 1, vcc
	v_lshrrev_b64 v[0:1], v0, v[52:53]
; %bb.12388:                            ;   in Loop: Header=BB6_10813 Depth=3
	s_andn2_saveexec_b64 s[40:41], s[40:41]
; %bb.12389:                            ;   in Loop: Header=BB6_10813 Depth=3
	v_mov_b32_e32 v0, v52
	v_bfe_u32 v2, v52, 23, 1
	v_mov_b32_e32 v1, v53
; %bb.12390:                            ;   in Loop: Header=BB6_10813 Depth=3
	s_or_b64 exec, exec, s[40:41]
	v_lshrrev_b64 v[0:1], 20, v[0:1]
	v_cmp_gt_i32_e32 vcc, 16, v2
	v_cndmask_b32_e32 v1, 0, v1, vcc
	v_cndmask_b32_e32 v0, 7, v0, vcc
	v_cmp_eq_u64_e64 s[40:41], 0, v[0:1]
	v_min_i32_e32 v1, 15, v2
	v_lshlrev_b32_e32 v1, 3, v1
	v_cmp_eq_u32_e32 vcc, 0, v2
	v_and_b32_e32 v1, 0xf8, v1
	v_and_or_b32 v0, v0, 7, v1
	s_and_b64 s[40:41], vcc, s[40:41]
	v_cndmask_b32_e64 v0, v0, 0, s[40:41]
	v_or_b32_e32 v31, v0, v3
.LBB6_12391:                            ;   in Loop: Header=BB6_10813 Depth=3
	s_or_b64 exec, exec, s[50:51]
                                        ; implicit-def: $vgpr3
.LBB6_12392:                            ;   in Loop: Header=BB6_10813 Depth=3
	s_andn2_saveexec_b64 s[40:41], s[48:49]
; %bb.12393:                            ;   in Loop: Header=BB6_10813 Depth=3
	v_or_b32_e32 v31, 0x7e, v3
; %bb.12394:                            ;   in Loop: Header=BB6_10813 Depth=3
	s_or_b64 exec, exec, s[40:41]
                                        ; implicit-def: $vgpr1
.LBB6_12395:                            ;   in Loop: Header=BB6_10813 Depth=3
	s_andn2_saveexec_b64 s[40:41], s[38:39]
; %bb.12396:                            ;   in Loop: Header=BB6_10813 Depth=3
	v_or_b32_sdwa v31, v1, s83 dst_sel:DWORD dst_unused:UNUSED_PAD src0_sel:BYTE_3 src1_sel:DWORD
; %bb.12397:                            ;   in Loop: Header=BB6_10813 Depth=3
	s_or_b64 exec, exec, s[40:41]
	v_mov_b32_e32 v52, v21
	v_mov_b32_e32 v2, v17
	;; [unrolled: 1-line block ×3, first 2 shown]
	v_cmp_ne_u16_sdwa s[40:41], v21, v53 src0_sel:BYTE_0 src1_sel:DWORD
	s_and_b64 vcc, exec, s[28:29]
	s_mov_b64 s[38:39], -1
                                        ; implicit-def: $vgpr0
	s_cbranch_vccnz .LBB6_12411
; %bb.12398:                            ;   in Loop: Header=BB6_10813 Depth=3
	v_mov_b32_e32 v1, 0
	v_mov_b32_e32 v0, 0
	s_and_saveexec_b64 s[38:39], s[40:41]
	s_cbranch_execz .LBB6_12404
; %bb.12399:                            ;   in Loop: Header=BB6_10813 Depth=3
	v_cmp_ne_u16_sdwa vcc, v21, s82 src0_sel:BYTE_0 src1_sel:DWORD
	v_bfrev_b32_e32 v0, 1
	s_and_saveexec_b64 s[48:49], vcc
	s_cbranch_execz .LBB6_12403
; %bb.12400:                            ;   in Loop: Header=BB6_10813 Depth=3
	v_and_b32_e32 v24, 0x7f, v21
	v_cmp_ne_u32_e32 vcc, s83, v24
	v_mov_b32_e32 v0, 0x7f800001
	s_and_saveexec_b64 s[50:51], vcc
	s_cbranch_execz .LBB6_12402
; %bb.12401:                            ;   in Loop: Header=BB6_10813 Depth=3
	v_and_b32_e32 v0, 7, v21
	v_ffbh_u32_e32 v0, v0
	v_min_u32_e32 v0, 32, v0
	v_lshrrev_b32_e32 v25, 3, v24
	v_cmp_gt_u32_e32 vcc, 8, v24
	v_subrev_u32_e32 v24, 28, v0
	v_sub_u32_e32 v0, 29, v0
	v_cndmask_b32_e32 v24, 0, v24, vcc
	v_cndmask_b32_e32 v0, v25, v0, vcc
	v_lshlrev_b64 v[24:25], v24, v[52:53]
	v_lshlrev_b32_e32 v25, 24, v52
	v_lshlrev_b32_e32 v24, 20, v24
	v_bfrev_b32_e32 v36, 60
	v_and_b32_e32 v24, 0x700000, v24
	v_and_b32_e32 v25, 0x80000000, v25
	v_lshl_add_u32 v0, v0, 23, v36
	v_or3_b32 v0, v25, v0, v24
.LBB6_12402:                            ;   in Loop: Header=BB6_10813 Depth=3
	s_or_b64 exec, exec, s[50:51]
.LBB6_12403:                            ;   in Loop: Header=BB6_10813 Depth=3
	s_or_b64 exec, exec, s[48:49]
.LBB6_12404:                            ;   in Loop: Header=BB6_10813 Depth=3
	s_or_b64 exec, exec, s[38:39]
	v_cmp_ne_u16_sdwa vcc, v17, v53 src0_sel:BYTE_0 src1_sel:DWORD
	s_and_saveexec_b64 s[38:39], vcc
	s_cbranch_execz .LBB6_12410
; %bb.12405:                            ;   in Loop: Header=BB6_10813 Depth=3
	v_cmp_ne_u16_sdwa vcc, v17, s82 src0_sel:BYTE_0 src1_sel:DWORD
	v_bfrev_b32_e32 v1, 1
	s_and_saveexec_b64 s[48:49], vcc
	s_cbranch_execz .LBB6_12409
; %bb.12406:                            ;   in Loop: Header=BB6_10813 Depth=3
	v_and_b32_e32 v24, 0x7f, v17
	v_cmp_ne_u32_e32 vcc, s83, v24
	v_mov_b32_e32 v1, 0x7f800001
	s_and_saveexec_b64 s[50:51], vcc
	s_cbranch_execz .LBB6_12408
; %bb.12407:                            ;   in Loop: Header=BB6_10813 Depth=3
	v_and_b32_e32 v1, 7, v17
	v_ffbh_u32_e32 v1, v1
	v_min_u32_e32 v1, 32, v1
	v_lshrrev_b32_e32 v25, 3, v24
	v_cmp_gt_u32_e32 vcc, 8, v24
	v_subrev_u32_e32 v24, 28, v1
	v_sub_u32_e32 v1, 29, v1
	v_cndmask_b32_e32 v24, 0, v24, vcc
	v_cndmask_b32_e32 v1, v25, v1, vcc
	v_lshlrev_b64 v[24:25], v24, v[2:3]
	v_lshlrev_b32_e32 v25, 24, v2
	v_lshlrev_b32_e32 v24, 20, v24
	v_bfrev_b32_e32 v36, 60
	v_and_b32_e32 v24, 0x700000, v24
	v_and_b32_e32 v25, 0x80000000, v25
	v_lshl_add_u32 v1, v1, 23, v36
	v_or3_b32 v1, v25, v1, v24
.LBB6_12408:                            ;   in Loop: Header=BB6_10813 Depth=3
	s_or_b64 exec, exec, s[50:51]
.LBB6_12409:                            ;   in Loop: Header=BB6_10813 Depth=3
	s_or_b64 exec, exec, s[48:49]
.LBB6_12410:                            ;   in Loop: Header=BB6_10813 Depth=3
	s_or_b64 exec, exec, s[38:39]
	v_max_f32_e32 v1, v1, v1
	v_max_f32_e32 v0, v0, v0
	;; [unrolled: 1-line block ×3, first 2 shown]
	s_mov_b64 s[38:39], 0
.LBB6_12411:                            ;   in Loop: Header=BB6_10813 Depth=3
	s_and_b64 vcc, exec, s[38:39]
	s_cbranch_vccz .LBB6_12425
; %bb.12412:                            ;   in Loop: Header=BB6_10813 Depth=3
	v_mov_b32_e32 v1, 0
	v_mov_b32_e32 v0, 0
	s_and_saveexec_b64 s[38:39], s[40:41]
	s_cbranch_execz .LBB6_12418
; %bb.12413:                            ;   in Loop: Header=BB6_10813 Depth=3
	v_cmp_ne_u16_sdwa vcc, v21, s82 src0_sel:BYTE_0 src1_sel:DWORD
	v_bfrev_b32_e32 v0, 1
	s_and_saveexec_b64 s[40:41], vcc
	s_cbranch_execz .LBB6_12417
; %bb.12414:                            ;   in Loop: Header=BB6_10813 Depth=3
	v_and_b32_e32 v24, 0x7f, v21
	v_cmp_ne_u32_e32 vcc, s83, v24
	v_mov_b32_e32 v0, 0x7f800001
	s_and_saveexec_b64 s[48:49], vcc
	s_cbranch_execz .LBB6_12416
; %bb.12415:                            ;   in Loop: Header=BB6_10813 Depth=3
	v_and_b32_e32 v0, 7, v21
	v_ffbh_u32_e32 v0, v0
	v_min_u32_e32 v0, 32, v0
	v_lshrrev_b32_e32 v25, 3, v24
	v_cmp_gt_u32_e32 vcc, 8, v24
	v_subrev_u32_e32 v24, 28, v0
	v_sub_u32_e32 v0, 29, v0
	v_cndmask_b32_e32 v24, 0, v24, vcc
	v_cndmask_b32_e32 v0, v25, v0, vcc
	v_lshlrev_b64 v[24:25], v24, v[52:53]
	v_lshlrev_b32_e32 v25, 24, v52
	v_lshlrev_b32_e32 v24, 20, v24
	v_bfrev_b32_e32 v36, 60
	v_and_b32_e32 v24, 0x700000, v24
	v_and_b32_e32 v25, 0x80000000, v25
	v_lshl_add_u32 v0, v0, 23, v36
	v_or3_b32 v0, v25, v0, v24
.LBB6_12416:                            ;   in Loop: Header=BB6_10813 Depth=3
	s_or_b64 exec, exec, s[48:49]
.LBB6_12417:                            ;   in Loop: Header=BB6_10813 Depth=3
	s_or_b64 exec, exec, s[40:41]
.LBB6_12418:                            ;   in Loop: Header=BB6_10813 Depth=3
	s_or_b64 exec, exec, s[38:39]
	v_cmp_ne_u16_sdwa vcc, v17, v53 src0_sel:BYTE_0 src1_sel:DWORD
	s_and_saveexec_b64 s[40:41], vcc
	s_cbranch_execz .LBB6_12424
; %bb.12419:                            ;   in Loop: Header=BB6_10813 Depth=3
	v_cmp_ne_u16_sdwa vcc, v17, s82 src0_sel:BYTE_0 src1_sel:DWORD
	v_bfrev_b32_e32 v1, 1
	s_and_saveexec_b64 s[38:39], vcc
	s_cbranch_execz .LBB6_12423
; %bb.12420:                            ;   in Loop: Header=BB6_10813 Depth=3
	v_and_b32_e32 v24, 0x7f, v17
	v_cmp_ne_u32_e32 vcc, s83, v24
	v_mov_b32_e32 v1, 0x7f800001
	s_and_saveexec_b64 s[48:49], vcc
	s_cbranch_execz .LBB6_12422
; %bb.12421:                            ;   in Loop: Header=BB6_10813 Depth=3
	v_and_b32_e32 v1, 7, v17
	v_ffbh_u32_e32 v1, v1
	v_min_u32_e32 v1, 32, v1
	v_lshrrev_b32_e32 v25, 3, v24
	v_cmp_gt_u32_e32 vcc, 8, v24
	v_subrev_u32_e32 v24, 28, v1
	v_sub_u32_e32 v1, 29, v1
	v_cndmask_b32_e32 v24, 0, v24, vcc
	v_cndmask_b32_e32 v1, v25, v1, vcc
	v_lshlrev_b64 v[24:25], v24, v[2:3]
	v_bfrev_b32_e32 v25, 60
	v_lshlrev_b32_e32 v3, 20, v24
	v_lshlrev_b32_e32 v24, 24, v2
	v_and_b32_e32 v3, 0x700000, v3
	v_and_b32_e32 v24, 0x80000000, v24
	v_lshl_add_u32 v1, v1, 23, v25
	v_or3_b32 v1, v24, v1, v3
.LBB6_12422:                            ;   in Loop: Header=BB6_10813 Depth=3
	s_or_b64 exec, exec, s[48:49]
.LBB6_12423:                            ;   in Loop: Header=BB6_10813 Depth=3
	s_or_b64 exec, exec, s[38:39]
.LBB6_12424:                            ;   in Loop: Header=BB6_10813 Depth=3
	s_or_b64 exec, exec, s[40:41]
	v_max_f32_e32 v1, v1, v1
	v_max_f32_e32 v0, v0, v0
	v_min_f32_e32 v0, v0, v1
.LBB6_12425:                            ;   in Loop: Header=BB6_10813 Depth=3
	v_and_b32_e32 v24, 0x7f800000, v0
	v_mov_b32_e32 v25, v53
	v_cmp_ne_u64_e32 vcc, s[76:77], v[24:25]
                                        ; implicit-def: $vgpr25
	s_and_saveexec_b64 s[40:41], vcc
	s_xor_b64 s[38:39], exec, s[40:41]
	s_cbranch_execz .LBB6_12439
; %bb.12426:                            ;   in Loop: Header=BB6_10813 Depth=3
	v_and_b32_e32 v24, 0x7fffffff, v0
	v_mov_b32_e32 v25, v53
	v_cmp_gt_u64_e32 vcc, s[78:79], v[24:25]
	v_and_b32_sdwa v3, v0, s82 dst_sel:DWORD dst_unused:UNUSED_PAD src0_sel:BYTE_3 src1_sel:DWORD
                                        ; implicit-def: $vgpr25
	s_and_saveexec_b64 s[40:41], vcc
	s_xor_b64 s[48:49], exec, s[40:41]
	s_cbranch_execz .LBB6_12436
; %bb.12427:                            ;   in Loop: Header=BB6_10813 Depth=3
	v_mov_b32_e32 v25, 0
	v_cmp_ne_u32_e32 vcc, 0, v0
	s_and_saveexec_b64 s[50:51], vcc
	s_cbranch_execz .LBB6_12435
; %bb.12428:                            ;   in Loop: Header=BB6_10813 Depth=3
	v_bfe_u32 v38, v0, 23, 8
	v_and_b32_e32 v1, 0x7fffff, v0
	v_cmp_gt_u32_e64 s[40:41], s85, v38
	v_sub_u32_e32 v0, 0x79, v38
	v_cmp_eq_u32_e32 vcc, 0, v38
	v_cndmask_b32_e64 v0, 0, v0, s[40:41]
	v_mov_b32_e32 v25, 0x78
	v_or_b32_e32 v24, 0x800000, v1
	v_cndmask_b32_e32 v39, v0, v25, vcc
	v_cndmask_b32_e32 v0, v24, v1, vcc
	v_add_u32_e32 v24, 20, v39
	v_lshlrev_b64 v[24:25], v24, -1
	v_mov_b32_e32 v1, v53
	v_add_u32_e32 v36, 19, v39
	v_bfi_b32 v24, v24, 0, v0
	v_lshlrev_b64 v[36:37], v36, 1
	v_lshrrev_b64 v[0:1], v39, v[0:1]
	v_bfi_b32 v25, v25, 0, 0
	v_cmp_eq_u64_e64 s[40:41], v[24:25], v[36:37]
	v_mov_b32_e32 v25, v1
	v_mov_b32_e32 v24, v0
	s_and_saveexec_b64 s[52:53], s[40:41]
; %bb.12429:                            ;   in Loop: Header=BB6_10813 Depth=3
	v_bfe_u32 v1, v0, 20, 1
	v_add_co_u32_e64 v1, s[40:41], v0, v1
	v_add_co_u32_e64 v24, s[40:41], -1, v1
; %bb.12430:                            ;   in Loop: Header=BB6_10813 Depth=3
	s_or_b64 exec, exec, s[52:53]
	v_add_u32_e32 v1, 0xffffff81, v38
	v_mov_b32_e32 v25, 0xffffff82
	v_cndmask_b32_e32 v1, v1, v25, vcc
	v_lshrrev_b32_e32 v25, 23, v0
	v_add3_u32 v38, v39, v1, v25
	v_add_u32_e32 v25, 6, v38
	v_and_b32_e32 v1, 0xfffff, v24
	v_add_u32_e32 v0, v1, v0
	v_mov_b32_e32 v1, v53
	v_cmp_ne_u32_e32 vcc, 0, v25
                                        ; implicit-def: $vgpr24
	s_and_saveexec_b64 s[40:41], vcc
	s_xor_b64 s[40:41], exec, s[40:41]
; %bb.12431:                            ;   in Loop: Header=BB6_10813 Depth=3
	v_cmp_lt_u64_e32 vcc, s[88:89], v[0:1]
	v_add_u32_e32 v24, 7, v38
	v_cndmask_b32_e32 v24, v25, v24, vcc
	v_cndmask_b32_e64 v25, 0, 1, vcc
	v_lshrrev_b64 v[0:1], v25, v[0:1]
; %bb.12432:                            ;   in Loop: Header=BB6_10813 Depth=3
	s_andn2_saveexec_b64 s[40:41], s[40:41]
; %bb.12433:                            ;   in Loop: Header=BB6_10813 Depth=3
	v_bfe_u32 v24, v0, 23, 1
; %bb.12434:                            ;   in Loop: Header=BB6_10813 Depth=3
	s_or_b64 exec, exec, s[40:41]
	v_lshrrev_b64 v[0:1], 20, v[0:1]
	v_cmp_gt_i32_e32 vcc, 16, v24
	v_cndmask_b32_e32 v1, 0, v1, vcc
	v_cndmask_b32_e32 v0, 7, v0, vcc
	v_cmp_eq_u64_e64 s[40:41], 0, v[0:1]
	v_min_i32_e32 v1, 15, v24
	v_lshlrev_b32_e32 v1, 3, v1
	v_cmp_eq_u32_e32 vcc, 0, v24
	v_and_b32_e32 v1, 0xf8, v1
	v_and_or_b32 v0, v0, 7, v1
	s_and_b64 s[40:41], vcc, s[40:41]
	v_cndmask_b32_e64 v0, v0, 0, s[40:41]
	v_or_b32_e32 v25, v0, v3
.LBB6_12435:                            ;   in Loop: Header=BB6_10813 Depth=3
	s_or_b64 exec, exec, s[50:51]
                                        ; implicit-def: $vgpr3
.LBB6_12436:                            ;   in Loop: Header=BB6_10813 Depth=3
	s_andn2_saveexec_b64 s[40:41], s[48:49]
; %bb.12437:                            ;   in Loop: Header=BB6_10813 Depth=3
	v_or_b32_e32 v25, 0x7e, v3
; %bb.12438:                            ;   in Loop: Header=BB6_10813 Depth=3
	s_or_b64 exec, exec, s[40:41]
                                        ; implicit-def: $vgpr0
.LBB6_12439:                            ;   in Loop: Header=BB6_10813 Depth=3
	s_andn2_saveexec_b64 s[40:41], s[38:39]
; %bb.12440:                            ;   in Loop: Header=BB6_10813 Depth=3
	v_or_b32_sdwa v25, v0, s83 dst_sel:DWORD dst_unused:UNUSED_PAD src0_sel:BYTE_3 src1_sel:DWORD
; %bb.12441:                            ;   in Loop: Header=BB6_10813 Depth=3
	s_or_b64 exec, exec, s[40:41]
	v_lshrrev_b16_e32 v24, 8, v52
	v_lshrrev_b16_e32 v3, 8, v2
	v_cmp_ne_u16_e64 s[40:41], 0, v24
	s_and_b64 vcc, exec, s[28:29]
	s_mov_b64 s[38:39], -1
                                        ; implicit-def: $vgpr0
	s_cbranch_vccnz .LBB6_12455
; %bb.12442:                            ;   in Loop: Header=BB6_10813 Depth=3
	v_mov_b32_e32 v1, 0
	v_mov_b32_e32 v0, 0
	s_and_saveexec_b64 s[38:39], s[40:41]
	s_cbranch_execz .LBB6_12448
; %bb.12443:                            ;   in Loop: Header=BB6_10813 Depth=3
	v_cmp_ne_u16_e32 vcc, s82, v24
	v_bfrev_b32_e32 v0, 1
	s_and_saveexec_b64 s[48:49], vcc
	s_cbranch_execz .LBB6_12447
; %bb.12444:                            ;   in Loop: Header=BB6_10813 Depth=3
	v_and_b32_e32 v38, 0x7f, v24
	v_cmp_ne_u32_e32 vcc, s83, v38
	v_mov_b32_e32 v0, 0x7f800001
	s_and_saveexec_b64 s[50:51], vcc
	s_cbranch_execz .LBB6_12446
; %bb.12445:                            ;   in Loop: Header=BB6_10813 Depth=3
	v_and_b32_e32 v0, 7, v24
	v_ffbh_u32_e32 v36, v0
	v_lshrrev_b32_e32 v39, 3, v38
	v_cmp_gt_u32_e32 vcc, 8, v38
	v_min_u32_e32 v38, 32, v36
	v_subrev_u32_e32 v36, 28, v38
	v_lshlrev_b64 v[36:37], v36, v[24:25]
	v_sub_u32_e32 v37, 29, v38
	v_and_b32_e32 v36, 7, v36
	v_cndmask_b32_e32 v37, v39, v37, vcc
	v_cndmask_b32_e32 v0, v0, v36, vcc
	v_lshlrev_b32_e32 v36, 16, v52
	v_bfrev_b32_e32 v38, 60
	v_lshlrev_b32_e32 v0, 20, v0
	v_and_b32_e32 v36, 0x80000000, v36
	v_lshl_add_u32 v37, v37, 23, v38
	v_or3_b32 v0, v36, v37, v0
.LBB6_12446:                            ;   in Loop: Header=BB6_10813 Depth=3
	s_or_b64 exec, exec, s[50:51]
.LBB6_12447:                            ;   in Loop: Header=BB6_10813 Depth=3
	s_or_b64 exec, exec, s[48:49]
.LBB6_12448:                            ;   in Loop: Header=BB6_10813 Depth=3
	s_or_b64 exec, exec, s[38:39]
	v_cmp_ne_u16_e32 vcc, 0, v3
	s_and_saveexec_b64 s[38:39], vcc
	s_cbranch_execz .LBB6_12454
; %bb.12449:                            ;   in Loop: Header=BB6_10813 Depth=3
	v_cmp_ne_u16_e32 vcc, s82, v3
	v_bfrev_b32_e32 v1, 1
	s_and_saveexec_b64 s[48:49], vcc
	s_cbranch_execz .LBB6_12453
; %bb.12450:                            ;   in Loop: Header=BB6_10813 Depth=3
	v_and_b32_e32 v38, 0x7f, v3
	v_cmp_ne_u32_e32 vcc, s83, v38
	v_mov_b32_e32 v1, 0x7f800001
	s_and_saveexec_b64 s[50:51], vcc
	s_cbranch_execz .LBB6_12452
; %bb.12451:                            ;   in Loop: Header=BB6_10813 Depth=3
	v_and_b32_e32 v1, 7, v3
	v_ffbh_u32_e32 v36, v1
	v_lshrrev_b32_e32 v39, 3, v38
	v_cmp_gt_u32_e32 vcc, 8, v38
	v_min_u32_e32 v38, 32, v36
	v_subrev_u32_e32 v36, 28, v38
	v_lshlrev_b64 v[36:37], v36, v[3:4]
	v_sub_u32_e32 v37, 29, v38
	v_and_b32_e32 v36, 7, v36
	v_cndmask_b32_e32 v37, v39, v37, vcc
	v_cndmask_b32_e32 v1, v1, v36, vcc
	v_lshlrev_b32_e32 v36, 16, v2
	v_bfrev_b32_e32 v38, 60
	v_lshlrev_b32_e32 v1, 20, v1
	v_and_b32_e32 v36, 0x80000000, v36
	v_lshl_add_u32 v37, v37, 23, v38
	v_or3_b32 v1, v36, v37, v1
.LBB6_12452:                            ;   in Loop: Header=BB6_10813 Depth=3
	s_or_b64 exec, exec, s[50:51]
.LBB6_12453:                            ;   in Loop: Header=BB6_10813 Depth=3
	s_or_b64 exec, exec, s[48:49]
.LBB6_12454:                            ;   in Loop: Header=BB6_10813 Depth=3
	s_or_b64 exec, exec, s[38:39]
	v_max_f32_e32 v1, v1, v1
	v_max_f32_e32 v0, v0, v0
	;; [unrolled: 1-line block ×3, first 2 shown]
	s_mov_b64 s[38:39], 0
.LBB6_12455:                            ;   in Loop: Header=BB6_10813 Depth=3
	s_and_b64 vcc, exec, s[38:39]
	s_cbranch_vccz .LBB6_12469
; %bb.12456:                            ;   in Loop: Header=BB6_10813 Depth=3
	v_mov_b32_e32 v1, 0
	v_mov_b32_e32 v0, 0
	s_and_saveexec_b64 s[38:39], s[40:41]
	s_cbranch_execz .LBB6_12462
; %bb.12457:                            ;   in Loop: Header=BB6_10813 Depth=3
	v_cmp_ne_u16_e32 vcc, s82, v24
	v_bfrev_b32_e32 v0, 1
	s_and_saveexec_b64 s[40:41], vcc
	s_cbranch_execz .LBB6_12461
; %bb.12458:                            ;   in Loop: Header=BB6_10813 Depth=3
	v_and_b32_e32 v38, 0x7f, v24
	v_cmp_ne_u32_e32 vcc, s83, v38
	v_mov_b32_e32 v0, 0x7f800001
	s_and_saveexec_b64 s[48:49], vcc
	s_cbranch_execz .LBB6_12460
; %bb.12459:                            ;   in Loop: Header=BB6_10813 Depth=3
	v_and_b32_e32 v0, 7, v24
	v_ffbh_u32_e32 v36, v0
	v_lshrrev_b32_e32 v39, 3, v38
	v_cmp_gt_u32_e32 vcc, 8, v38
	v_min_u32_e32 v38, 32, v36
	v_subrev_u32_e32 v36, 28, v38
	v_lshlrev_b64 v[36:37], v36, v[24:25]
	v_sub_u32_e32 v24, 29, v38
	v_and_b32_e32 v36, 7, v36
	v_cndmask_b32_e32 v24, v39, v24, vcc
	v_cndmask_b32_e32 v0, v0, v36, vcc
	v_lshlrev_b32_e32 v36, 16, v52
	v_bfrev_b32_e32 v37, 60
	v_lshlrev_b32_e32 v0, 20, v0
	v_and_b32_e32 v36, 0x80000000, v36
	v_lshl_add_u32 v24, v24, 23, v37
	v_or3_b32 v0, v36, v24, v0
.LBB6_12460:                            ;   in Loop: Header=BB6_10813 Depth=3
	s_or_b64 exec, exec, s[48:49]
.LBB6_12461:                            ;   in Loop: Header=BB6_10813 Depth=3
	s_or_b64 exec, exec, s[40:41]
.LBB6_12462:                            ;   in Loop: Header=BB6_10813 Depth=3
	s_or_b64 exec, exec, s[38:39]
	v_cmp_ne_u16_e32 vcc, 0, v3
	s_and_saveexec_b64 s[40:41], vcc
	s_cbranch_execz .LBB6_12468
; %bb.12463:                            ;   in Loop: Header=BB6_10813 Depth=3
	v_cmp_ne_u16_e32 vcc, s82, v3
	v_bfrev_b32_e32 v1, 1
	s_and_saveexec_b64 s[38:39], vcc
	s_cbranch_execz .LBB6_12467
; %bb.12464:                            ;   in Loop: Header=BB6_10813 Depth=3
	v_and_b32_e32 v24, 0x7f, v3
	v_cmp_ne_u32_e32 vcc, s83, v24
	v_mov_b32_e32 v1, 0x7f800001
	s_and_saveexec_b64 s[48:49], vcc
	s_cbranch_execz .LBB6_12466
; %bb.12465:                            ;   in Loop: Header=BB6_10813 Depth=3
	v_and_b32_e32 v1, 7, v3
	v_lshrrev_b32_e32 v38, 3, v24
	v_cmp_gt_u32_e32 vcc, 8, v24
	v_ffbh_u32_e32 v24, v1
	v_min_u32_e32 v24, 32, v24
	v_subrev_u32_e32 v36, 28, v24
	v_lshlrev_b64 v[36:37], v36, v[3:4]
	v_sub_u32_e32 v3, 29, v24
	v_and_b32_e32 v24, 7, v36
	v_cndmask_b32_e32 v3, v38, v3, vcc
	v_cndmask_b32_e32 v1, v1, v24, vcc
	v_lshlrev_b32_e32 v2, 16, v2
	v_bfrev_b32_e32 v24, 60
	v_lshlrev_b32_e32 v1, 20, v1
	v_and_b32_e32 v2, 0x80000000, v2
	v_lshl_add_u32 v3, v3, 23, v24
	v_or3_b32 v1, v2, v3, v1
.LBB6_12466:                            ;   in Loop: Header=BB6_10813 Depth=3
	s_or_b64 exec, exec, s[48:49]
.LBB6_12467:                            ;   in Loop: Header=BB6_10813 Depth=3
	s_or_b64 exec, exec, s[38:39]
.LBB6_12468:                            ;   in Loop: Header=BB6_10813 Depth=3
	s_or_b64 exec, exec, s[40:41]
	v_max_f32_e32 v1, v1, v1
	v_max_f32_e32 v0, v0, v0
	v_min_f32_e32 v0, v0, v1
.LBB6_12469:                            ;   in Loop: Header=BB6_10813 Depth=3
	v_and_b32_e32 v52, 0x7f800000, v0
	v_cmp_ne_u64_e32 vcc, s[76:77], v[52:53]
                                        ; implicit-def: $vgpr24
	s_and_saveexec_b64 s[40:41], vcc
	s_xor_b64 s[38:39], exec, s[40:41]
	s_cbranch_execz .LBB6_12483
; %bb.12470:                            ;   in Loop: Header=BB6_10813 Depth=3
	v_and_b32_e32 v52, 0x7fffffff, v0
	v_cmp_gt_u64_e32 vcc, s[78:79], v[52:53]
	v_and_b32_sdwa v3, v0, s82 dst_sel:DWORD dst_unused:UNUSED_PAD src0_sel:BYTE_3 src1_sel:DWORD
                                        ; implicit-def: $vgpr24
	s_and_saveexec_b64 s[40:41], vcc
	s_xor_b64 s[48:49], exec, s[40:41]
	s_cbranch_execz .LBB6_12480
; %bb.12471:                            ;   in Loop: Header=BB6_10813 Depth=3
	v_mov_b32_e32 v24, 0
	v_cmp_ne_u32_e32 vcc, 0, v0
	s_and_saveexec_b64 s[50:51], vcc
	s_cbranch_execz .LBB6_12479
; %bb.12472:                            ;   in Loop: Header=BB6_10813 Depth=3
	v_bfe_u32 v24, v0, 23, 8
	v_and_b32_e32 v1, 0x7fffff, v0
	v_cmp_gt_u32_e64 s[40:41], s85, v24
	v_sub_u32_e32 v0, 0x79, v24
	v_cmp_eq_u32_e32 vcc, 0, v24
	v_cndmask_b32_e64 v0, 0, v0, s[40:41]
	v_mov_b32_e32 v36, 0x78
	v_cndmask_b32_e32 v38, v0, v36, vcc
	v_or_b32_e32 v2, 0x800000, v1
	v_add_u32_e32 v0, 20, v38
	v_cndmask_b32_e32 v52, v2, v1, vcc
	v_lshlrev_b64 v[0:1], v0, -1
	v_add_u32_e32 v2, 19, v38
	v_lshlrev_b64 v[36:37], v2, 1
	v_bfi_b32 v1, v1, 0, 0
	v_bfi_b32 v0, v0, 0, v52
	v_cmp_eq_u64_e64 s[40:41], v[0:1], v[36:37]
	v_lshrrev_b64 v[0:1], v38, v[52:53]
	v_mov_b32_e32 v2, v1
	v_mov_b32_e32 v1, v0
	s_and_saveexec_b64 s[52:53], s[40:41]
; %bb.12473:                            ;   in Loop: Header=BB6_10813 Depth=3
	v_bfe_u32 v1, v0, 20, 1
	v_add_co_u32_e64 v1, s[40:41], v0, v1
	v_add_co_u32_e64 v1, s[40:41], -1, v1
; %bb.12474:                            ;   in Loop: Header=BB6_10813 Depth=3
	s_or_b64 exec, exec, s[52:53]
	v_add_u32_e32 v2, 0xffffff81, v24
	v_mov_b32_e32 v24, 0xffffff82
	v_cndmask_b32_e32 v2, v2, v24, vcc
	v_lshrrev_b32_e32 v24, 23, v0
	v_add3_u32 v38, v38, v2, v24
	v_add_u32_e32 v24, 6, v38
	v_and_b32_e32 v1, 0xfffff, v1
	v_add_u32_e32 v52, v1, v0
	v_cmp_ne_u32_e32 vcc, 0, v24
                                        ; implicit-def: $vgpr0_vgpr1
                                        ; implicit-def: $vgpr2
	s_and_saveexec_b64 s[40:41], vcc
	s_xor_b64 s[40:41], exec, s[40:41]
; %bb.12475:                            ;   in Loop: Header=BB6_10813 Depth=3
	v_cmp_lt_u64_e32 vcc, s[88:89], v[52:53]
	v_add_u32_e32 v0, 7, v38
	v_cndmask_b32_e32 v2, v24, v0, vcc
	v_cndmask_b32_e64 v0, 0, 1, vcc
	v_lshrrev_b64 v[0:1], v0, v[52:53]
; %bb.12476:                            ;   in Loop: Header=BB6_10813 Depth=3
	s_andn2_saveexec_b64 s[40:41], s[40:41]
; %bb.12477:                            ;   in Loop: Header=BB6_10813 Depth=3
	v_mov_b32_e32 v0, v52
	v_bfe_u32 v2, v52, 23, 1
	v_mov_b32_e32 v1, v53
; %bb.12478:                            ;   in Loop: Header=BB6_10813 Depth=3
	s_or_b64 exec, exec, s[40:41]
	v_lshrrev_b64 v[0:1], 20, v[0:1]
	v_cmp_gt_i32_e32 vcc, 16, v2
	v_cndmask_b32_e32 v1, 0, v1, vcc
	v_cndmask_b32_e32 v0, 7, v0, vcc
	v_cmp_eq_u64_e64 s[40:41], 0, v[0:1]
	v_min_i32_e32 v1, 15, v2
	v_lshlrev_b32_e32 v1, 3, v1
	v_cmp_eq_u32_e32 vcc, 0, v2
	v_and_b32_e32 v1, 0xf8, v1
	v_and_or_b32 v0, v0, 7, v1
	s_and_b64 s[40:41], vcc, s[40:41]
	v_cndmask_b32_e64 v0, v0, 0, s[40:41]
	v_or_b32_e32 v24, v0, v3
.LBB6_12479:                            ;   in Loop: Header=BB6_10813 Depth=3
	s_or_b64 exec, exec, s[50:51]
                                        ; implicit-def: $vgpr3
.LBB6_12480:                            ;   in Loop: Header=BB6_10813 Depth=3
	s_andn2_saveexec_b64 s[40:41], s[48:49]
; %bb.12481:                            ;   in Loop: Header=BB6_10813 Depth=3
	v_or_b32_e32 v24, 0x7e, v3
; %bb.12482:                            ;   in Loop: Header=BB6_10813 Depth=3
	s_or_b64 exec, exec, s[40:41]
                                        ; implicit-def: $vgpr0
.LBB6_12483:                            ;   in Loop: Header=BB6_10813 Depth=3
	s_andn2_saveexec_b64 s[40:41], s[38:39]
; %bb.12484:                            ;   in Loop: Header=BB6_10813 Depth=3
	v_or_b32_sdwa v24, v0, s83 dst_sel:DWORD dst_unused:UNUSED_PAD src0_sel:BYTE_3 src1_sel:DWORD
; %bb.12485:                            ;   in Loop: Header=BB6_10813 Depth=3
	s_or_b64 exec, exec, s[40:41]
	v_lshrrev_b32_e32 v2, 16, v21
	v_lshrrev_b32_e32 v0, 16, v17
	v_cmp_ne_u16_sdwa s[40:41], v2, v53 src0_sel:BYTE_0 src1_sel:DWORD
	s_and_b64 vcc, exec, s[28:29]
	s_mov_b64 s[38:39], -1
                                        ; implicit-def: $vgpr1
	s_cbranch_vccnz .LBB6_12499
; %bb.12486:                            ;   in Loop: Header=BB6_10813 Depth=3
	v_mov_b32_e32 v3, 0
	v_mov_b32_e32 v1, 0
	s_and_saveexec_b64 s[38:39], s[40:41]
	s_cbranch_execz .LBB6_12492
; %bb.12487:                            ;   in Loop: Header=BB6_10813 Depth=3
	v_cmp_ne_u16_sdwa vcc, v2, s82 src0_sel:BYTE_0 src1_sel:DWORD
	v_bfrev_b32_e32 v1, 1
	s_and_saveexec_b64 s[48:49], vcc
	s_cbranch_execz .LBB6_12491
; %bb.12488:                            ;   in Loop: Header=BB6_10813 Depth=3
	v_bfe_u32 v38, v21, 16, 7
	v_cmp_ne_u32_e32 vcc, s83, v38
	v_mov_b32_e32 v1, 0x7f800001
	s_and_saveexec_b64 s[50:51], vcc
	s_cbranch_execz .LBB6_12490
; %bb.12489:                            ;   in Loop: Header=BB6_10813 Depth=3
	v_and_b32_e32 v1, 7, v2
	v_ffbh_u32_e32 v36, v1
	v_lshrrev_b32_e32 v39, 3, v38
	v_cmp_gt_u32_e32 vcc, 8, v38
	v_min_u32_e32 v38, 32, v36
	v_subrev_u32_e32 v36, 28, v38
	v_lshlrev_b64 v[36:37], v36, v[2:3]
	v_sub_u32_e32 v37, 29, v38
	v_and_b32_e32 v36, 7, v36
	v_cndmask_b32_e32 v37, v39, v37, vcc
	v_cndmask_b32_e32 v1, v1, v36, vcc
	v_lshlrev_b32_e32 v36, 24, v2
	v_bfrev_b32_e32 v38, 60
	v_lshlrev_b32_e32 v1, 20, v1
	v_and_b32_e32 v36, 0x80000000, v36
	v_lshl_add_u32 v37, v37, 23, v38
	v_or3_b32 v1, v36, v37, v1
.LBB6_12490:                            ;   in Loop: Header=BB6_10813 Depth=3
	s_or_b64 exec, exec, s[50:51]
.LBB6_12491:                            ;   in Loop: Header=BB6_10813 Depth=3
	s_or_b64 exec, exec, s[48:49]
.LBB6_12492:                            ;   in Loop: Header=BB6_10813 Depth=3
	s_or_b64 exec, exec, s[38:39]
	v_cmp_ne_u16_sdwa vcc, v0, v53 src0_sel:BYTE_0 src1_sel:DWORD
	s_and_saveexec_b64 s[38:39], vcc
	s_cbranch_execz .LBB6_12498
; %bb.12493:                            ;   in Loop: Header=BB6_10813 Depth=3
	v_cmp_ne_u16_sdwa vcc, v0, s82 src0_sel:BYTE_0 src1_sel:DWORD
	v_bfrev_b32_e32 v3, 1
	s_and_saveexec_b64 s[48:49], vcc
	s_cbranch_execz .LBB6_12497
; %bb.12494:                            ;   in Loop: Header=BB6_10813 Depth=3
	v_bfe_u32 v38, v17, 16, 7
	v_cmp_ne_u32_e32 vcc, s83, v38
	v_mov_b32_e32 v3, 0x7f800001
	s_and_saveexec_b64 s[50:51], vcc
	s_cbranch_execz .LBB6_12496
; %bb.12495:                            ;   in Loop: Header=BB6_10813 Depth=3
	v_and_b32_e32 v3, 7, v0
	v_ffbh_u32_e32 v36, v3
	v_lshrrev_b32_e32 v39, 3, v38
	v_cmp_gt_u32_e32 vcc, 8, v38
	v_min_u32_e32 v38, 32, v36
	v_subrev_u32_e32 v36, 28, v38
	v_lshlrev_b64 v[36:37], v36, v[0:1]
	v_sub_u32_e32 v37, 29, v38
	v_and_b32_e32 v36, 7, v36
	v_cndmask_b32_e32 v37, v39, v37, vcc
	v_cndmask_b32_e32 v3, v3, v36, vcc
	v_lshlrev_b32_e32 v36, 24, v0
	v_bfrev_b32_e32 v38, 60
	v_lshlrev_b32_e32 v3, 20, v3
	v_and_b32_e32 v36, 0x80000000, v36
	v_lshl_add_u32 v37, v37, 23, v38
	v_or3_b32 v3, v36, v37, v3
.LBB6_12496:                            ;   in Loop: Header=BB6_10813 Depth=3
	s_or_b64 exec, exec, s[50:51]
.LBB6_12497:                            ;   in Loop: Header=BB6_10813 Depth=3
	s_or_b64 exec, exec, s[48:49]
.LBB6_12498:                            ;   in Loop: Header=BB6_10813 Depth=3
	s_or_b64 exec, exec, s[38:39]
	v_max_f32_e32 v3, v3, v3
	v_max_f32_e32 v1, v1, v1
	;; [unrolled: 1-line block ×3, first 2 shown]
	s_mov_b64 s[38:39], 0
.LBB6_12499:                            ;   in Loop: Header=BB6_10813 Depth=3
	s_and_b64 vcc, exec, s[38:39]
	s_cbranch_vccz .LBB6_12513
; %bb.12500:                            ;   in Loop: Header=BB6_10813 Depth=3
	v_mov_b32_e32 v3, 0
	v_mov_b32_e32 v1, 0
	s_and_saveexec_b64 s[38:39], s[40:41]
	s_cbranch_execz .LBB6_12506
; %bb.12501:                            ;   in Loop: Header=BB6_10813 Depth=3
	v_cmp_ne_u16_sdwa vcc, v2, s82 src0_sel:BYTE_0 src1_sel:DWORD
	v_bfrev_b32_e32 v1, 1
	s_and_saveexec_b64 s[40:41], vcc
	s_cbranch_execz .LBB6_12505
; %bb.12502:                            ;   in Loop: Header=BB6_10813 Depth=3
	v_bfe_u32 v38, v21, 16, 7
	v_cmp_ne_u32_e32 vcc, s83, v38
	v_mov_b32_e32 v1, 0x7f800001
	s_and_saveexec_b64 s[48:49], vcc
	s_cbranch_execz .LBB6_12504
; %bb.12503:                            ;   in Loop: Header=BB6_10813 Depth=3
	v_and_b32_e32 v1, 7, v2
	v_ffbh_u32_e32 v36, v1
	v_lshrrev_b32_e32 v39, 3, v38
	v_cmp_gt_u32_e32 vcc, 8, v38
	v_min_u32_e32 v38, 32, v36
	v_subrev_u32_e32 v36, 28, v38
	v_lshlrev_b64 v[36:37], v36, v[2:3]
	v_sub_u32_e32 v37, 29, v38
	v_and_b32_e32 v36, 7, v36
	v_cndmask_b32_e32 v37, v39, v37, vcc
	v_cndmask_b32_e32 v1, v1, v36, vcc
	v_lshlrev_b32_e32 v2, 24, v2
	v_bfrev_b32_e32 v36, 60
	v_lshlrev_b32_e32 v1, 20, v1
	v_and_b32_e32 v2, 0x80000000, v2
	v_lshl_add_u32 v36, v37, 23, v36
	v_or3_b32 v1, v2, v36, v1
.LBB6_12504:                            ;   in Loop: Header=BB6_10813 Depth=3
	s_or_b64 exec, exec, s[48:49]
.LBB6_12505:                            ;   in Loop: Header=BB6_10813 Depth=3
	s_or_b64 exec, exec, s[40:41]
.LBB6_12506:                            ;   in Loop: Header=BB6_10813 Depth=3
	s_or_b64 exec, exec, s[38:39]
	v_cmp_ne_u16_sdwa vcc, v0, v53 src0_sel:BYTE_0 src1_sel:DWORD
	s_and_saveexec_b64 s[40:41], vcc
	s_cbranch_execz .LBB6_12512
; %bb.12507:                            ;   in Loop: Header=BB6_10813 Depth=3
	v_cmp_ne_u16_sdwa vcc, v0, s82 src0_sel:BYTE_0 src1_sel:DWORD
	v_bfrev_b32_e32 v3, 1
	s_and_saveexec_b64 s[38:39], vcc
	s_cbranch_execz .LBB6_12511
; %bb.12508:                            ;   in Loop: Header=BB6_10813 Depth=3
	v_bfe_u32 v2, v17, 16, 7
	v_cmp_ne_u32_e32 vcc, s83, v2
	v_mov_b32_e32 v3, 0x7f800001
	s_and_saveexec_b64 s[48:49], vcc
	s_cbranch_execz .LBB6_12510
; %bb.12509:                            ;   in Loop: Header=BB6_10813 Depth=3
	v_and_b32_e32 v36, 7, v0
	v_lshrrev_b32_e32 v37, 3, v2
	v_cmp_gt_u32_e32 vcc, 8, v2
	v_ffbh_u32_e32 v2, v36
	v_min_u32_e32 v38, 32, v2
	v_subrev_u32_e32 v2, 28, v38
	v_lshlrev_b64 v[2:3], v2, v[0:1]
	v_sub_u32_e32 v3, 29, v38
	v_and_b32_e32 v2, 7, v2
	v_cndmask_b32_e32 v3, v37, v3, vcc
	v_cndmask_b32_e32 v2, v36, v2, vcc
	v_lshlrev_b32_e32 v0, 24, v0
	v_bfrev_b32_e32 v36, 60
	v_lshlrev_b32_e32 v2, 20, v2
	v_and_b32_e32 v0, 0x80000000, v0
	v_lshl_add_u32 v3, v3, 23, v36
	v_or3_b32 v3, v0, v3, v2
.LBB6_12510:                            ;   in Loop: Header=BB6_10813 Depth=3
	s_or_b64 exec, exec, s[48:49]
.LBB6_12511:                            ;   in Loop: Header=BB6_10813 Depth=3
	s_or_b64 exec, exec, s[38:39]
.LBB6_12512:                            ;   in Loop: Header=BB6_10813 Depth=3
	s_or_b64 exec, exec, s[40:41]
	v_max_f32_e32 v0, v3, v3
	v_max_f32_e32 v1, v1, v1
	v_min_f32_e32 v1, v1, v0
.LBB6_12513:                            ;   in Loop: Header=BB6_10813 Depth=3
	v_and_b32_e32 v52, 0x7f800000, v1
	v_cmp_ne_u64_e32 vcc, s[76:77], v[52:53]
	buffer_store_dword v26, off, s[0:3], s33 offset:172 ; 4-byte Folded Spill
	buffer_store_dword v43, off, s[0:3], s33 offset:160 ; 4-byte Folded Spill
	;; [unrolled: 1-line block ×5, first 2 shown]
	v_mov_b32_e32 v49, v51
	v_mov_b32_e32 v43, v50
                                        ; implicit-def: $vgpr42
	s_and_saveexec_b64 s[40:41], vcc
	s_xor_b64 s[38:39], exec, s[40:41]
	s_cbranch_execz .LBB6_12527
; %bb.12514:                            ;   in Loop: Header=BB6_10813 Depth=3
	v_and_b32_e32 v52, 0x7fffffff, v1
	v_cmp_gt_u64_e32 vcc, s[78:79], v[52:53]
	v_and_b32_sdwa v3, v1, s82 dst_sel:DWORD dst_unused:UNUSED_PAD src0_sel:BYTE_3 src1_sel:DWORD
                                        ; implicit-def: $vgpr42
	s_and_saveexec_b64 s[40:41], vcc
	s_xor_b64 s[48:49], exec, s[40:41]
	s_cbranch_execz .LBB6_12524
; %bb.12515:                            ;   in Loop: Header=BB6_10813 Depth=3
	v_mov_b32_e32 v42, 0
	v_cmp_ne_u32_e32 vcc, 0, v1
	s_and_saveexec_b64 s[50:51], vcc
	s_cbranch_execz .LBB6_12523
; %bb.12516:                            ;   in Loop: Header=BB6_10813 Depth=3
	v_bfe_u32 v38, v1, 23, 8
	v_and_b32_e32 v0, 0x7fffff, v1
	v_cmp_gt_u32_e64 s[40:41], s85, v38
	v_sub_u32_e32 v1, 0x79, v38
	v_cmp_eq_u32_e32 vcc, 0, v38
	v_cndmask_b32_e64 v1, 0, v1, s[40:41]
	v_mov_b32_e32 v36, 0x78
	v_or_b32_e32 v2, 0x800000, v0
	v_cndmask_b32_e32 v39, v1, v36, vcc
	v_cndmask_b32_e32 v52, v2, v0, vcc
	v_add_u32_e32 v0, 20, v39
	v_lshlrev_b64 v[0:1], v0, -1
	v_add_u32_e32 v2, 19, v39
	v_lshlrev_b64 v[36:37], v2, 1
	v_bfi_b32 v1, v1, 0, 0
	v_bfi_b32 v0, v0, 0, v52
	v_cmp_eq_u64_e64 s[40:41], v[0:1], v[36:37]
	v_lshrrev_b64 v[0:1], v39, v[52:53]
	v_mov_b32_e32 v2, v1
	v_mov_b32_e32 v1, v0
	s_and_saveexec_b64 s[52:53], s[40:41]
; %bb.12517:                            ;   in Loop: Header=BB6_10813 Depth=3
	v_bfe_u32 v1, v0, 20, 1
	v_add_co_u32_e64 v1, s[40:41], v0, v1
	v_add_co_u32_e64 v1, s[40:41], -1, v1
; %bb.12518:                            ;   in Loop: Header=BB6_10813 Depth=3
	s_or_b64 exec, exec, s[52:53]
	v_add_u32_e32 v2, 0xffffff81, v38
	v_mov_b32_e32 v36, 0xffffff82
	v_cndmask_b32_e32 v2, v2, v36, vcc
	v_lshrrev_b32_e32 v36, 23, v0
	v_add3_u32 v39, v39, v2, v36
	v_add_u32_e32 v38, 6, v39
	v_and_b32_e32 v1, 0xfffff, v1
	v_add_u32_e32 v52, v1, v0
	v_cmp_ne_u32_e32 vcc, 0, v38
                                        ; implicit-def: $vgpr0_vgpr1
                                        ; implicit-def: $vgpr2
	s_and_saveexec_b64 s[40:41], vcc
	s_xor_b64 s[40:41], exec, s[40:41]
; %bb.12519:                            ;   in Loop: Header=BB6_10813 Depth=3
	v_cmp_lt_u64_e32 vcc, s[88:89], v[52:53]
	v_add_u32_e32 v0, 7, v39
	v_cndmask_b32_e32 v2, v38, v0, vcc
	v_cndmask_b32_e64 v0, 0, 1, vcc
	v_lshrrev_b64 v[0:1], v0, v[52:53]
; %bb.12520:                            ;   in Loop: Header=BB6_10813 Depth=3
	s_andn2_saveexec_b64 s[40:41], s[40:41]
; %bb.12521:                            ;   in Loop: Header=BB6_10813 Depth=3
	v_mov_b32_e32 v0, v52
	v_bfe_u32 v2, v52, 23, 1
	v_mov_b32_e32 v1, v53
; %bb.12522:                            ;   in Loop: Header=BB6_10813 Depth=3
	s_or_b64 exec, exec, s[40:41]
	v_lshrrev_b64 v[0:1], 20, v[0:1]
	v_cmp_gt_i32_e32 vcc, 16, v2
	v_cndmask_b32_e32 v1, 0, v1, vcc
	v_cndmask_b32_e32 v0, 7, v0, vcc
	v_cmp_eq_u64_e64 s[40:41], 0, v[0:1]
	v_min_i32_e32 v1, 15, v2
	v_lshlrev_b32_e32 v1, 3, v1
	v_cmp_eq_u32_e32 vcc, 0, v2
	v_and_b32_e32 v1, 0xf8, v1
	v_and_or_b32 v0, v0, 7, v1
	s_and_b64 s[40:41], vcc, s[40:41]
	v_cndmask_b32_e64 v0, v0, 0, s[40:41]
	v_or_b32_e32 v42, v0, v3
.LBB6_12523:                            ;   in Loop: Header=BB6_10813 Depth=3
	s_or_b64 exec, exec, s[50:51]
                                        ; implicit-def: $vgpr3
.LBB6_12524:                            ;   in Loop: Header=BB6_10813 Depth=3
	s_andn2_saveexec_b64 s[40:41], s[48:49]
; %bb.12525:                            ;   in Loop: Header=BB6_10813 Depth=3
	v_or_b32_e32 v42, 0x7e, v3
; %bb.12526:                            ;   in Loop: Header=BB6_10813 Depth=3
	s_or_b64 exec, exec, s[40:41]
                                        ; implicit-def: $vgpr1
.LBB6_12527:                            ;   in Loop: Header=BB6_10813 Depth=3
	s_andn2_saveexec_b64 s[40:41], s[38:39]
; %bb.12528:                            ;   in Loop: Header=BB6_10813 Depth=3
	v_or_b32_sdwa v42, v1, s83 dst_sel:DWORD dst_unused:UNUSED_PAD src0_sel:BYTE_3 src1_sel:DWORD
; %bb.12529:                            ;   in Loop: Header=BB6_10813 Depth=3
	s_or_b64 exec, exec, s[40:41]
	v_cmp_lt_u64_e64 s[40:41], s[62:63], v[20:21]
	v_lshrrev_b32_e32 v2, 24, v21
	v_lshrrev_b32_e32 v0, 24, v17
	s_and_b64 vcc, exec, s[28:29]
	s_mov_b64 s[38:39], -1
                                        ; implicit-def: $vgpr1
	s_cbranch_vccnz .LBB6_12543
; %bb.12530:                            ;   in Loop: Header=BB6_10813 Depth=3
	v_mov_b32_e32 v3, 0
	v_mov_b32_e32 v1, 0
	s_and_saveexec_b64 s[38:39], s[40:41]
	s_cbranch_execz .LBB6_12536
; %bb.12531:                            ;   in Loop: Header=BB6_10813 Depth=3
	v_cmp_ne_u32_e32 vcc, s82, v2
	v_bfrev_b32_e32 v1, 1
	s_and_saveexec_b64 s[48:49], vcc
	s_cbranch_execz .LBB6_12535
; %bb.12532:                            ;   in Loop: Header=BB6_10813 Depth=3
	v_bfe_u32 v20, v21, 24, 7
	v_cmp_ne_u32_e32 vcc, s83, v20
	v_mov_b32_e32 v1, 0x7f800001
	s_and_saveexec_b64 s[50:51], vcc
	s_cbranch_execz .LBB6_12534
; %bb.12533:                            ;   in Loop: Header=BB6_10813 Depth=3
	v_and_b32_e32 v1, 7, v2
	v_lshrrev_b32_e32 v38, 3, v20
	v_cmp_gt_u32_e32 vcc, 8, v20
	v_ffbh_u32_e32 v20, v1
	v_min_u32_e32 v20, 32, v20
	v_subrev_u32_e32 v36, 28, v20
	v_lshlrev_b64 v[36:37], v36, v[2:3]
	v_sub_u32_e32 v20, 29, v20
	v_and_b32_e32 v36, 7, v36
	v_cndmask_b32_e32 v20, v38, v20, vcc
	v_cndmask_b32_e32 v1, v1, v36, vcc
	v_lshlrev_b32_e32 v36, 24, v2
	v_bfrev_b32_e32 v37, 60
	v_lshlrev_b32_e32 v1, 20, v1
	v_and_b32_e32 v36, 0x80000000, v36
	v_lshl_add_u32 v20, v20, 23, v37
	v_or3_b32 v1, v36, v20, v1
.LBB6_12534:                            ;   in Loop: Header=BB6_10813 Depth=3
	s_or_b64 exec, exec, s[50:51]
.LBB6_12535:                            ;   in Loop: Header=BB6_10813 Depth=3
	s_or_b64 exec, exec, s[48:49]
.LBB6_12536:                            ;   in Loop: Header=BB6_10813 Depth=3
	s_or_b64 exec, exec, s[38:39]
	v_cmp_lt_u64_e32 vcc, s[62:63], v[16:17]
	s_and_saveexec_b64 s[38:39], vcc
	s_cbranch_execz .LBB6_12542
; %bb.12537:                            ;   in Loop: Header=BB6_10813 Depth=3
	v_cmp_ne_u32_e32 vcc, s82, v0
	v_bfrev_b32_e32 v3, 1
	s_and_saveexec_b64 s[48:49], vcc
	s_cbranch_execz .LBB6_12541
; %bb.12538:                            ;   in Loop: Header=BB6_10813 Depth=3
	v_bfe_u32 v20, v17, 24, 7
	v_cmp_ne_u32_e32 vcc, s83, v20
	v_mov_b32_e32 v3, 0x7f800001
	s_and_saveexec_b64 s[50:51], vcc
	s_cbranch_execz .LBB6_12540
; %bb.12539:                            ;   in Loop: Header=BB6_10813 Depth=3
	v_and_b32_e32 v3, 7, v0
	v_lshrrev_b32_e32 v38, 3, v20
	v_cmp_gt_u32_e32 vcc, 8, v20
	v_ffbh_u32_e32 v20, v3
	v_min_u32_e32 v20, 32, v20
	v_subrev_u32_e32 v36, 28, v20
	v_lshlrev_b64 v[36:37], v36, v[0:1]
	v_sub_u32_e32 v20, 29, v20
	v_and_b32_e32 v36, 7, v36
	v_cndmask_b32_e32 v20, v38, v20, vcc
	v_cndmask_b32_e32 v3, v3, v36, vcc
	v_lshlrev_b32_e32 v36, 24, v0
	v_bfrev_b32_e32 v37, 60
	v_lshlrev_b32_e32 v3, 20, v3
	v_and_b32_e32 v36, 0x80000000, v36
	v_lshl_add_u32 v20, v20, 23, v37
	v_or3_b32 v3, v36, v20, v3
.LBB6_12540:                            ;   in Loop: Header=BB6_10813 Depth=3
	s_or_b64 exec, exec, s[50:51]
.LBB6_12541:                            ;   in Loop: Header=BB6_10813 Depth=3
	s_or_b64 exec, exec, s[48:49]
.LBB6_12542:                            ;   in Loop: Header=BB6_10813 Depth=3
	s_or_b64 exec, exec, s[38:39]
	v_max_f32_e32 v3, v3, v3
	v_max_f32_e32 v1, v1, v1
	;; [unrolled: 1-line block ×3, first 2 shown]
	s_mov_b64 s[38:39], 0
.LBB6_12543:                            ;   in Loop: Header=BB6_10813 Depth=3
	s_and_b64 vcc, exec, s[38:39]
	s_cbranch_vccz .LBB6_12557
; %bb.12544:                            ;   in Loop: Header=BB6_10813 Depth=3
	v_mov_b32_e32 v3, 0
	v_mov_b32_e32 v1, 0
	s_and_saveexec_b64 s[38:39], s[40:41]
	s_cbranch_execz .LBB6_12550
; %bb.12545:                            ;   in Loop: Header=BB6_10813 Depth=3
	v_cmp_ne_u32_e32 vcc, s82, v2
	v_bfrev_b32_e32 v1, 1
	s_and_saveexec_b64 s[40:41], vcc
	s_cbranch_execz .LBB6_12549
; %bb.12546:                            ;   in Loop: Header=BB6_10813 Depth=3
	v_bfe_u32 v20, v21, 24, 7
	v_cmp_ne_u32_e32 vcc, s83, v20
	v_mov_b32_e32 v1, 0x7f800001
	s_and_saveexec_b64 s[48:49], vcc
	s_cbranch_execz .LBB6_12548
; %bb.12547:                            ;   in Loop: Header=BB6_10813 Depth=3
	v_and_b32_e32 v1, 7, v2
	v_lshrrev_b32_e32 v36, 3, v20
	v_cmp_gt_u32_e32 vcc, 8, v20
	v_ffbh_u32_e32 v20, v1
	v_min_u32_e32 v37, 32, v20
	v_subrev_u32_e32 v20, 28, v37
	v_lshlrev_b64 v[20:21], v20, v[2:3]
	v_sub_u32_e32 v21, 29, v37
	v_and_b32_e32 v20, 7, v20
	v_cndmask_b32_e32 v21, v36, v21, vcc
	v_cndmask_b32_e32 v1, v1, v20, vcc
	v_lshlrev_b32_e32 v2, 24, v2
	v_bfrev_b32_e32 v20, 60
	v_lshlrev_b32_e32 v1, 20, v1
	v_and_b32_e32 v2, 0x80000000, v2
	v_lshl_add_u32 v20, v21, 23, v20
	v_or3_b32 v1, v2, v20, v1
.LBB6_12548:                            ;   in Loop: Header=BB6_10813 Depth=3
	s_or_b64 exec, exec, s[48:49]
.LBB6_12549:                            ;   in Loop: Header=BB6_10813 Depth=3
	s_or_b64 exec, exec, s[40:41]
.LBB6_12550:                            ;   in Loop: Header=BB6_10813 Depth=3
	s_or_b64 exec, exec, s[38:39]
	v_cmp_lt_u64_e32 vcc, s[62:63], v[16:17]
	s_and_saveexec_b64 s[40:41], vcc
	s_cbranch_execz .LBB6_12556
; %bb.12551:                            ;   in Loop: Header=BB6_10813 Depth=3
	v_cmp_ne_u32_e32 vcc, s82, v0
	v_bfrev_b32_e32 v3, 1
	s_and_saveexec_b64 s[38:39], vcc
	s_cbranch_execz .LBB6_12555
; %bb.12552:                            ;   in Loop: Header=BB6_10813 Depth=3
	v_bfe_u32 v2, v17, 24, 7
	v_cmp_ne_u32_e32 vcc, s83, v2
	v_mov_b32_e32 v3, 0x7f800001
	s_and_saveexec_b64 s[48:49], vcc
	s_cbranch_execz .LBB6_12554
; %bb.12553:                            ;   in Loop: Header=BB6_10813 Depth=3
	v_and_b32_e32 v16, 7, v0
	v_lshrrev_b32_e32 v17, 3, v2
	v_cmp_gt_u32_e32 vcc, 8, v2
	v_ffbh_u32_e32 v2, v16
	v_min_u32_e32 v20, 32, v2
	v_subrev_u32_e32 v2, 28, v20
	v_lshlrev_b64 v[2:3], v2, v[0:1]
	v_sub_u32_e32 v3, 29, v20
	v_and_b32_e32 v2, 7, v2
	v_cndmask_b32_e32 v3, v17, v3, vcc
	v_cndmask_b32_e32 v2, v16, v2, vcc
	v_lshlrev_b32_e32 v0, 24, v0
	v_bfrev_b32_e32 v16, 60
	v_lshlrev_b32_e32 v2, 20, v2
	v_and_b32_e32 v0, 0x80000000, v0
	v_lshl_add_u32 v3, v3, 23, v16
	v_or3_b32 v3, v0, v3, v2
.LBB6_12554:                            ;   in Loop: Header=BB6_10813 Depth=3
	s_or_b64 exec, exec, s[48:49]
.LBB6_12555:                            ;   in Loop: Header=BB6_10813 Depth=3
	s_or_b64 exec, exec, s[38:39]
.LBB6_12556:                            ;   in Loop: Header=BB6_10813 Depth=3
	s_or_b64 exec, exec, s[40:41]
	v_max_f32_e32 v0, v3, v3
	v_max_f32_e32 v1, v1, v1
	v_min_f32_e32 v1, v1, v0
.LBB6_12557:                            ;   in Loop: Header=BB6_10813 Depth=3
	v_and_b32_e32 v52, 0x7f800000, v1
	v_cmp_ne_u64_e32 vcc, s[76:77], v[52:53]
                                        ; implicit-def: $vgpr20
	s_and_saveexec_b64 s[40:41], vcc
	s_xor_b64 s[38:39], exec, s[40:41]
	s_cbranch_execz .LBB6_12571
; %bb.12558:                            ;   in Loop: Header=BB6_10813 Depth=3
	v_and_b32_e32 v52, 0x7fffffff, v1
	v_cmp_gt_u64_e32 vcc, s[78:79], v[52:53]
	v_and_b32_sdwa v3, v1, s82 dst_sel:DWORD dst_unused:UNUSED_PAD src0_sel:BYTE_3 src1_sel:DWORD
                                        ; implicit-def: $vgpr20
	s_and_saveexec_b64 s[40:41], vcc
	s_xor_b64 s[48:49], exec, s[40:41]
	s_cbranch_execz .LBB6_12568
; %bb.12559:                            ;   in Loop: Header=BB6_10813 Depth=3
	v_mov_b32_e32 v20, 0
	v_cmp_ne_u32_e32 vcc, 0, v1
	s_and_saveexec_b64 s[50:51], vcc
	s_cbranch_execz .LBB6_12567
; %bb.12560:                            ;   in Loop: Header=BB6_10813 Depth=3
	v_bfe_u32 v16, v1, 23, 8
	v_and_b32_e32 v0, 0x7fffff, v1
	v_cmp_gt_u32_e64 s[40:41], s85, v16
	v_sub_u32_e32 v1, 0x79, v16
	v_cmp_eq_u32_e32 vcc, 0, v16
	v_cndmask_b32_e64 v1, 0, v1, s[40:41]
	v_mov_b32_e32 v17, 0x78
	v_or_b32_e32 v2, 0x800000, v0
	v_cndmask_b32_e32 v17, v1, v17, vcc
	v_cndmask_b32_e32 v52, v2, v0, vcc
	v_add_u32_e32 v0, 20, v17
	v_lshlrev_b64 v[0:1], v0, -1
	v_add_u32_e32 v2, 19, v17
	v_lshlrev_b64 v[20:21], v2, 1
	v_bfi_b32 v1, v1, 0, 0
	v_bfi_b32 v0, v0, 0, v52
	v_cmp_eq_u64_e64 s[40:41], v[0:1], v[20:21]
	v_lshrrev_b64 v[0:1], v17, v[52:53]
	v_mov_b32_e32 v2, v1
	v_mov_b32_e32 v1, v0
	s_and_saveexec_b64 s[52:53], s[40:41]
; %bb.12561:                            ;   in Loop: Header=BB6_10813 Depth=3
	v_bfe_u32 v1, v0, 20, 1
	v_add_co_u32_e64 v1, s[40:41], v0, v1
	v_add_co_u32_e64 v1, s[40:41], -1, v1
; %bb.12562:                            ;   in Loop: Header=BB6_10813 Depth=3
	s_or_b64 exec, exec, s[52:53]
	v_add_u32_e32 v2, 0xffffff81, v16
	v_mov_b32_e32 v16, 0xffffff82
	v_cndmask_b32_e32 v2, v2, v16, vcc
	v_lshrrev_b32_e32 v16, 23, v0
	v_add3_u32 v17, v17, v2, v16
	v_add_u32_e32 v16, 6, v17
	v_and_b32_e32 v1, 0xfffff, v1
	v_add_u32_e32 v52, v1, v0
	v_cmp_ne_u32_e32 vcc, 0, v16
                                        ; implicit-def: $vgpr0_vgpr1
                                        ; implicit-def: $vgpr2
	s_and_saveexec_b64 s[40:41], vcc
	s_xor_b64 s[40:41], exec, s[40:41]
; %bb.12563:                            ;   in Loop: Header=BB6_10813 Depth=3
	v_cmp_lt_u64_e32 vcc, s[88:89], v[52:53]
	v_add_u32_e32 v0, 7, v17
	v_cndmask_b32_e32 v2, v16, v0, vcc
	v_cndmask_b32_e64 v0, 0, 1, vcc
	v_lshrrev_b64 v[0:1], v0, v[52:53]
; %bb.12564:                            ;   in Loop: Header=BB6_10813 Depth=3
	s_andn2_saveexec_b64 s[40:41], s[40:41]
; %bb.12565:                            ;   in Loop: Header=BB6_10813 Depth=3
	v_mov_b32_e32 v0, v52
	v_bfe_u32 v2, v52, 23, 1
	v_mov_b32_e32 v1, v53
; %bb.12566:                            ;   in Loop: Header=BB6_10813 Depth=3
	s_or_b64 exec, exec, s[40:41]
	v_lshrrev_b64 v[0:1], 20, v[0:1]
	v_cmp_gt_i32_e32 vcc, 16, v2
	v_cndmask_b32_e32 v1, 0, v1, vcc
	v_cndmask_b32_e32 v0, 7, v0, vcc
	v_cmp_eq_u64_e64 s[40:41], 0, v[0:1]
	v_min_i32_e32 v1, 15, v2
	v_lshlrev_b32_e32 v1, 3, v1
	v_cmp_eq_u32_e32 vcc, 0, v2
	v_and_b32_e32 v1, 0xf8, v1
	v_and_or_b32 v0, v0, 7, v1
	s_and_b64 s[40:41], vcc, s[40:41]
	v_cndmask_b32_e64 v0, v0, 0, s[40:41]
	v_or_b32_e32 v20, v0, v3
.LBB6_12567:                            ;   in Loop: Header=BB6_10813 Depth=3
	s_or_b64 exec, exec, s[50:51]
                                        ; implicit-def: $vgpr3
.LBB6_12568:                            ;   in Loop: Header=BB6_10813 Depth=3
	s_andn2_saveexec_b64 s[40:41], s[48:49]
; %bb.12569:                            ;   in Loop: Header=BB6_10813 Depth=3
	v_or_b32_e32 v20, 0x7e, v3
; %bb.12570:                            ;   in Loop: Header=BB6_10813 Depth=3
	s_or_b64 exec, exec, s[40:41]
                                        ; implicit-def: $vgpr1
.LBB6_12571:                            ;   in Loop: Header=BB6_10813 Depth=3
	s_andn2_saveexec_b64 s[40:41], s[38:39]
; %bb.12572:                            ;   in Loop: Header=BB6_10813 Depth=3
	v_or_b32_sdwa v20, v1, s83 dst_sel:DWORD dst_unused:UNUSED_PAD src0_sel:BYTE_3 src1_sel:DWORD
; %bb.12573:                            ;   in Loop: Header=BB6_10813 Depth=3
	s_or_b64 exec, exec, s[40:41]
	v_cmp_ne_u16_sdwa s[40:41], v22, v53 src0_sel:BYTE_0 src1_sel:DWORD
	s_and_b64 vcc, exec, s[28:29]
	s_mov_b64 s[38:39], -1
                                        ; implicit-def: $vgpr0
	s_cbranch_vccnz .LBB6_12587
; %bb.12574:                            ;   in Loop: Header=BB6_10813 Depth=3
	v_mov_b32_e32 v1, 0
	v_mov_b32_e32 v0, 0
	s_and_saveexec_b64 s[38:39], s[40:41]
	s_cbranch_execz .LBB6_12580
; %bb.12575:                            ;   in Loop: Header=BB6_10813 Depth=3
	v_cmp_ne_u16_sdwa vcc, v22, s82 src0_sel:BYTE_0 src1_sel:DWORD
	v_bfrev_b32_e32 v0, 1
	s_and_saveexec_b64 s[48:49], vcc
	s_cbranch_execz .LBB6_12579
; %bb.12576:                            ;   in Loop: Header=BB6_10813 Depth=3
	v_and_b32_e32 v2, 0x7f, v22
	v_cmp_ne_u32_e32 vcc, s83, v2
	v_mov_b32_e32 v0, 0x7f800001
	s_and_saveexec_b64 s[50:51], vcc
	s_cbranch_execz .LBB6_12578
; %bb.12577:                            ;   in Loop: Header=BB6_10813 Depth=3
	v_and_b32_e32 v0, 7, v22
	v_ffbh_u32_e32 v0, v0
	v_min_u32_e32 v0, 32, v0
	v_lshrrev_b32_e32 v3, 3, v2
	v_cmp_gt_u32_e32 vcc, 8, v2
	v_subrev_u32_e32 v2, 28, v0
	v_sub_u32_e32 v0, 29, v0
	v_cndmask_b32_e32 v2, 0, v2, vcc
	v_cndmask_b32_e32 v0, v3, v0, vcc
	v_lshlrev_b64 v[2:3], v2, v[22:23]
	v_lshlrev_b32_e32 v3, 24, v22
	v_lshlrev_b32_e32 v2, 20, v2
	v_bfrev_b32_e32 v16, 60
	v_and_b32_e32 v2, 0x700000, v2
	v_and_b32_e32 v3, 0x80000000, v3
	v_lshl_add_u32 v0, v0, 23, v16
	v_or3_b32 v0, v3, v0, v2
.LBB6_12578:                            ;   in Loop: Header=BB6_10813 Depth=3
	s_or_b64 exec, exec, s[50:51]
.LBB6_12579:                            ;   in Loop: Header=BB6_10813 Depth=3
	s_or_b64 exec, exec, s[48:49]
.LBB6_12580:                            ;   in Loop: Header=BB6_10813 Depth=3
	s_or_b64 exec, exec, s[38:39]
	v_cmp_ne_u16_sdwa vcc, v18, v53 src0_sel:BYTE_0 src1_sel:DWORD
	s_and_saveexec_b64 s[38:39], vcc
	s_cbranch_execz .LBB6_12586
; %bb.12581:                            ;   in Loop: Header=BB6_10813 Depth=3
	v_cmp_ne_u16_sdwa vcc, v18, s82 src0_sel:BYTE_0 src1_sel:DWORD
	v_bfrev_b32_e32 v1, 1
	s_and_saveexec_b64 s[48:49], vcc
	s_cbranch_execz .LBB6_12585
; %bb.12582:                            ;   in Loop: Header=BB6_10813 Depth=3
	v_and_b32_e32 v2, 0x7f, v18
	v_cmp_ne_u32_e32 vcc, s83, v2
	v_mov_b32_e32 v1, 0x7f800001
	s_and_saveexec_b64 s[50:51], vcc
	s_cbranch_execz .LBB6_12584
; %bb.12583:                            ;   in Loop: Header=BB6_10813 Depth=3
	v_and_b32_e32 v1, 7, v18
	v_ffbh_u32_e32 v1, v1
	v_min_u32_e32 v1, 32, v1
	v_lshrrev_b32_e32 v3, 3, v2
	v_cmp_gt_u32_e32 vcc, 8, v2
	v_subrev_u32_e32 v2, 28, v1
	v_sub_u32_e32 v1, 29, v1
	v_cndmask_b32_e32 v3, v3, v1, vcc
	v_cndmask_b32_e32 v1, 0, v2, vcc
	v_lshlrev_b64 v[1:2], v1, v[18:19]
	v_lshlrev_b32_e32 v2, 24, v18
	v_lshlrev_b32_e32 v1, 20, v1
	v_bfrev_b32_e32 v16, 60
	v_and_b32_e32 v1, 0x700000, v1
	v_and_b32_e32 v2, 0x80000000, v2
	v_lshl_add_u32 v3, v3, 23, v16
	v_or3_b32 v1, v2, v3, v1
.LBB6_12584:                            ;   in Loop: Header=BB6_10813 Depth=3
	s_or_b64 exec, exec, s[50:51]
.LBB6_12585:                            ;   in Loop: Header=BB6_10813 Depth=3
	s_or_b64 exec, exec, s[48:49]
.LBB6_12586:                            ;   in Loop: Header=BB6_10813 Depth=3
	s_or_b64 exec, exec, s[38:39]
	v_max_f32_e32 v1, v1, v1
	v_max_f32_e32 v0, v0, v0
	;; [unrolled: 1-line block ×3, first 2 shown]
	s_mov_b64 s[38:39], 0
.LBB6_12587:                            ;   in Loop: Header=BB6_10813 Depth=3
	s_and_b64 vcc, exec, s[38:39]
	s_cbranch_vccz .LBB6_12601
; %bb.12588:                            ;   in Loop: Header=BB6_10813 Depth=3
	v_mov_b32_e32 v1, 0
	v_mov_b32_e32 v0, 0
	s_and_saveexec_b64 s[38:39], s[40:41]
	s_cbranch_execz .LBB6_12594
; %bb.12589:                            ;   in Loop: Header=BB6_10813 Depth=3
	v_cmp_ne_u16_sdwa vcc, v22, s82 src0_sel:BYTE_0 src1_sel:DWORD
	v_bfrev_b32_e32 v0, 1
	s_and_saveexec_b64 s[40:41], vcc
	s_cbranch_execz .LBB6_12593
; %bb.12590:                            ;   in Loop: Header=BB6_10813 Depth=3
	v_and_b32_e32 v2, 0x7f, v22
	v_cmp_ne_u32_e32 vcc, s83, v2
	v_mov_b32_e32 v0, 0x7f800001
	s_and_saveexec_b64 s[48:49], vcc
	s_cbranch_execz .LBB6_12592
; %bb.12591:                            ;   in Loop: Header=BB6_10813 Depth=3
	v_and_b32_e32 v0, 7, v22
	v_ffbh_u32_e32 v0, v0
	v_min_u32_e32 v0, 32, v0
	v_lshrrev_b32_e32 v3, 3, v2
	v_cmp_gt_u32_e32 vcc, 8, v2
	v_subrev_u32_e32 v2, 28, v0
	v_sub_u32_e32 v0, 29, v0
	v_cndmask_b32_e32 v2, 0, v2, vcc
	v_cndmask_b32_e32 v0, v3, v0, vcc
	v_lshlrev_b64 v[2:3], v2, v[22:23]
	v_lshlrev_b32_e32 v3, 24, v22
	v_lshlrev_b32_e32 v2, 20, v2
	v_bfrev_b32_e32 v16, 60
	v_and_b32_e32 v2, 0x700000, v2
	v_and_b32_e32 v3, 0x80000000, v3
	v_lshl_add_u32 v0, v0, 23, v16
	v_or3_b32 v0, v3, v0, v2
.LBB6_12592:                            ;   in Loop: Header=BB6_10813 Depth=3
	s_or_b64 exec, exec, s[48:49]
.LBB6_12593:                            ;   in Loop: Header=BB6_10813 Depth=3
	s_or_b64 exec, exec, s[40:41]
.LBB6_12594:                            ;   in Loop: Header=BB6_10813 Depth=3
	s_or_b64 exec, exec, s[38:39]
	v_cmp_ne_u16_sdwa vcc, v18, v53 src0_sel:BYTE_0 src1_sel:DWORD
	s_and_saveexec_b64 s[40:41], vcc
	s_cbranch_execz .LBB6_12600
; %bb.12595:                            ;   in Loop: Header=BB6_10813 Depth=3
	v_cmp_ne_u16_sdwa vcc, v18, s82 src0_sel:BYTE_0 src1_sel:DWORD
	v_bfrev_b32_e32 v1, 1
	s_and_saveexec_b64 s[38:39], vcc
	s_cbranch_execz .LBB6_12599
; %bb.12596:                            ;   in Loop: Header=BB6_10813 Depth=3
	v_and_b32_e32 v2, 0x7f, v18
	v_cmp_ne_u32_e32 vcc, s83, v2
	v_mov_b32_e32 v1, 0x7f800001
	s_and_saveexec_b64 s[48:49], vcc
	s_cbranch_execz .LBB6_12598
; %bb.12597:                            ;   in Loop: Header=BB6_10813 Depth=3
	v_and_b32_e32 v1, 7, v18
	v_ffbh_u32_e32 v1, v1
	v_min_u32_e32 v1, 32, v1
	v_lshrrev_b32_e32 v3, 3, v2
	v_cmp_gt_u32_e32 vcc, 8, v2
	v_subrev_u32_e32 v2, 28, v1
	v_sub_u32_e32 v1, 29, v1
	v_cndmask_b32_e32 v3, v3, v1, vcc
	v_cndmask_b32_e32 v1, 0, v2, vcc
	v_lshlrev_b64 v[1:2], v1, v[18:19]
	v_lshlrev_b32_e32 v2, 24, v18
	v_lshlrev_b32_e32 v1, 20, v1
	v_bfrev_b32_e32 v16, 60
	v_and_b32_e32 v1, 0x700000, v1
	v_and_b32_e32 v2, 0x80000000, v2
	v_lshl_add_u32 v3, v3, 23, v16
	v_or3_b32 v1, v2, v3, v1
.LBB6_12598:                            ;   in Loop: Header=BB6_10813 Depth=3
	s_or_b64 exec, exec, s[48:49]
.LBB6_12599:                            ;   in Loop: Header=BB6_10813 Depth=3
	s_or_b64 exec, exec, s[38:39]
.LBB6_12600:                            ;   in Loop: Header=BB6_10813 Depth=3
	s_or_b64 exec, exec, s[40:41]
	v_max_f32_e32 v1, v1, v1
	v_max_f32_e32 v0, v0, v0
	v_min_f32_e32 v0, v0, v1
.LBB6_12601:                            ;   in Loop: Header=BB6_10813 Depth=3
	v_and_b32_e32 v52, 0x7f800000, v0
	v_cmp_ne_u64_e32 vcc, s[76:77], v[52:53]
                                        ; implicit-def: $vgpr21
	s_and_saveexec_b64 s[40:41], vcc
	s_xor_b64 s[38:39], exec, s[40:41]
	s_cbranch_execz .LBB6_12615
; %bb.12602:                            ;   in Loop: Header=BB6_10813 Depth=3
	v_and_b32_e32 v52, 0x7fffffff, v0
	v_cmp_gt_u64_e32 vcc, s[78:79], v[52:53]
	v_and_b32_sdwa v3, v0, s82 dst_sel:DWORD dst_unused:UNUSED_PAD src0_sel:BYTE_3 src1_sel:DWORD
                                        ; implicit-def: $vgpr21
	s_and_saveexec_b64 s[40:41], vcc
	s_xor_b64 s[48:49], exec, s[40:41]
	s_cbranch_execz .LBB6_12612
; %bb.12603:                            ;   in Loop: Header=BB6_10813 Depth=3
	v_mov_b32_e32 v21, 0
	v_cmp_ne_u32_e32 vcc, 0, v0
	s_and_saveexec_b64 s[50:51], vcc
	s_cbranch_execz .LBB6_12611
; %bb.12604:                            ;   in Loop: Header=BB6_10813 Depth=3
	v_bfe_u32 v16, v0, 23, 8
	v_and_b32_e32 v1, 0x7fffff, v0
	v_cmp_gt_u32_e64 s[40:41], s85, v16
	v_sub_u32_e32 v0, 0x79, v16
	v_cmp_eq_u32_e32 vcc, 0, v16
	v_cndmask_b32_e64 v0, 0, v0, s[40:41]
	v_mov_b32_e32 v17, 0x78
	v_cndmask_b32_e32 v17, v0, v17, vcc
	v_or_b32_e32 v2, 0x800000, v1
	v_add_u32_e32 v0, 20, v17
	v_cndmask_b32_e32 v52, v2, v1, vcc
	v_lshlrev_b64 v[0:1], v0, -1
	v_add_u32_e32 v2, 19, v17
	v_lshlrev_b64 v[36:37], v2, 1
	v_bfi_b32 v1, v1, 0, 0
	v_bfi_b32 v0, v0, 0, v52
	v_cmp_eq_u64_e64 s[40:41], v[0:1], v[36:37]
	v_lshrrev_b64 v[0:1], v17, v[52:53]
	v_mov_b32_e32 v2, v1
	v_mov_b32_e32 v1, v0
	s_and_saveexec_b64 s[52:53], s[40:41]
; %bb.12605:                            ;   in Loop: Header=BB6_10813 Depth=3
	v_bfe_u32 v1, v0, 20, 1
	v_add_co_u32_e64 v1, s[40:41], v0, v1
	v_add_co_u32_e64 v1, s[40:41], -1, v1
; %bb.12606:                            ;   in Loop: Header=BB6_10813 Depth=3
	s_or_b64 exec, exec, s[52:53]
	v_add_u32_e32 v2, 0xffffff81, v16
	v_mov_b32_e32 v16, 0xffffff82
	v_cndmask_b32_e32 v2, v2, v16, vcc
	v_lshrrev_b32_e32 v16, 23, v0
	v_add3_u32 v17, v17, v2, v16
	v_add_u32_e32 v16, 6, v17
	v_and_b32_e32 v1, 0xfffff, v1
	v_add_u32_e32 v52, v1, v0
	v_cmp_ne_u32_e32 vcc, 0, v16
                                        ; implicit-def: $vgpr0_vgpr1
                                        ; implicit-def: $vgpr2
	s_and_saveexec_b64 s[40:41], vcc
	s_xor_b64 s[40:41], exec, s[40:41]
; %bb.12607:                            ;   in Loop: Header=BB6_10813 Depth=3
	v_cmp_lt_u64_e32 vcc, s[88:89], v[52:53]
	v_add_u32_e32 v0, 7, v17
	v_cndmask_b32_e32 v2, v16, v0, vcc
	v_cndmask_b32_e64 v0, 0, 1, vcc
	v_lshrrev_b64 v[0:1], v0, v[52:53]
; %bb.12608:                            ;   in Loop: Header=BB6_10813 Depth=3
	s_andn2_saveexec_b64 s[40:41], s[40:41]
; %bb.12609:                            ;   in Loop: Header=BB6_10813 Depth=3
	v_mov_b32_e32 v0, v52
	v_bfe_u32 v2, v52, 23, 1
	v_mov_b32_e32 v1, v53
; %bb.12610:                            ;   in Loop: Header=BB6_10813 Depth=3
	s_or_b64 exec, exec, s[40:41]
	v_lshrrev_b64 v[0:1], 20, v[0:1]
	v_cmp_gt_i32_e32 vcc, 16, v2
	v_cndmask_b32_e32 v1, 0, v1, vcc
	v_cndmask_b32_e32 v0, 7, v0, vcc
	v_cmp_eq_u64_e64 s[40:41], 0, v[0:1]
	v_min_i32_e32 v1, 15, v2
	v_lshlrev_b32_e32 v1, 3, v1
	v_cmp_eq_u32_e32 vcc, 0, v2
	v_and_b32_e32 v1, 0xf8, v1
	v_and_or_b32 v0, v0, 7, v1
	s_and_b64 s[40:41], vcc, s[40:41]
	v_cndmask_b32_e64 v0, v0, 0, s[40:41]
	v_or_b32_e32 v21, v0, v3
.LBB6_12611:                            ;   in Loop: Header=BB6_10813 Depth=3
	s_or_b64 exec, exec, s[50:51]
                                        ; implicit-def: $vgpr3
.LBB6_12612:                            ;   in Loop: Header=BB6_10813 Depth=3
	s_andn2_saveexec_b64 s[40:41], s[48:49]
; %bb.12613:                            ;   in Loop: Header=BB6_10813 Depth=3
	v_or_b32_e32 v21, 0x7e, v3
; %bb.12614:                            ;   in Loop: Header=BB6_10813 Depth=3
	s_or_b64 exec, exec, s[40:41]
                                        ; implicit-def: $vgpr0
.LBB6_12615:                            ;   in Loop: Header=BB6_10813 Depth=3
	s_andn2_saveexec_b64 s[40:41], s[38:39]
; %bb.12616:                            ;   in Loop: Header=BB6_10813 Depth=3
	v_or_b32_sdwa v21, v0, s83 dst_sel:DWORD dst_unused:UNUSED_PAD src0_sel:BYTE_3 src1_sel:DWORD
; %bb.12617:                            ;   in Loop: Header=BB6_10813 Depth=3
	s_or_b64 exec, exec, s[40:41]
	v_lshrrev_b16_e32 v2, 8, v22
	v_lshrrev_b16_e32 v0, 8, v18
	v_cmp_ne_u16_e64 s[40:41], 0, v2
	s_and_b64 vcc, exec, s[28:29]
	s_mov_b64 s[38:39], -1
                                        ; implicit-def: $vgpr1
	s_cbranch_vccnz .LBB6_12631
; %bb.12618:                            ;   in Loop: Header=BB6_10813 Depth=3
	v_mov_b32_e32 v3, 0
	v_mov_b32_e32 v1, 0
	s_and_saveexec_b64 s[38:39], s[40:41]
	s_cbranch_execz .LBB6_12624
; %bb.12619:                            ;   in Loop: Header=BB6_10813 Depth=3
	v_cmp_ne_u16_e32 vcc, s82, v2
	v_bfrev_b32_e32 v1, 1
	s_and_saveexec_b64 s[48:49], vcc
	s_cbranch_execz .LBB6_12623
; %bb.12620:                            ;   in Loop: Header=BB6_10813 Depth=3
	v_and_b32_e32 v16, 0x7f, v2
	v_cmp_ne_u32_e32 vcc, s83, v16
	v_mov_b32_e32 v1, 0x7f800001
	s_and_saveexec_b64 s[50:51], vcc
	s_cbranch_execz .LBB6_12622
; %bb.12621:                            ;   in Loop: Header=BB6_10813 Depth=3
	v_and_b32_e32 v1, 7, v2
	v_lshrrev_b32_e32 v36, 3, v16
	v_cmp_gt_u32_e32 vcc, 8, v16
	v_ffbh_u32_e32 v16, v1
	v_min_u32_e32 v37, 32, v16
	v_subrev_u32_e32 v16, 28, v37
	v_lshlrev_b64 v[16:17], v16, v[2:3]
	v_sub_u32_e32 v17, 29, v37
	v_and_b32_e32 v16, 7, v16
	v_cndmask_b32_e32 v17, v36, v17, vcc
	v_cndmask_b32_e32 v1, v1, v16, vcc
	v_lshlrev_b32_e32 v16, 16, v22
	v_bfrev_b32_e32 v36, 60
	v_lshlrev_b32_e32 v1, 20, v1
	v_and_b32_e32 v16, 0x80000000, v16
	v_lshl_add_u32 v17, v17, 23, v36
	v_or3_b32 v1, v16, v17, v1
.LBB6_12622:                            ;   in Loop: Header=BB6_10813 Depth=3
	s_or_b64 exec, exec, s[50:51]
.LBB6_12623:                            ;   in Loop: Header=BB6_10813 Depth=3
	s_or_b64 exec, exec, s[48:49]
.LBB6_12624:                            ;   in Loop: Header=BB6_10813 Depth=3
	s_or_b64 exec, exec, s[38:39]
	v_cmp_ne_u16_e32 vcc, 0, v0
	s_and_saveexec_b64 s[38:39], vcc
	s_cbranch_execz .LBB6_12630
; %bb.12625:                            ;   in Loop: Header=BB6_10813 Depth=3
	v_cmp_ne_u16_e32 vcc, s82, v0
	v_bfrev_b32_e32 v3, 1
	s_and_saveexec_b64 s[48:49], vcc
	s_cbranch_execz .LBB6_12629
; %bb.12626:                            ;   in Loop: Header=BB6_10813 Depth=3
	v_and_b32_e32 v16, 0x7f, v0
	v_cmp_ne_u32_e32 vcc, s83, v16
	v_mov_b32_e32 v3, 0x7f800001
	s_and_saveexec_b64 s[50:51], vcc
	s_cbranch_execz .LBB6_12628
; %bb.12627:                            ;   in Loop: Header=BB6_10813 Depth=3
	v_and_b32_e32 v3, 7, v0
	v_lshrrev_b32_e32 v36, 3, v16
	v_cmp_gt_u32_e32 vcc, 8, v16
	v_ffbh_u32_e32 v16, v3
	v_min_u32_e32 v37, 32, v16
	v_subrev_u32_e32 v16, 28, v37
	v_lshlrev_b64 v[16:17], v16, v[0:1]
	v_sub_u32_e32 v17, 29, v37
	v_and_b32_e32 v16, 7, v16
	v_cndmask_b32_e32 v17, v36, v17, vcc
	v_cndmask_b32_e32 v3, v3, v16, vcc
	v_lshlrev_b32_e32 v16, 16, v18
	v_bfrev_b32_e32 v36, 60
	v_lshlrev_b32_e32 v3, 20, v3
	v_and_b32_e32 v16, 0x80000000, v16
	v_lshl_add_u32 v17, v17, 23, v36
	v_or3_b32 v3, v16, v17, v3
.LBB6_12628:                            ;   in Loop: Header=BB6_10813 Depth=3
	s_or_b64 exec, exec, s[50:51]
.LBB6_12629:                            ;   in Loop: Header=BB6_10813 Depth=3
	s_or_b64 exec, exec, s[48:49]
.LBB6_12630:                            ;   in Loop: Header=BB6_10813 Depth=3
	s_or_b64 exec, exec, s[38:39]
	v_max_f32_e32 v3, v3, v3
	v_max_f32_e32 v1, v1, v1
	;; [unrolled: 1-line block ×3, first 2 shown]
	s_mov_b64 s[38:39], 0
.LBB6_12631:                            ;   in Loop: Header=BB6_10813 Depth=3
	s_and_b64 vcc, exec, s[38:39]
	s_cbranch_vccz .LBB6_12645
; %bb.12632:                            ;   in Loop: Header=BB6_10813 Depth=3
	v_mov_b32_e32 v3, 0
	v_mov_b32_e32 v1, 0
	s_and_saveexec_b64 s[38:39], s[40:41]
	s_cbranch_execz .LBB6_12638
; %bb.12633:                            ;   in Loop: Header=BB6_10813 Depth=3
	v_cmp_ne_u16_e32 vcc, s82, v2
	v_bfrev_b32_e32 v1, 1
	s_and_saveexec_b64 s[40:41], vcc
	s_cbranch_execz .LBB6_12637
; %bb.12634:                            ;   in Loop: Header=BB6_10813 Depth=3
	v_and_b32_e32 v16, 0x7f, v2
	v_cmp_ne_u32_e32 vcc, s83, v16
	v_mov_b32_e32 v1, 0x7f800001
	s_and_saveexec_b64 s[48:49], vcc
	s_cbranch_execz .LBB6_12636
; %bb.12635:                            ;   in Loop: Header=BB6_10813 Depth=3
	v_and_b32_e32 v17, 7, v2
	v_ffbh_u32_e32 v1, v17
	v_lshrrev_b32_e32 v36, 3, v16
	v_cmp_gt_u32_e32 vcc, 8, v16
	v_min_u32_e32 v16, 32, v1
	v_subrev_u32_e32 v1, 28, v16
	v_lshlrev_b64 v[1:2], v1, v[2:3]
	v_sub_u32_e32 v2, 29, v16
	v_and_b32_e32 v1, 7, v1
	v_cndmask_b32_e32 v2, v36, v2, vcc
	v_cndmask_b32_e32 v1, v17, v1, vcc
	v_lshlrev_b32_e32 v16, 16, v22
	v_bfrev_b32_e32 v17, 60
	v_lshlrev_b32_e32 v1, 20, v1
	v_and_b32_e32 v16, 0x80000000, v16
	v_lshl_add_u32 v2, v2, 23, v17
	v_or3_b32 v1, v16, v2, v1
.LBB6_12636:                            ;   in Loop: Header=BB6_10813 Depth=3
	s_or_b64 exec, exec, s[48:49]
.LBB6_12637:                            ;   in Loop: Header=BB6_10813 Depth=3
	s_or_b64 exec, exec, s[40:41]
.LBB6_12638:                            ;   in Loop: Header=BB6_10813 Depth=3
	s_or_b64 exec, exec, s[38:39]
	v_cmp_ne_u16_e32 vcc, 0, v0
	s_and_saveexec_b64 s[40:41], vcc
	s_cbranch_execz .LBB6_12644
; %bb.12639:                            ;   in Loop: Header=BB6_10813 Depth=3
	v_cmp_ne_u16_e32 vcc, s82, v0
	v_bfrev_b32_e32 v3, 1
	s_and_saveexec_b64 s[38:39], vcc
	s_cbranch_execz .LBB6_12643
; %bb.12640:                            ;   in Loop: Header=BB6_10813 Depth=3
	v_and_b32_e32 v2, 0x7f, v0
	v_cmp_ne_u32_e32 vcc, s83, v2
	v_mov_b32_e32 v3, 0x7f800001
	s_and_saveexec_b64 s[48:49], vcc
	s_cbranch_execz .LBB6_12642
; %bb.12641:                            ;   in Loop: Header=BB6_10813 Depth=3
	v_and_b32_e32 v16, 7, v0
	v_lshrrev_b32_e32 v17, 3, v2
	v_cmp_gt_u32_e32 vcc, 8, v2
	v_ffbh_u32_e32 v2, v16
	v_min_u32_e32 v36, 32, v2
	v_subrev_u32_e32 v2, 28, v36
	v_lshlrev_b64 v[2:3], v2, v[0:1]
	v_sub_u32_e32 v0, 29, v36
	v_and_b32_e32 v2, 7, v2
	v_cndmask_b32_e32 v0, v17, v0, vcc
	v_cndmask_b32_e32 v2, v16, v2, vcc
	v_lshlrev_b32_e32 v3, 16, v18
	v_bfrev_b32_e32 v16, 60
	v_lshlrev_b32_e32 v2, 20, v2
	v_and_b32_e32 v3, 0x80000000, v3
	v_lshl_add_u32 v0, v0, 23, v16
	v_or3_b32 v3, v3, v0, v2
.LBB6_12642:                            ;   in Loop: Header=BB6_10813 Depth=3
	s_or_b64 exec, exec, s[48:49]
.LBB6_12643:                            ;   in Loop: Header=BB6_10813 Depth=3
	s_or_b64 exec, exec, s[38:39]
.LBB6_12644:                            ;   in Loop: Header=BB6_10813 Depth=3
	s_or_b64 exec, exec, s[40:41]
	v_max_f32_e32 v0, v3, v3
	v_max_f32_e32 v1, v1, v1
	v_min_f32_e32 v1, v1, v0
.LBB6_12645:                            ;   in Loop: Header=BB6_10813 Depth=3
	v_and_b32_e32 v52, 0x7f800000, v1
	v_cmp_ne_u64_e32 vcc, s[76:77], v[52:53]
	v_mov_b32_e32 v55, v35
	v_mov_b32_e32 v35, v34
	;; [unrolled: 1-line block ×5, first 2 shown]
                                        ; implicit-def: $vgpr47
	s_and_saveexec_b64 s[40:41], vcc
	s_xor_b64 s[38:39], exec, s[40:41]
	s_cbranch_execz .LBB6_12659
; %bb.12646:                            ;   in Loop: Header=BB6_10813 Depth=3
	v_and_b32_e32 v52, 0x7fffffff, v1
	v_cmp_gt_u64_e32 vcc, s[78:79], v[52:53]
	v_and_b32_sdwa v3, v1, s82 dst_sel:DWORD dst_unused:UNUSED_PAD src0_sel:BYTE_3 src1_sel:DWORD
                                        ; implicit-def: $vgpr47
	s_and_saveexec_b64 s[40:41], vcc
	s_xor_b64 s[48:49], exec, s[40:41]
	s_cbranch_execz .LBB6_12656
; %bb.12647:                            ;   in Loop: Header=BB6_10813 Depth=3
	v_mov_b32_e32 v47, 0
	v_cmp_ne_u32_e32 vcc, 0, v1
	s_and_saveexec_b64 s[50:51], vcc
	s_cbranch_execz .LBB6_12655
; %bb.12648:                            ;   in Loop: Header=BB6_10813 Depth=3
	v_bfe_u32 v16, v1, 23, 8
	v_and_b32_e32 v0, 0x7fffff, v1
	v_cmp_gt_u32_e64 s[40:41], s85, v16
	v_sub_u32_e32 v1, 0x79, v16
	v_cmp_eq_u32_e32 vcc, 0, v16
	v_cndmask_b32_e64 v1, 0, v1, s[40:41]
	v_mov_b32_e32 v17, 0x78
	v_or_b32_e32 v2, 0x800000, v0
	v_cndmask_b32_e32 v17, v1, v17, vcc
	v_cndmask_b32_e32 v52, v2, v0, vcc
	v_add_u32_e32 v0, 20, v17
	v_lshlrev_b64 v[0:1], v0, -1
	v_add_u32_e32 v2, 19, v17
	v_lshlrev_b64 v[36:37], v2, 1
	v_bfi_b32 v1, v1, 0, 0
	v_bfi_b32 v0, v0, 0, v52
	v_cmp_eq_u64_e64 s[40:41], v[0:1], v[36:37]
	v_lshrrev_b64 v[0:1], v17, v[52:53]
	v_mov_b32_e32 v2, v1
	v_mov_b32_e32 v1, v0
	s_and_saveexec_b64 s[52:53], s[40:41]
; %bb.12649:                            ;   in Loop: Header=BB6_10813 Depth=3
	v_bfe_u32 v1, v0, 20, 1
	v_add_co_u32_e64 v1, s[40:41], v0, v1
	v_add_co_u32_e64 v1, s[40:41], -1, v1
; %bb.12650:                            ;   in Loop: Header=BB6_10813 Depth=3
	s_or_b64 exec, exec, s[52:53]
	v_add_u32_e32 v2, 0xffffff81, v16
	v_mov_b32_e32 v16, 0xffffff82
	v_cndmask_b32_e32 v2, v2, v16, vcc
	v_lshrrev_b32_e32 v16, 23, v0
	v_add3_u32 v17, v17, v2, v16
	v_add_u32_e32 v16, 6, v17
	v_and_b32_e32 v1, 0xfffff, v1
	v_add_u32_e32 v52, v1, v0
	v_cmp_ne_u32_e32 vcc, 0, v16
                                        ; implicit-def: $vgpr0_vgpr1
                                        ; implicit-def: $vgpr2
	s_and_saveexec_b64 s[40:41], vcc
	s_xor_b64 s[40:41], exec, s[40:41]
; %bb.12651:                            ;   in Loop: Header=BB6_10813 Depth=3
	v_cmp_lt_u64_e32 vcc, s[88:89], v[52:53]
	v_add_u32_e32 v0, 7, v17
	v_cndmask_b32_e32 v2, v16, v0, vcc
	v_cndmask_b32_e64 v0, 0, 1, vcc
	v_lshrrev_b64 v[0:1], v0, v[52:53]
; %bb.12652:                            ;   in Loop: Header=BB6_10813 Depth=3
	s_andn2_saveexec_b64 s[40:41], s[40:41]
; %bb.12653:                            ;   in Loop: Header=BB6_10813 Depth=3
	v_mov_b32_e32 v0, v52
	v_bfe_u32 v2, v52, 23, 1
	v_mov_b32_e32 v1, v53
; %bb.12654:                            ;   in Loop: Header=BB6_10813 Depth=3
	s_or_b64 exec, exec, s[40:41]
	v_lshrrev_b64 v[0:1], 20, v[0:1]
	v_cmp_gt_i32_e32 vcc, 16, v2
	v_cndmask_b32_e32 v1, 0, v1, vcc
	v_cndmask_b32_e32 v0, 7, v0, vcc
	v_cmp_eq_u64_e64 s[40:41], 0, v[0:1]
	v_min_i32_e32 v1, 15, v2
	v_lshlrev_b32_e32 v1, 3, v1
	v_cmp_eq_u32_e32 vcc, 0, v2
	v_and_b32_e32 v1, 0xf8, v1
	v_and_or_b32 v0, v0, 7, v1
	s_and_b64 s[40:41], vcc, s[40:41]
	v_cndmask_b32_e64 v0, v0, 0, s[40:41]
	v_or_b32_e32 v47, v0, v3
.LBB6_12655:                            ;   in Loop: Header=BB6_10813 Depth=3
	s_or_b64 exec, exec, s[50:51]
                                        ; implicit-def: $vgpr3
.LBB6_12656:                            ;   in Loop: Header=BB6_10813 Depth=3
	s_andn2_saveexec_b64 s[40:41], s[48:49]
; %bb.12657:                            ;   in Loop: Header=BB6_10813 Depth=3
	v_or_b32_e32 v47, 0x7e, v3
; %bb.12658:                            ;   in Loop: Header=BB6_10813 Depth=3
	s_or_b64 exec, exec, s[40:41]
                                        ; implicit-def: $vgpr1
.LBB6_12659:                            ;   in Loop: Header=BB6_10813 Depth=3
	s_andn2_saveexec_b64 s[40:41], s[38:39]
; %bb.12660:                            ;   in Loop: Header=BB6_10813 Depth=3
	v_or_b32_sdwa v47, v1, s83 dst_sel:DWORD dst_unused:UNUSED_PAD src0_sel:BYTE_3 src1_sel:DWORD
; %bb.12661:                            ;   in Loop: Header=BB6_10813 Depth=3
	s_or_b64 exec, exec, s[40:41]
	v_lshrrev_b32_e32 v2, 16, v22
	v_lshrrev_b32_e32 v0, 16, v18
	v_cmp_ne_u16_sdwa s[40:41], v2, v53 src0_sel:BYTE_0 src1_sel:DWORD
	s_and_b64 vcc, exec, s[28:29]
	s_mov_b64 s[38:39], -1
                                        ; implicit-def: $vgpr1
	s_cbranch_vccnz .LBB6_12675
; %bb.12662:                            ;   in Loop: Header=BB6_10813 Depth=3
	v_mov_b32_e32 v3, 0
	v_mov_b32_e32 v1, 0
	s_and_saveexec_b64 s[38:39], s[40:41]
	s_cbranch_execz .LBB6_12668
; %bb.12663:                            ;   in Loop: Header=BB6_10813 Depth=3
	v_cmp_ne_u16_sdwa vcc, v2, s82 src0_sel:BYTE_0 src1_sel:DWORD
	v_bfrev_b32_e32 v1, 1
	s_and_saveexec_b64 s[48:49], vcc
	s_cbranch_execz .LBB6_12667
; %bb.12664:                            ;   in Loop: Header=BB6_10813 Depth=3
	v_bfe_u32 v16, v22, 16, 7
	v_cmp_ne_u32_e32 vcc, s83, v16
	v_mov_b32_e32 v1, 0x7f800001
	s_and_saveexec_b64 s[50:51], vcc
	s_cbranch_execz .LBB6_12666
; %bb.12665:                            ;   in Loop: Header=BB6_10813 Depth=3
	v_and_b32_e32 v1, 7, v2
	v_lshrrev_b32_e32 v36, 3, v16
	v_cmp_gt_u32_e32 vcc, 8, v16
	v_ffbh_u32_e32 v16, v1
	v_min_u32_e32 v37, 32, v16
	v_subrev_u32_e32 v16, 28, v37
	v_lshlrev_b64 v[16:17], v16, v[2:3]
	v_sub_u32_e32 v17, 29, v37
	v_and_b32_e32 v16, 7, v16
	v_cndmask_b32_e32 v17, v36, v17, vcc
	v_cndmask_b32_e32 v1, v1, v16, vcc
	v_lshlrev_b32_e32 v16, 24, v2
	v_bfrev_b32_e32 v36, 60
	v_lshlrev_b32_e32 v1, 20, v1
	v_and_b32_e32 v16, 0x80000000, v16
	v_lshl_add_u32 v17, v17, 23, v36
	v_or3_b32 v1, v16, v17, v1
.LBB6_12666:                            ;   in Loop: Header=BB6_10813 Depth=3
	s_or_b64 exec, exec, s[50:51]
.LBB6_12667:                            ;   in Loop: Header=BB6_10813 Depth=3
	s_or_b64 exec, exec, s[48:49]
.LBB6_12668:                            ;   in Loop: Header=BB6_10813 Depth=3
	s_or_b64 exec, exec, s[38:39]
	v_cmp_ne_u16_sdwa vcc, v0, v53 src0_sel:BYTE_0 src1_sel:DWORD
	s_and_saveexec_b64 s[38:39], vcc
	s_cbranch_execz .LBB6_12674
; %bb.12669:                            ;   in Loop: Header=BB6_10813 Depth=3
	v_cmp_ne_u16_sdwa vcc, v0, s82 src0_sel:BYTE_0 src1_sel:DWORD
	v_bfrev_b32_e32 v3, 1
	s_and_saveexec_b64 s[48:49], vcc
	s_cbranch_execz .LBB6_12673
; %bb.12670:                            ;   in Loop: Header=BB6_10813 Depth=3
	v_bfe_u32 v16, v18, 16, 7
	v_cmp_ne_u32_e32 vcc, s83, v16
	v_mov_b32_e32 v3, 0x7f800001
	s_and_saveexec_b64 s[50:51], vcc
	s_cbranch_execz .LBB6_12672
; %bb.12671:                            ;   in Loop: Header=BB6_10813 Depth=3
	v_and_b32_e32 v3, 7, v0
	v_lshrrev_b32_e32 v36, 3, v16
	v_cmp_gt_u32_e32 vcc, 8, v16
	v_ffbh_u32_e32 v16, v3
	v_min_u32_e32 v37, 32, v16
	v_subrev_u32_e32 v16, 28, v37
	v_lshlrev_b64 v[16:17], v16, v[0:1]
	v_sub_u32_e32 v17, 29, v37
	v_and_b32_e32 v16, 7, v16
	v_cndmask_b32_e32 v17, v36, v17, vcc
	v_cndmask_b32_e32 v3, v3, v16, vcc
	v_lshlrev_b32_e32 v16, 24, v0
	v_bfrev_b32_e32 v36, 60
	v_lshlrev_b32_e32 v3, 20, v3
	v_and_b32_e32 v16, 0x80000000, v16
	v_lshl_add_u32 v17, v17, 23, v36
	v_or3_b32 v3, v16, v17, v3
.LBB6_12672:                            ;   in Loop: Header=BB6_10813 Depth=3
	s_or_b64 exec, exec, s[50:51]
.LBB6_12673:                            ;   in Loop: Header=BB6_10813 Depth=3
	s_or_b64 exec, exec, s[48:49]
.LBB6_12674:                            ;   in Loop: Header=BB6_10813 Depth=3
	s_or_b64 exec, exec, s[38:39]
	v_max_f32_e32 v3, v3, v3
	v_max_f32_e32 v1, v1, v1
	v_max_f32_e32 v1, v1, v3
	s_mov_b64 s[38:39], 0
.LBB6_12675:                            ;   in Loop: Header=BB6_10813 Depth=3
	s_and_b64 vcc, exec, s[38:39]
	s_cbranch_vccz .LBB6_12689
; %bb.12676:                            ;   in Loop: Header=BB6_10813 Depth=3
	v_mov_b32_e32 v3, 0
	v_mov_b32_e32 v1, 0
	s_and_saveexec_b64 s[38:39], s[40:41]
	s_cbranch_execz .LBB6_12682
; %bb.12677:                            ;   in Loop: Header=BB6_10813 Depth=3
	v_cmp_ne_u16_sdwa vcc, v2, s82 src0_sel:BYTE_0 src1_sel:DWORD
	v_bfrev_b32_e32 v1, 1
	s_and_saveexec_b64 s[40:41], vcc
	s_cbranch_execz .LBB6_12681
; %bb.12678:                            ;   in Loop: Header=BB6_10813 Depth=3
	v_bfe_u32 v16, v22, 16, 7
	v_cmp_ne_u32_e32 vcc, s83, v16
	v_mov_b32_e32 v1, 0x7f800001
	s_and_saveexec_b64 s[48:49], vcc
	s_cbranch_execz .LBB6_12680
; %bb.12679:                            ;   in Loop: Header=BB6_10813 Depth=3
	v_and_b32_e32 v1, 7, v2
	v_lshrrev_b32_e32 v36, 3, v16
	v_cmp_gt_u32_e32 vcc, 8, v16
	v_ffbh_u32_e32 v16, v1
	v_min_u32_e32 v37, 32, v16
	v_subrev_u32_e32 v16, 28, v37
	v_lshlrev_b64 v[16:17], v16, v[2:3]
	v_sub_u32_e32 v17, 29, v37
	v_and_b32_e32 v16, 7, v16
	v_cndmask_b32_e32 v17, v36, v17, vcc
	v_cndmask_b32_e32 v1, v1, v16, vcc
	v_lshlrev_b32_e32 v2, 24, v2
	v_bfrev_b32_e32 v16, 60
	v_lshlrev_b32_e32 v1, 20, v1
	v_and_b32_e32 v2, 0x80000000, v2
	v_lshl_add_u32 v16, v17, 23, v16
	v_or3_b32 v1, v2, v16, v1
.LBB6_12680:                            ;   in Loop: Header=BB6_10813 Depth=3
	s_or_b64 exec, exec, s[48:49]
.LBB6_12681:                            ;   in Loop: Header=BB6_10813 Depth=3
	s_or_b64 exec, exec, s[40:41]
.LBB6_12682:                            ;   in Loop: Header=BB6_10813 Depth=3
	s_or_b64 exec, exec, s[38:39]
	v_cmp_ne_u16_sdwa vcc, v0, v53 src0_sel:BYTE_0 src1_sel:DWORD
	s_and_saveexec_b64 s[40:41], vcc
	s_cbranch_execz .LBB6_12688
; %bb.12683:                            ;   in Loop: Header=BB6_10813 Depth=3
	v_cmp_ne_u16_sdwa vcc, v0, s82 src0_sel:BYTE_0 src1_sel:DWORD
	v_bfrev_b32_e32 v3, 1
	s_and_saveexec_b64 s[38:39], vcc
	s_cbranch_execz .LBB6_12687
; %bb.12684:                            ;   in Loop: Header=BB6_10813 Depth=3
	v_bfe_u32 v2, v18, 16, 7
	v_cmp_ne_u32_e32 vcc, s83, v2
	v_mov_b32_e32 v3, 0x7f800001
	s_and_saveexec_b64 s[48:49], vcc
	s_cbranch_execz .LBB6_12686
; %bb.12685:                            ;   in Loop: Header=BB6_10813 Depth=3
	v_and_b32_e32 v16, 7, v0
	v_lshrrev_b32_e32 v17, 3, v2
	v_cmp_gt_u32_e32 vcc, 8, v2
	v_ffbh_u32_e32 v2, v16
	v_min_u32_e32 v36, 32, v2
	v_subrev_u32_e32 v2, 28, v36
	v_lshlrev_b64 v[2:3], v2, v[0:1]
	v_sub_u32_e32 v3, 29, v36
	v_and_b32_e32 v2, 7, v2
	v_cndmask_b32_e32 v3, v17, v3, vcc
	v_cndmask_b32_e32 v2, v16, v2, vcc
	v_lshlrev_b32_e32 v0, 24, v0
	v_bfrev_b32_e32 v16, 60
	v_lshlrev_b32_e32 v2, 20, v2
	v_and_b32_e32 v0, 0x80000000, v0
	v_lshl_add_u32 v3, v3, 23, v16
	v_or3_b32 v3, v0, v3, v2
.LBB6_12686:                            ;   in Loop: Header=BB6_10813 Depth=3
	s_or_b64 exec, exec, s[48:49]
.LBB6_12687:                            ;   in Loop: Header=BB6_10813 Depth=3
	s_or_b64 exec, exec, s[38:39]
.LBB6_12688:                            ;   in Loop: Header=BB6_10813 Depth=3
	s_or_b64 exec, exec, s[40:41]
	v_max_f32_e32 v0, v3, v3
	v_max_f32_e32 v1, v1, v1
	v_min_f32_e32 v1, v1, v0
.LBB6_12689:                            ;   in Loop: Header=BB6_10813 Depth=3
	v_and_b32_e32 v52, 0x7f800000, v1
	v_cmp_ne_u64_e32 vcc, s[76:77], v[52:53]
                                        ; implicit-def: $vgpr40
	s_and_saveexec_b64 s[40:41], vcc
	s_xor_b64 s[38:39], exec, s[40:41]
	s_cbranch_execz .LBB6_12703
; %bb.12690:                            ;   in Loop: Header=BB6_10813 Depth=3
	v_and_b32_e32 v52, 0x7fffffff, v1
	v_cmp_gt_u64_e32 vcc, s[78:79], v[52:53]
	v_and_b32_sdwa v3, v1, s82 dst_sel:DWORD dst_unused:UNUSED_PAD src0_sel:BYTE_3 src1_sel:DWORD
                                        ; implicit-def: $vgpr40
	s_and_saveexec_b64 s[40:41], vcc
	s_xor_b64 s[48:49], exec, s[40:41]
	s_cbranch_execz .LBB6_12700
; %bb.12691:                            ;   in Loop: Header=BB6_10813 Depth=3
	v_mov_b32_e32 v40, 0
	v_cmp_ne_u32_e32 vcc, 0, v1
	s_and_saveexec_b64 s[50:51], vcc
	s_cbranch_execz .LBB6_12699
; %bb.12692:                            ;   in Loop: Header=BB6_10813 Depth=3
	v_bfe_u32 v16, v1, 23, 8
	v_and_b32_e32 v0, 0x7fffff, v1
	v_cmp_gt_u32_e64 s[40:41], s85, v16
	v_sub_u32_e32 v1, 0x79, v16
	v_cmp_eq_u32_e32 vcc, 0, v16
	v_cndmask_b32_e64 v1, 0, v1, s[40:41]
	v_mov_b32_e32 v17, 0x78
	v_or_b32_e32 v2, 0x800000, v0
	v_cndmask_b32_e32 v17, v1, v17, vcc
	v_cndmask_b32_e32 v52, v2, v0, vcc
	v_add_u32_e32 v0, 20, v17
	v_lshlrev_b64 v[0:1], v0, -1
	v_add_u32_e32 v2, 19, v17
	v_lshlrev_b64 v[36:37], v2, 1
	v_bfi_b32 v1, v1, 0, 0
	v_bfi_b32 v0, v0, 0, v52
	v_cmp_eq_u64_e64 s[40:41], v[0:1], v[36:37]
	v_lshrrev_b64 v[0:1], v17, v[52:53]
	v_mov_b32_e32 v2, v1
	v_mov_b32_e32 v1, v0
	s_and_saveexec_b64 s[52:53], s[40:41]
; %bb.12693:                            ;   in Loop: Header=BB6_10813 Depth=3
	v_bfe_u32 v1, v0, 20, 1
	v_add_co_u32_e64 v1, s[40:41], v0, v1
	v_add_co_u32_e64 v1, s[40:41], -1, v1
; %bb.12694:                            ;   in Loop: Header=BB6_10813 Depth=3
	s_or_b64 exec, exec, s[52:53]
	v_add_u32_e32 v2, 0xffffff81, v16
	v_mov_b32_e32 v16, 0xffffff82
	v_cndmask_b32_e32 v2, v2, v16, vcc
	v_lshrrev_b32_e32 v16, 23, v0
	v_add3_u32 v17, v17, v2, v16
	v_add_u32_e32 v16, 6, v17
	v_and_b32_e32 v1, 0xfffff, v1
	v_add_u32_e32 v52, v1, v0
	v_cmp_ne_u32_e32 vcc, 0, v16
                                        ; implicit-def: $vgpr0_vgpr1
                                        ; implicit-def: $vgpr2
	s_and_saveexec_b64 s[40:41], vcc
	s_xor_b64 s[40:41], exec, s[40:41]
; %bb.12695:                            ;   in Loop: Header=BB6_10813 Depth=3
	v_cmp_lt_u64_e32 vcc, s[88:89], v[52:53]
	v_add_u32_e32 v0, 7, v17
	v_cndmask_b32_e32 v2, v16, v0, vcc
	v_cndmask_b32_e64 v0, 0, 1, vcc
	v_lshrrev_b64 v[0:1], v0, v[52:53]
; %bb.12696:                            ;   in Loop: Header=BB6_10813 Depth=3
	s_andn2_saveexec_b64 s[40:41], s[40:41]
; %bb.12697:                            ;   in Loop: Header=BB6_10813 Depth=3
	v_mov_b32_e32 v0, v52
	v_bfe_u32 v2, v52, 23, 1
	v_mov_b32_e32 v1, v53
; %bb.12698:                            ;   in Loop: Header=BB6_10813 Depth=3
	s_or_b64 exec, exec, s[40:41]
	v_lshrrev_b64 v[0:1], 20, v[0:1]
	v_cmp_gt_i32_e32 vcc, 16, v2
	v_cndmask_b32_e32 v1, 0, v1, vcc
	v_cndmask_b32_e32 v0, 7, v0, vcc
	v_cmp_eq_u64_e64 s[40:41], 0, v[0:1]
	v_min_i32_e32 v1, 15, v2
	v_lshlrev_b32_e32 v1, 3, v1
	v_cmp_eq_u32_e32 vcc, 0, v2
	v_and_b32_e32 v1, 0xf8, v1
	v_and_or_b32 v0, v0, 7, v1
	s_and_b64 s[40:41], vcc, s[40:41]
	v_cndmask_b32_e64 v0, v0, 0, s[40:41]
	v_or_b32_e32 v40, v0, v3
.LBB6_12699:                            ;   in Loop: Header=BB6_10813 Depth=3
	s_or_b64 exec, exec, s[50:51]
                                        ; implicit-def: $vgpr3
.LBB6_12700:                            ;   in Loop: Header=BB6_10813 Depth=3
	s_andn2_saveexec_b64 s[40:41], s[48:49]
; %bb.12701:                            ;   in Loop: Header=BB6_10813 Depth=3
	v_or_b32_e32 v40, 0x7e, v3
; %bb.12702:                            ;   in Loop: Header=BB6_10813 Depth=3
	s_or_b64 exec, exec, s[40:41]
                                        ; implicit-def: $vgpr1
.LBB6_12703:                            ;   in Loop: Header=BB6_10813 Depth=3
	s_andn2_saveexec_b64 s[40:41], s[38:39]
; %bb.12704:                            ;   in Loop: Header=BB6_10813 Depth=3
	v_or_b32_sdwa v40, v1, s83 dst_sel:DWORD dst_unused:UNUSED_PAD src0_sel:BYTE_3 src1_sel:DWORD
; %bb.12705:                            ;   in Loop: Header=BB6_10813 Depth=3
	s_or_b64 exec, exec, s[40:41]
	v_lshrrev_b32_e32 v2, 24, v22
	v_lshrrev_b32_e32 v0, 24, v18
	v_cmp_lt_u32_e64 s[40:41], s63, v22
	s_and_b64 vcc, exec, s[28:29]
	s_mov_b64 s[38:39], -1
                                        ; implicit-def: $vgpr1
	s_cbranch_vccnz .LBB6_12719
; %bb.12706:                            ;   in Loop: Header=BB6_10813 Depth=3
	v_mov_b32_e32 v3, 0
	v_mov_b32_e32 v1, 0
	s_and_saveexec_b64 s[38:39], s[40:41]
	s_cbranch_execz .LBB6_12712
; %bb.12707:                            ;   in Loop: Header=BB6_10813 Depth=3
	v_cmp_ne_u32_e32 vcc, s82, v2
	v_bfrev_b32_e32 v1, 1
	s_and_saveexec_b64 s[48:49], vcc
	s_cbranch_execz .LBB6_12711
; %bb.12708:                            ;   in Loop: Header=BB6_10813 Depth=3
	v_bfe_u32 v16, v22, 24, 7
	v_cmp_ne_u32_e32 vcc, s83, v16
	v_mov_b32_e32 v1, 0x7f800001
	s_and_saveexec_b64 s[50:51], vcc
	s_cbranch_execz .LBB6_12710
; %bb.12709:                            ;   in Loop: Header=BB6_10813 Depth=3
	v_and_b32_e32 v1, 7, v2
	v_lshrrev_b32_e32 v36, 3, v16
	v_cmp_gt_u32_e32 vcc, 8, v16
	v_ffbh_u32_e32 v16, v1
	v_min_u32_e32 v37, 32, v16
	v_subrev_u32_e32 v16, 28, v37
	v_lshlrev_b64 v[16:17], v16, v[2:3]
	v_sub_u32_e32 v17, 29, v37
	v_and_b32_e32 v16, 7, v16
	v_cndmask_b32_e32 v17, v36, v17, vcc
	v_cndmask_b32_e32 v1, v1, v16, vcc
	v_lshlrev_b32_e32 v16, 24, v2
	v_bfrev_b32_e32 v36, 60
	v_lshlrev_b32_e32 v1, 20, v1
	v_and_b32_e32 v16, 0x80000000, v16
	v_lshl_add_u32 v17, v17, 23, v36
	v_or3_b32 v1, v16, v17, v1
.LBB6_12710:                            ;   in Loop: Header=BB6_10813 Depth=3
	s_or_b64 exec, exec, s[50:51]
.LBB6_12711:                            ;   in Loop: Header=BB6_10813 Depth=3
	s_or_b64 exec, exec, s[48:49]
.LBB6_12712:                            ;   in Loop: Header=BB6_10813 Depth=3
	s_or_b64 exec, exec, s[38:39]
	v_cmp_lt_u32_e32 vcc, s63, v18
	s_and_saveexec_b64 s[38:39], vcc
	s_cbranch_execz .LBB6_12718
; %bb.12713:                            ;   in Loop: Header=BB6_10813 Depth=3
	v_cmp_ne_u32_e32 vcc, s82, v0
	v_bfrev_b32_e32 v3, 1
	s_and_saveexec_b64 s[48:49], vcc
	s_cbranch_execz .LBB6_12717
; %bb.12714:                            ;   in Loop: Header=BB6_10813 Depth=3
	v_bfe_u32 v16, v18, 24, 7
	v_cmp_ne_u32_e32 vcc, s83, v16
	v_mov_b32_e32 v3, 0x7f800001
	s_and_saveexec_b64 s[50:51], vcc
	s_cbranch_execz .LBB6_12716
; %bb.12715:                            ;   in Loop: Header=BB6_10813 Depth=3
	v_and_b32_e32 v3, 7, v0
	v_lshrrev_b32_e32 v36, 3, v16
	v_cmp_gt_u32_e32 vcc, 8, v16
	v_ffbh_u32_e32 v16, v3
	v_min_u32_e32 v37, 32, v16
	v_subrev_u32_e32 v16, 28, v37
	v_lshlrev_b64 v[16:17], v16, v[0:1]
	v_sub_u32_e32 v17, 29, v37
	v_and_b32_e32 v16, 7, v16
	v_cndmask_b32_e32 v17, v36, v17, vcc
	v_cndmask_b32_e32 v3, v3, v16, vcc
	v_lshlrev_b32_e32 v16, 24, v0
	v_bfrev_b32_e32 v36, 60
	v_lshlrev_b32_e32 v3, 20, v3
	v_and_b32_e32 v16, 0x80000000, v16
	v_lshl_add_u32 v17, v17, 23, v36
	v_or3_b32 v3, v16, v17, v3
.LBB6_12716:                            ;   in Loop: Header=BB6_10813 Depth=3
	s_or_b64 exec, exec, s[50:51]
.LBB6_12717:                            ;   in Loop: Header=BB6_10813 Depth=3
	s_or_b64 exec, exec, s[48:49]
.LBB6_12718:                            ;   in Loop: Header=BB6_10813 Depth=3
	s_or_b64 exec, exec, s[38:39]
	v_max_f32_e32 v3, v3, v3
	v_max_f32_e32 v1, v1, v1
	;; [unrolled: 1-line block ×3, first 2 shown]
	s_mov_b64 s[38:39], 0
.LBB6_12719:                            ;   in Loop: Header=BB6_10813 Depth=3
	s_and_b64 vcc, exec, s[38:39]
	s_cbranch_vccz .LBB6_12733
; %bb.12720:                            ;   in Loop: Header=BB6_10813 Depth=3
	v_mov_b32_e32 v3, 0
	v_mov_b32_e32 v1, 0
	s_and_saveexec_b64 s[38:39], s[40:41]
	s_cbranch_execz .LBB6_12726
; %bb.12721:                            ;   in Loop: Header=BB6_10813 Depth=3
	v_cmp_ne_u32_e32 vcc, s82, v2
	v_bfrev_b32_e32 v1, 1
	s_and_saveexec_b64 s[40:41], vcc
	s_cbranch_execz .LBB6_12725
; %bb.12722:                            ;   in Loop: Header=BB6_10813 Depth=3
	v_bfe_u32 v16, v22, 24, 7
	v_cmp_ne_u32_e32 vcc, s83, v16
	v_mov_b32_e32 v1, 0x7f800001
	s_and_saveexec_b64 s[48:49], vcc
	s_cbranch_execz .LBB6_12724
; %bb.12723:                            ;   in Loop: Header=BB6_10813 Depth=3
	v_and_b32_e32 v1, 7, v2
	v_lshrrev_b32_e32 v36, 3, v16
	v_cmp_gt_u32_e32 vcc, 8, v16
	v_ffbh_u32_e32 v16, v1
	v_min_u32_e32 v37, 32, v16
	v_subrev_u32_e32 v16, 28, v37
	v_lshlrev_b64 v[16:17], v16, v[2:3]
	v_sub_u32_e32 v17, 29, v37
	v_and_b32_e32 v16, 7, v16
	v_cndmask_b32_e32 v17, v36, v17, vcc
	v_cndmask_b32_e32 v1, v1, v16, vcc
	v_lshlrev_b32_e32 v2, 24, v2
	v_bfrev_b32_e32 v16, 60
	v_lshlrev_b32_e32 v1, 20, v1
	v_and_b32_e32 v2, 0x80000000, v2
	v_lshl_add_u32 v16, v17, 23, v16
	v_or3_b32 v1, v2, v16, v1
.LBB6_12724:                            ;   in Loop: Header=BB6_10813 Depth=3
	s_or_b64 exec, exec, s[48:49]
.LBB6_12725:                            ;   in Loop: Header=BB6_10813 Depth=3
	s_or_b64 exec, exec, s[40:41]
.LBB6_12726:                            ;   in Loop: Header=BB6_10813 Depth=3
	s_or_b64 exec, exec, s[38:39]
	v_cmp_lt_u32_e32 vcc, s63, v18
	s_and_saveexec_b64 s[40:41], vcc
	s_cbranch_execz .LBB6_12732
; %bb.12727:                            ;   in Loop: Header=BB6_10813 Depth=3
	v_cmp_ne_u32_e32 vcc, s82, v0
	v_bfrev_b32_e32 v3, 1
	s_and_saveexec_b64 s[38:39], vcc
	s_cbranch_execz .LBB6_12731
; %bb.12728:                            ;   in Loop: Header=BB6_10813 Depth=3
	v_bfe_u32 v2, v18, 24, 7
	v_cmp_ne_u32_e32 vcc, s83, v2
	v_mov_b32_e32 v3, 0x7f800001
	s_and_saveexec_b64 s[48:49], vcc
	s_cbranch_execz .LBB6_12730
; %bb.12729:                            ;   in Loop: Header=BB6_10813 Depth=3
	v_and_b32_e32 v16, 7, v0
	v_lshrrev_b32_e32 v17, 3, v2
	v_cmp_gt_u32_e32 vcc, 8, v2
	v_ffbh_u32_e32 v2, v16
	v_min_u32_e32 v36, 32, v2
	v_subrev_u32_e32 v2, 28, v36
	v_lshlrev_b64 v[2:3], v2, v[0:1]
	v_sub_u32_e32 v3, 29, v36
	v_and_b32_e32 v2, 7, v2
	v_cndmask_b32_e32 v3, v17, v3, vcc
	v_cndmask_b32_e32 v2, v16, v2, vcc
	v_lshlrev_b32_e32 v0, 24, v0
	v_bfrev_b32_e32 v16, 60
	v_lshlrev_b32_e32 v2, 20, v2
	v_and_b32_e32 v0, 0x80000000, v0
	v_lshl_add_u32 v3, v3, 23, v16
	v_or3_b32 v3, v0, v3, v2
.LBB6_12730:                            ;   in Loop: Header=BB6_10813 Depth=3
	s_or_b64 exec, exec, s[48:49]
.LBB6_12731:                            ;   in Loop: Header=BB6_10813 Depth=3
	s_or_b64 exec, exec, s[38:39]
.LBB6_12732:                            ;   in Loop: Header=BB6_10813 Depth=3
	s_or_b64 exec, exec, s[40:41]
	v_max_f32_e32 v0, v3, v3
	v_max_f32_e32 v1, v1, v1
	v_min_f32_e32 v1, v1, v0
.LBB6_12733:                            ;   in Loop: Header=BB6_10813 Depth=3
	v_and_b32_e32 v52, 0x7f800000, v1
	v_cmp_ne_u64_e32 vcc, s[76:77], v[52:53]
                                        ; implicit-def: $vgpr41
	s_and_saveexec_b64 s[40:41], vcc
	s_xor_b64 s[38:39], exec, s[40:41]
	s_cbranch_execz .LBB6_12747
; %bb.12734:                            ;   in Loop: Header=BB6_10813 Depth=3
	v_and_b32_e32 v52, 0x7fffffff, v1
	v_cmp_gt_u64_e32 vcc, s[78:79], v[52:53]
	v_and_b32_sdwa v3, v1, s82 dst_sel:DWORD dst_unused:UNUSED_PAD src0_sel:BYTE_3 src1_sel:DWORD
                                        ; implicit-def: $vgpr41
	s_and_saveexec_b64 s[40:41], vcc
	s_xor_b64 s[48:49], exec, s[40:41]
	s_cbranch_execz .LBB6_12744
; %bb.12735:                            ;   in Loop: Header=BB6_10813 Depth=3
	v_mov_b32_e32 v41, 0
	v_cmp_ne_u32_e32 vcc, 0, v1
	s_and_saveexec_b64 s[50:51], vcc
	s_cbranch_execz .LBB6_12743
; %bb.12736:                            ;   in Loop: Header=BB6_10813 Depth=3
	v_bfe_u32 v16, v1, 23, 8
	v_and_b32_e32 v0, 0x7fffff, v1
	v_cmp_gt_u32_e64 s[40:41], s85, v16
	v_sub_u32_e32 v1, 0x79, v16
	v_cmp_eq_u32_e32 vcc, 0, v16
	v_cndmask_b32_e64 v1, 0, v1, s[40:41]
	v_mov_b32_e32 v17, 0x78
	v_or_b32_e32 v2, 0x800000, v0
	v_cndmask_b32_e32 v17, v1, v17, vcc
	v_cndmask_b32_e32 v52, v2, v0, vcc
	v_add_u32_e32 v0, 20, v17
	v_lshlrev_b64 v[0:1], v0, -1
	v_add_u32_e32 v2, 19, v17
	v_lshlrev_b64 v[36:37], v2, 1
	v_bfi_b32 v1, v1, 0, 0
	v_bfi_b32 v0, v0, 0, v52
	v_cmp_eq_u64_e64 s[40:41], v[0:1], v[36:37]
	v_lshrrev_b64 v[0:1], v17, v[52:53]
	v_mov_b32_e32 v2, v1
	v_mov_b32_e32 v1, v0
	s_and_saveexec_b64 s[52:53], s[40:41]
; %bb.12737:                            ;   in Loop: Header=BB6_10813 Depth=3
	v_bfe_u32 v1, v0, 20, 1
	v_add_co_u32_e64 v1, s[40:41], v0, v1
	v_add_co_u32_e64 v1, s[40:41], -1, v1
; %bb.12738:                            ;   in Loop: Header=BB6_10813 Depth=3
	s_or_b64 exec, exec, s[52:53]
	v_add_u32_e32 v2, 0xffffff81, v16
	v_mov_b32_e32 v16, 0xffffff82
	v_cndmask_b32_e32 v2, v2, v16, vcc
	v_lshrrev_b32_e32 v16, 23, v0
	v_add3_u32 v17, v17, v2, v16
	v_add_u32_e32 v16, 6, v17
	v_and_b32_e32 v1, 0xfffff, v1
	v_add_u32_e32 v52, v1, v0
	v_cmp_ne_u32_e32 vcc, 0, v16
                                        ; implicit-def: $vgpr0_vgpr1
                                        ; implicit-def: $vgpr2
	s_and_saveexec_b64 s[40:41], vcc
	s_xor_b64 s[40:41], exec, s[40:41]
; %bb.12739:                            ;   in Loop: Header=BB6_10813 Depth=3
	v_cmp_lt_u64_e32 vcc, s[88:89], v[52:53]
	v_add_u32_e32 v0, 7, v17
	v_cndmask_b32_e32 v2, v16, v0, vcc
	v_cndmask_b32_e64 v0, 0, 1, vcc
	v_lshrrev_b64 v[0:1], v0, v[52:53]
; %bb.12740:                            ;   in Loop: Header=BB6_10813 Depth=3
	s_andn2_saveexec_b64 s[40:41], s[40:41]
; %bb.12741:                            ;   in Loop: Header=BB6_10813 Depth=3
	v_mov_b32_e32 v0, v52
	v_bfe_u32 v2, v52, 23, 1
	v_mov_b32_e32 v1, v53
; %bb.12742:                            ;   in Loop: Header=BB6_10813 Depth=3
	s_or_b64 exec, exec, s[40:41]
	v_lshrrev_b64 v[0:1], 20, v[0:1]
	v_cmp_gt_i32_e32 vcc, 16, v2
	v_cndmask_b32_e32 v1, 0, v1, vcc
	v_cndmask_b32_e32 v0, 7, v0, vcc
	v_cmp_eq_u64_e64 s[40:41], 0, v[0:1]
	v_min_i32_e32 v1, 15, v2
	v_lshlrev_b32_e32 v1, 3, v1
	v_cmp_eq_u32_e32 vcc, 0, v2
	v_and_b32_e32 v1, 0xf8, v1
	v_and_or_b32 v0, v0, 7, v1
	s_and_b64 s[40:41], vcc, s[40:41]
	v_cndmask_b32_e64 v0, v0, 0, s[40:41]
	v_or_b32_e32 v41, v0, v3
.LBB6_12743:                            ;   in Loop: Header=BB6_10813 Depth=3
	s_or_b64 exec, exec, s[50:51]
                                        ; implicit-def: $vgpr3
.LBB6_12744:                            ;   in Loop: Header=BB6_10813 Depth=3
	s_andn2_saveexec_b64 s[40:41], s[48:49]
; %bb.12745:                            ;   in Loop: Header=BB6_10813 Depth=3
	v_or_b32_e32 v41, 0x7e, v3
; %bb.12746:                            ;   in Loop: Header=BB6_10813 Depth=3
	s_or_b64 exec, exec, s[40:41]
                                        ; implicit-def: $vgpr1
.LBB6_12747:                            ;   in Loop: Header=BB6_10813 Depth=3
	s_andn2_saveexec_b64 s[40:41], s[38:39]
; %bb.12748:                            ;   in Loop: Header=BB6_10813 Depth=3
	v_or_b32_sdwa v41, v1, s83 dst_sel:DWORD dst_unused:UNUSED_PAD src0_sel:BYTE_3 src1_sel:DWORD
; %bb.12749:                            ;   in Loop: Header=BB6_10813 Depth=3
	s_or_b64 exec, exec, s[40:41]
	v_mov_b32_e32 v52, v23
	v_mov_b32_e32 v2, v19
	;; [unrolled: 1-line block ×3, first 2 shown]
	v_cmp_ne_u16_sdwa s[40:41], v23, v53 src0_sel:BYTE_0 src1_sel:DWORD
	s_and_b64 vcc, exec, s[28:29]
	s_mov_b64 s[38:39], -1
                                        ; implicit-def: $vgpr0
	s_cbranch_vccnz .LBB6_12763
; %bb.12750:                            ;   in Loop: Header=BB6_10813 Depth=3
	v_mov_b32_e32 v1, 0
	v_mov_b32_e32 v0, 0
	s_and_saveexec_b64 s[38:39], s[40:41]
	s_cbranch_execz .LBB6_12756
; %bb.12751:                            ;   in Loop: Header=BB6_10813 Depth=3
	v_cmp_ne_u16_sdwa vcc, v23, s82 src0_sel:BYTE_0 src1_sel:DWORD
	v_bfrev_b32_e32 v0, 1
	s_and_saveexec_b64 s[48:49], vcc
	s_cbranch_execz .LBB6_12755
; %bb.12752:                            ;   in Loop: Header=BB6_10813 Depth=3
	v_and_b32_e32 v16, 0x7f, v23
	v_cmp_ne_u32_e32 vcc, s83, v16
	v_mov_b32_e32 v0, 0x7f800001
	s_and_saveexec_b64 s[50:51], vcc
	s_cbranch_execz .LBB6_12754
; %bb.12753:                            ;   in Loop: Header=BB6_10813 Depth=3
	v_and_b32_e32 v0, 7, v23
	v_ffbh_u32_e32 v0, v0
	v_min_u32_e32 v0, 32, v0
	v_lshrrev_b32_e32 v17, 3, v16
	v_cmp_gt_u32_e32 vcc, 8, v16
	v_subrev_u32_e32 v16, 28, v0
	v_sub_u32_e32 v0, 29, v0
	v_cndmask_b32_e32 v16, 0, v16, vcc
	v_cndmask_b32_e32 v0, v17, v0, vcc
	v_lshlrev_b64 v[16:17], v16, v[52:53]
	v_lshlrev_b32_e32 v17, 24, v52
	v_lshlrev_b32_e32 v16, 20, v16
	v_bfrev_b32_e32 v36, 60
	v_and_b32_e32 v16, 0x700000, v16
	v_and_b32_e32 v17, 0x80000000, v17
	v_lshl_add_u32 v0, v0, 23, v36
	v_or3_b32 v0, v17, v0, v16
.LBB6_12754:                            ;   in Loop: Header=BB6_10813 Depth=3
	s_or_b64 exec, exec, s[50:51]
.LBB6_12755:                            ;   in Loop: Header=BB6_10813 Depth=3
	s_or_b64 exec, exec, s[48:49]
.LBB6_12756:                            ;   in Loop: Header=BB6_10813 Depth=3
	s_or_b64 exec, exec, s[38:39]
	v_cmp_ne_u16_sdwa vcc, v19, v53 src0_sel:BYTE_0 src1_sel:DWORD
	s_and_saveexec_b64 s[38:39], vcc
	s_cbranch_execz .LBB6_12762
; %bb.12757:                            ;   in Loop: Header=BB6_10813 Depth=3
	v_cmp_ne_u16_sdwa vcc, v19, s82 src0_sel:BYTE_0 src1_sel:DWORD
	v_bfrev_b32_e32 v1, 1
	s_and_saveexec_b64 s[48:49], vcc
	s_cbranch_execz .LBB6_12761
; %bb.12758:                            ;   in Loop: Header=BB6_10813 Depth=3
	v_and_b32_e32 v16, 0x7f, v19
	v_cmp_ne_u32_e32 vcc, s83, v16
	v_mov_b32_e32 v1, 0x7f800001
	s_and_saveexec_b64 s[50:51], vcc
	s_cbranch_execz .LBB6_12760
; %bb.12759:                            ;   in Loop: Header=BB6_10813 Depth=3
	v_and_b32_e32 v1, 7, v19
	v_ffbh_u32_e32 v1, v1
	v_min_u32_e32 v1, 32, v1
	v_lshrrev_b32_e32 v17, 3, v16
	v_cmp_gt_u32_e32 vcc, 8, v16
	v_subrev_u32_e32 v16, 28, v1
	v_sub_u32_e32 v1, 29, v1
	v_cndmask_b32_e32 v16, 0, v16, vcc
	v_cndmask_b32_e32 v1, v17, v1, vcc
	v_lshlrev_b64 v[16:17], v16, v[2:3]
	v_lshlrev_b32_e32 v17, 24, v2
	v_lshlrev_b32_e32 v16, 20, v16
	v_bfrev_b32_e32 v36, 60
	v_and_b32_e32 v16, 0x700000, v16
	v_and_b32_e32 v17, 0x80000000, v17
	v_lshl_add_u32 v1, v1, 23, v36
	v_or3_b32 v1, v17, v1, v16
.LBB6_12760:                            ;   in Loop: Header=BB6_10813 Depth=3
	s_or_b64 exec, exec, s[50:51]
.LBB6_12761:                            ;   in Loop: Header=BB6_10813 Depth=3
	s_or_b64 exec, exec, s[48:49]
.LBB6_12762:                            ;   in Loop: Header=BB6_10813 Depth=3
	s_or_b64 exec, exec, s[38:39]
	v_max_f32_e32 v1, v1, v1
	v_max_f32_e32 v0, v0, v0
	;; [unrolled: 1-line block ×3, first 2 shown]
	s_mov_b64 s[38:39], 0
.LBB6_12763:                            ;   in Loop: Header=BB6_10813 Depth=3
	s_and_b64 vcc, exec, s[38:39]
	s_cbranch_vccz .LBB6_12777
; %bb.12764:                            ;   in Loop: Header=BB6_10813 Depth=3
	v_mov_b32_e32 v1, 0
	v_mov_b32_e32 v0, 0
	s_and_saveexec_b64 s[38:39], s[40:41]
	s_cbranch_execz .LBB6_12770
; %bb.12765:                            ;   in Loop: Header=BB6_10813 Depth=3
	v_cmp_ne_u16_sdwa vcc, v23, s82 src0_sel:BYTE_0 src1_sel:DWORD
	v_bfrev_b32_e32 v0, 1
	s_and_saveexec_b64 s[40:41], vcc
	s_cbranch_execz .LBB6_12769
; %bb.12766:                            ;   in Loop: Header=BB6_10813 Depth=3
	v_and_b32_e32 v16, 0x7f, v23
	v_cmp_ne_u32_e32 vcc, s83, v16
	v_mov_b32_e32 v0, 0x7f800001
	s_and_saveexec_b64 s[48:49], vcc
	s_cbranch_execz .LBB6_12768
; %bb.12767:                            ;   in Loop: Header=BB6_10813 Depth=3
	v_and_b32_e32 v0, 7, v23
	v_ffbh_u32_e32 v0, v0
	v_min_u32_e32 v0, 32, v0
	v_lshrrev_b32_e32 v17, 3, v16
	v_cmp_gt_u32_e32 vcc, 8, v16
	v_subrev_u32_e32 v16, 28, v0
	v_sub_u32_e32 v0, 29, v0
	v_cndmask_b32_e32 v16, 0, v16, vcc
	v_cndmask_b32_e32 v0, v17, v0, vcc
	v_lshlrev_b64 v[16:17], v16, v[52:53]
	v_lshlrev_b32_e32 v17, 24, v52
	v_lshlrev_b32_e32 v16, 20, v16
	v_bfrev_b32_e32 v36, 60
	v_and_b32_e32 v16, 0x700000, v16
	v_and_b32_e32 v17, 0x80000000, v17
	v_lshl_add_u32 v0, v0, 23, v36
	v_or3_b32 v0, v17, v0, v16
.LBB6_12768:                            ;   in Loop: Header=BB6_10813 Depth=3
	s_or_b64 exec, exec, s[48:49]
.LBB6_12769:                            ;   in Loop: Header=BB6_10813 Depth=3
	s_or_b64 exec, exec, s[40:41]
.LBB6_12770:                            ;   in Loop: Header=BB6_10813 Depth=3
	s_or_b64 exec, exec, s[38:39]
	v_cmp_ne_u16_sdwa vcc, v19, v53 src0_sel:BYTE_0 src1_sel:DWORD
	s_and_saveexec_b64 s[40:41], vcc
	s_cbranch_execz .LBB6_12776
; %bb.12771:                            ;   in Loop: Header=BB6_10813 Depth=3
	v_cmp_ne_u16_sdwa vcc, v19, s82 src0_sel:BYTE_0 src1_sel:DWORD
	v_bfrev_b32_e32 v1, 1
	s_and_saveexec_b64 s[38:39], vcc
	s_cbranch_execz .LBB6_12775
; %bb.12772:                            ;   in Loop: Header=BB6_10813 Depth=3
	v_and_b32_e32 v16, 0x7f, v19
	v_cmp_ne_u32_e32 vcc, s83, v16
	v_mov_b32_e32 v1, 0x7f800001
	s_and_saveexec_b64 s[48:49], vcc
	s_cbranch_execz .LBB6_12774
; %bb.12773:                            ;   in Loop: Header=BB6_10813 Depth=3
	v_and_b32_e32 v1, 7, v19
	v_ffbh_u32_e32 v1, v1
	v_min_u32_e32 v1, 32, v1
	v_lshrrev_b32_e32 v17, 3, v16
	v_cmp_gt_u32_e32 vcc, 8, v16
	v_subrev_u32_e32 v16, 28, v1
	v_sub_u32_e32 v1, 29, v1
	v_cndmask_b32_e32 v16, 0, v16, vcc
	v_cndmask_b32_e32 v1, v17, v1, vcc
	v_lshlrev_b64 v[16:17], v16, v[2:3]
	v_bfrev_b32_e32 v17, 60
	v_lshlrev_b32_e32 v3, 20, v16
	v_lshlrev_b32_e32 v16, 24, v2
	v_and_b32_e32 v3, 0x700000, v3
	v_and_b32_e32 v16, 0x80000000, v16
	v_lshl_add_u32 v1, v1, 23, v17
	v_or3_b32 v1, v16, v1, v3
.LBB6_12774:                            ;   in Loop: Header=BB6_10813 Depth=3
	s_or_b64 exec, exec, s[48:49]
.LBB6_12775:                            ;   in Loop: Header=BB6_10813 Depth=3
	s_or_b64 exec, exec, s[38:39]
.LBB6_12776:                            ;   in Loop: Header=BB6_10813 Depth=3
	s_or_b64 exec, exec, s[40:41]
	v_max_f32_e32 v1, v1, v1
	v_max_f32_e32 v0, v0, v0
	v_min_f32_e32 v0, v0, v1
.LBB6_12777:                            ;   in Loop: Header=BB6_10813 Depth=3
	v_and_b32_e32 v16, 0x7f800000, v0
	v_mov_b32_e32 v17, v53
	v_cmp_ne_u64_e32 vcc, s[76:77], v[16:17]
                                        ; implicit-def: $vgpr60
	s_and_saveexec_b64 s[40:41], vcc
	s_xor_b64 s[38:39], exec, s[40:41]
	s_cbranch_execz .LBB6_12791
; %bb.12778:                            ;   in Loop: Header=BB6_10813 Depth=3
	v_and_b32_e32 v16, 0x7fffffff, v0
	v_mov_b32_e32 v17, v53
	v_cmp_gt_u64_e32 vcc, s[78:79], v[16:17]
	v_and_b32_sdwa v3, v0, s82 dst_sel:DWORD dst_unused:UNUSED_PAD src0_sel:BYTE_3 src1_sel:DWORD
                                        ; implicit-def: $vgpr60
	s_and_saveexec_b64 s[40:41], vcc
	s_xor_b64 s[48:49], exec, s[40:41]
	s_cbranch_execz .LBB6_12788
; %bb.12779:                            ;   in Loop: Header=BB6_10813 Depth=3
	v_mov_b32_e32 v60, 0
	v_cmp_ne_u32_e32 vcc, 0, v0
	s_and_saveexec_b64 s[50:51], vcc
	s_cbranch_execz .LBB6_12787
; %bb.12780:                            ;   in Loop: Header=BB6_10813 Depth=3
	v_bfe_u32 v38, v0, 23, 8
	v_and_b32_e32 v1, 0x7fffff, v0
	v_cmp_gt_u32_e64 s[40:41], s85, v38
	v_sub_u32_e32 v0, 0x79, v38
	v_cmp_eq_u32_e32 vcc, 0, v38
	v_cndmask_b32_e64 v0, 0, v0, s[40:41]
	v_mov_b32_e32 v17, 0x78
	v_or_b32_e32 v16, 0x800000, v1
	v_cndmask_b32_e32 v39, v0, v17, vcc
	v_cndmask_b32_e32 v0, v16, v1, vcc
	v_add_u32_e32 v16, 20, v39
	v_lshlrev_b64 v[16:17], v16, -1
	v_mov_b32_e32 v1, v53
	v_add_u32_e32 v36, 19, v39
	v_bfi_b32 v16, v16, 0, v0
	v_lshlrev_b64 v[36:37], v36, 1
	v_lshrrev_b64 v[0:1], v39, v[0:1]
	v_bfi_b32 v17, v17, 0, 0
	v_cmp_eq_u64_e64 s[40:41], v[16:17], v[36:37]
	v_mov_b32_e32 v17, v1
	v_mov_b32_e32 v16, v0
	s_and_saveexec_b64 s[52:53], s[40:41]
; %bb.12781:                            ;   in Loop: Header=BB6_10813 Depth=3
	v_bfe_u32 v1, v0, 20, 1
	v_add_co_u32_e64 v1, s[40:41], v0, v1
	v_add_co_u32_e64 v16, s[40:41], -1, v1
; %bb.12782:                            ;   in Loop: Header=BB6_10813 Depth=3
	s_or_b64 exec, exec, s[52:53]
	v_add_u32_e32 v1, 0xffffff81, v38
	v_mov_b32_e32 v17, 0xffffff82
	v_cndmask_b32_e32 v1, v1, v17, vcc
	v_lshrrev_b32_e32 v17, 23, v0
	v_add3_u32 v38, v39, v1, v17
	v_add_u32_e32 v17, 6, v38
	v_and_b32_e32 v1, 0xfffff, v16
	v_add_u32_e32 v0, v1, v0
	v_mov_b32_e32 v1, v53
	v_cmp_ne_u32_e32 vcc, 0, v17
                                        ; implicit-def: $vgpr16
	s_and_saveexec_b64 s[40:41], vcc
	s_xor_b64 s[40:41], exec, s[40:41]
; %bb.12783:                            ;   in Loop: Header=BB6_10813 Depth=3
	v_cmp_lt_u64_e32 vcc, s[88:89], v[0:1]
	v_add_u32_e32 v16, 7, v38
	v_cndmask_b32_e32 v16, v17, v16, vcc
	v_cndmask_b32_e64 v17, 0, 1, vcc
	v_lshrrev_b64 v[0:1], v17, v[0:1]
; %bb.12784:                            ;   in Loop: Header=BB6_10813 Depth=3
	s_andn2_saveexec_b64 s[40:41], s[40:41]
; %bb.12785:                            ;   in Loop: Header=BB6_10813 Depth=3
	v_bfe_u32 v16, v0, 23, 1
; %bb.12786:                            ;   in Loop: Header=BB6_10813 Depth=3
	s_or_b64 exec, exec, s[40:41]
	v_lshrrev_b64 v[0:1], 20, v[0:1]
	v_cmp_gt_i32_e32 vcc, 16, v16
	v_cndmask_b32_e32 v1, 0, v1, vcc
	v_cndmask_b32_e32 v0, 7, v0, vcc
	v_cmp_eq_u64_e64 s[40:41], 0, v[0:1]
	v_min_i32_e32 v1, 15, v16
	v_lshlrev_b32_e32 v1, 3, v1
	v_cmp_eq_u32_e32 vcc, 0, v16
	v_and_b32_e32 v1, 0xf8, v1
	v_and_or_b32 v0, v0, 7, v1
	s_and_b64 s[40:41], vcc, s[40:41]
	v_cndmask_b32_e64 v0, v0, 0, s[40:41]
	v_or_b32_e32 v60, v0, v3
.LBB6_12787:                            ;   in Loop: Header=BB6_10813 Depth=3
	s_or_b64 exec, exec, s[50:51]
                                        ; implicit-def: $vgpr3
.LBB6_12788:                            ;   in Loop: Header=BB6_10813 Depth=3
	s_andn2_saveexec_b64 s[40:41], s[48:49]
; %bb.12789:                            ;   in Loop: Header=BB6_10813 Depth=3
	v_or_b32_e32 v60, 0x7e, v3
; %bb.12790:                            ;   in Loop: Header=BB6_10813 Depth=3
	s_or_b64 exec, exec, s[40:41]
                                        ; implicit-def: $vgpr0
.LBB6_12791:                            ;   in Loop: Header=BB6_10813 Depth=3
	s_andn2_saveexec_b64 s[40:41], s[38:39]
; %bb.12792:                            ;   in Loop: Header=BB6_10813 Depth=3
	v_or_b32_sdwa v60, v0, s83 dst_sel:DWORD dst_unused:UNUSED_PAD src0_sel:BYTE_3 src1_sel:DWORD
; %bb.12793:                            ;   in Loop: Header=BB6_10813 Depth=3
	s_or_b64 exec, exec, s[40:41]
	v_lshrrev_b16_e32 v16, 8, v52
	v_lshrrev_b16_e32 v3, 8, v2
	v_cmp_ne_u16_e64 s[40:41], 0, v16
	s_and_b64 vcc, exec, s[28:29]
	s_mov_b64 s[38:39], -1
                                        ; implicit-def: $vgpr0
	s_cbranch_vccnz .LBB6_12807
; %bb.12794:                            ;   in Loop: Header=BB6_10813 Depth=3
	v_mov_b32_e32 v1, 0
	v_mov_b32_e32 v0, 0
	s_and_saveexec_b64 s[38:39], s[40:41]
	s_cbranch_execz .LBB6_12800
; %bb.12795:                            ;   in Loop: Header=BB6_10813 Depth=3
	v_cmp_ne_u16_e32 vcc, s82, v16
	v_bfrev_b32_e32 v0, 1
	s_and_saveexec_b64 s[48:49], vcc
	s_cbranch_execz .LBB6_12799
; %bb.12796:                            ;   in Loop: Header=BB6_10813 Depth=3
	v_and_b32_e32 v17, 0x7f, v16
	v_cmp_ne_u32_e32 vcc, s83, v17
	v_mov_b32_e32 v0, 0x7f800001
	s_and_saveexec_b64 s[50:51], vcc
	s_cbranch_execz .LBB6_12798
; %bb.12797:                            ;   in Loop: Header=BB6_10813 Depth=3
	v_and_b32_e32 v0, 7, v16
	v_lshrrev_b32_e32 v38, 3, v17
	v_cmp_gt_u32_e32 vcc, 8, v17
	v_ffbh_u32_e32 v17, v0
	v_min_u32_e32 v17, 32, v17
	v_subrev_u32_e32 v36, 28, v17
	v_lshlrev_b64 v[36:37], v36, v[16:17]
	v_sub_u32_e32 v17, 29, v17
	v_and_b32_e32 v36, 7, v36
	v_cndmask_b32_e32 v17, v38, v17, vcc
	v_cndmask_b32_e32 v0, v0, v36, vcc
	v_lshlrev_b32_e32 v36, 16, v52
	v_bfrev_b32_e32 v37, 60
	v_lshlrev_b32_e32 v0, 20, v0
	v_and_b32_e32 v36, 0x80000000, v36
	v_lshl_add_u32 v17, v17, 23, v37
	v_or3_b32 v0, v36, v17, v0
.LBB6_12798:                            ;   in Loop: Header=BB6_10813 Depth=3
	s_or_b64 exec, exec, s[50:51]
.LBB6_12799:                            ;   in Loop: Header=BB6_10813 Depth=3
	s_or_b64 exec, exec, s[48:49]
.LBB6_12800:                            ;   in Loop: Header=BB6_10813 Depth=3
	s_or_b64 exec, exec, s[38:39]
	v_cmp_ne_u16_e32 vcc, 0, v3
	s_and_saveexec_b64 s[38:39], vcc
	s_cbranch_execz .LBB6_12806
; %bb.12801:                            ;   in Loop: Header=BB6_10813 Depth=3
	v_cmp_ne_u16_e32 vcc, s82, v3
	v_bfrev_b32_e32 v1, 1
	s_and_saveexec_b64 s[48:49], vcc
	s_cbranch_execz .LBB6_12805
; %bb.12802:                            ;   in Loop: Header=BB6_10813 Depth=3
	v_and_b32_e32 v17, 0x7f, v3
	v_cmp_ne_u32_e32 vcc, s83, v17
	v_mov_b32_e32 v1, 0x7f800001
	s_and_saveexec_b64 s[50:51], vcc
	s_cbranch_execz .LBB6_12804
; %bb.12803:                            ;   in Loop: Header=BB6_10813 Depth=3
	v_and_b32_e32 v1, 7, v3
	v_lshrrev_b32_e32 v38, 3, v17
	v_cmp_gt_u32_e32 vcc, 8, v17
	v_ffbh_u32_e32 v17, v1
	v_min_u32_e32 v17, 32, v17
	v_subrev_u32_e32 v36, 28, v17
	v_lshlrev_b64 v[36:37], v36, v[3:4]
	v_sub_u32_e32 v17, 29, v17
	v_and_b32_e32 v36, 7, v36
	v_cndmask_b32_e32 v17, v38, v17, vcc
	v_cndmask_b32_e32 v1, v1, v36, vcc
	v_lshlrev_b32_e32 v36, 16, v2
	v_bfrev_b32_e32 v37, 60
	v_lshlrev_b32_e32 v1, 20, v1
	v_and_b32_e32 v36, 0x80000000, v36
	v_lshl_add_u32 v17, v17, 23, v37
	v_or3_b32 v1, v36, v17, v1
.LBB6_12804:                            ;   in Loop: Header=BB6_10813 Depth=3
	s_or_b64 exec, exec, s[50:51]
.LBB6_12805:                            ;   in Loop: Header=BB6_10813 Depth=3
	s_or_b64 exec, exec, s[48:49]
.LBB6_12806:                            ;   in Loop: Header=BB6_10813 Depth=3
	s_or_b64 exec, exec, s[38:39]
	v_max_f32_e32 v1, v1, v1
	v_max_f32_e32 v0, v0, v0
	;; [unrolled: 1-line block ×3, first 2 shown]
	s_mov_b64 s[38:39], 0
.LBB6_12807:                            ;   in Loop: Header=BB6_10813 Depth=3
	s_and_b64 vcc, exec, s[38:39]
	s_cbranch_vccz .LBB6_12821
; %bb.12808:                            ;   in Loop: Header=BB6_10813 Depth=3
	v_mov_b32_e32 v1, 0
	v_mov_b32_e32 v0, 0
	s_and_saveexec_b64 s[38:39], s[40:41]
	s_cbranch_execz .LBB6_12814
; %bb.12809:                            ;   in Loop: Header=BB6_10813 Depth=3
	v_cmp_ne_u16_e32 vcc, s82, v16
	v_bfrev_b32_e32 v0, 1
	s_and_saveexec_b64 s[40:41], vcc
	s_cbranch_execz .LBB6_12813
; %bb.12810:                            ;   in Loop: Header=BB6_10813 Depth=3
	v_and_b32_e32 v17, 0x7f, v16
	v_cmp_ne_u32_e32 vcc, s83, v17
	v_mov_b32_e32 v0, 0x7f800001
	s_and_saveexec_b64 s[48:49], vcc
	s_cbranch_execz .LBB6_12812
; %bb.12811:                            ;   in Loop: Header=BB6_10813 Depth=3
	v_and_b32_e32 v0, 7, v16
	v_lshrrev_b32_e32 v36, 3, v17
	v_cmp_gt_u32_e32 vcc, 8, v17
	v_ffbh_u32_e32 v17, v0
	v_min_u32_e32 v37, 32, v17
	v_subrev_u32_e32 v17, 28, v37
	v_lshlrev_b64 v[16:17], v17, v[16:17]
	v_sub_u32_e32 v17, 29, v37
	v_and_b32_e32 v16, 7, v16
	v_cndmask_b32_e32 v17, v36, v17, vcc
	v_cndmask_b32_e32 v0, v0, v16, vcc
	v_lshlrev_b32_e32 v16, 16, v52
	v_bfrev_b32_e32 v36, 60
	v_lshlrev_b32_e32 v0, 20, v0
	v_and_b32_e32 v16, 0x80000000, v16
	v_lshl_add_u32 v17, v17, 23, v36
	v_or3_b32 v0, v16, v17, v0
.LBB6_12812:                            ;   in Loop: Header=BB6_10813 Depth=3
	s_or_b64 exec, exec, s[48:49]
.LBB6_12813:                            ;   in Loop: Header=BB6_10813 Depth=3
	s_or_b64 exec, exec, s[40:41]
.LBB6_12814:                            ;   in Loop: Header=BB6_10813 Depth=3
	s_or_b64 exec, exec, s[38:39]
	v_cmp_ne_u16_e32 vcc, 0, v3
	s_and_saveexec_b64 s[40:41], vcc
	s_cbranch_execz .LBB6_12820
; %bb.12815:                            ;   in Loop: Header=BB6_10813 Depth=3
	v_cmp_ne_u16_e32 vcc, s82, v3
	v_bfrev_b32_e32 v1, 1
	s_and_saveexec_b64 s[38:39], vcc
	s_cbranch_execz .LBB6_12819
; %bb.12816:                            ;   in Loop: Header=BB6_10813 Depth=3
	v_and_b32_e32 v16, 0x7f, v3
	v_cmp_ne_u32_e32 vcc, s83, v16
	v_mov_b32_e32 v1, 0x7f800001
	s_and_saveexec_b64 s[48:49], vcc
	s_cbranch_execz .LBB6_12818
; %bb.12817:                            ;   in Loop: Header=BB6_10813 Depth=3
	v_and_b32_e32 v1, 7, v3
	v_lshrrev_b32_e32 v36, 3, v16
	v_cmp_gt_u32_e32 vcc, 8, v16
	v_ffbh_u32_e32 v16, v1
	v_min_u32_e32 v37, 32, v16
	v_subrev_u32_e32 v16, 28, v37
	v_lshlrev_b64 v[16:17], v16, v[3:4]
	v_sub_u32_e32 v3, 29, v37
	v_and_b32_e32 v16, 7, v16
	v_cndmask_b32_e32 v3, v36, v3, vcc
	v_cndmask_b32_e32 v1, v1, v16, vcc
	v_lshlrev_b32_e32 v2, 16, v2
	v_bfrev_b32_e32 v16, 60
	v_lshlrev_b32_e32 v1, 20, v1
	v_and_b32_e32 v2, 0x80000000, v2
	v_lshl_add_u32 v3, v3, 23, v16
	v_or3_b32 v1, v2, v3, v1
.LBB6_12818:                            ;   in Loop: Header=BB6_10813 Depth=3
	s_or_b64 exec, exec, s[48:49]
.LBB6_12819:                            ;   in Loop: Header=BB6_10813 Depth=3
	s_or_b64 exec, exec, s[38:39]
.LBB6_12820:                            ;   in Loop: Header=BB6_10813 Depth=3
	s_or_b64 exec, exec, s[40:41]
	v_max_f32_e32 v1, v1, v1
	v_max_f32_e32 v0, v0, v0
	v_min_f32_e32 v0, v0, v1
.LBB6_12821:                            ;   in Loop: Header=BB6_10813 Depth=3
	v_and_b32_e32 v52, 0x7f800000, v0
	v_cmp_ne_u64_e32 vcc, s[76:77], v[52:53]
                                        ; implicit-def: $vgpr61
	s_and_saveexec_b64 s[40:41], vcc
	s_xor_b64 s[38:39], exec, s[40:41]
	s_cbranch_execz .LBB6_12835
; %bb.12822:                            ;   in Loop: Header=BB6_10813 Depth=3
	v_and_b32_e32 v52, 0x7fffffff, v0
	v_cmp_gt_u64_e32 vcc, s[78:79], v[52:53]
	v_and_b32_sdwa v3, v0, s82 dst_sel:DWORD dst_unused:UNUSED_PAD src0_sel:BYTE_3 src1_sel:DWORD
                                        ; implicit-def: $vgpr61
	s_and_saveexec_b64 s[40:41], vcc
	s_xor_b64 s[48:49], exec, s[40:41]
	s_cbranch_execz .LBB6_12832
; %bb.12823:                            ;   in Loop: Header=BB6_10813 Depth=3
	v_mov_b32_e32 v61, 0
	v_cmp_ne_u32_e32 vcc, 0, v0
	s_and_saveexec_b64 s[50:51], vcc
	s_cbranch_execz .LBB6_12831
; %bb.12824:                            ;   in Loop: Header=BB6_10813 Depth=3
	v_bfe_u32 v16, v0, 23, 8
	v_and_b32_e32 v1, 0x7fffff, v0
	v_cmp_gt_u32_e64 s[40:41], s85, v16
	v_sub_u32_e32 v0, 0x79, v16
	v_cmp_eq_u32_e32 vcc, 0, v16
	v_cndmask_b32_e64 v0, 0, v0, s[40:41]
	v_mov_b32_e32 v17, 0x78
	v_cndmask_b32_e32 v17, v0, v17, vcc
	v_or_b32_e32 v2, 0x800000, v1
	v_add_u32_e32 v0, 20, v17
	v_cndmask_b32_e32 v52, v2, v1, vcc
	v_lshlrev_b64 v[0:1], v0, -1
	v_add_u32_e32 v2, 19, v17
	v_lshlrev_b64 v[36:37], v2, 1
	v_bfi_b32 v1, v1, 0, 0
	v_bfi_b32 v0, v0, 0, v52
	v_cmp_eq_u64_e64 s[40:41], v[0:1], v[36:37]
	v_lshrrev_b64 v[0:1], v17, v[52:53]
	v_mov_b32_e32 v2, v1
	v_mov_b32_e32 v1, v0
	s_and_saveexec_b64 s[52:53], s[40:41]
; %bb.12825:                            ;   in Loop: Header=BB6_10813 Depth=3
	v_bfe_u32 v1, v0, 20, 1
	v_add_co_u32_e64 v1, s[40:41], v0, v1
	v_add_co_u32_e64 v1, s[40:41], -1, v1
; %bb.12826:                            ;   in Loop: Header=BB6_10813 Depth=3
	s_or_b64 exec, exec, s[52:53]
	v_add_u32_e32 v2, 0xffffff81, v16
	v_mov_b32_e32 v16, 0xffffff82
	v_cndmask_b32_e32 v2, v2, v16, vcc
	v_lshrrev_b32_e32 v16, 23, v0
	v_add3_u32 v17, v17, v2, v16
	v_add_u32_e32 v16, 6, v17
	v_and_b32_e32 v1, 0xfffff, v1
	v_add_u32_e32 v52, v1, v0
	v_cmp_ne_u32_e32 vcc, 0, v16
                                        ; implicit-def: $vgpr0_vgpr1
                                        ; implicit-def: $vgpr2
	s_and_saveexec_b64 s[40:41], vcc
	s_xor_b64 s[40:41], exec, s[40:41]
; %bb.12827:                            ;   in Loop: Header=BB6_10813 Depth=3
	v_cmp_lt_u64_e32 vcc, s[88:89], v[52:53]
	v_add_u32_e32 v0, 7, v17
	v_cndmask_b32_e32 v2, v16, v0, vcc
	v_cndmask_b32_e64 v0, 0, 1, vcc
	v_lshrrev_b64 v[0:1], v0, v[52:53]
; %bb.12828:                            ;   in Loop: Header=BB6_10813 Depth=3
	s_andn2_saveexec_b64 s[40:41], s[40:41]
; %bb.12829:                            ;   in Loop: Header=BB6_10813 Depth=3
	v_mov_b32_e32 v0, v52
	v_bfe_u32 v2, v52, 23, 1
	v_mov_b32_e32 v1, v53
; %bb.12830:                            ;   in Loop: Header=BB6_10813 Depth=3
	s_or_b64 exec, exec, s[40:41]
	v_lshrrev_b64 v[0:1], 20, v[0:1]
	v_cmp_gt_i32_e32 vcc, 16, v2
	v_cndmask_b32_e32 v1, 0, v1, vcc
	v_cndmask_b32_e32 v0, 7, v0, vcc
	v_cmp_eq_u64_e64 s[40:41], 0, v[0:1]
	v_min_i32_e32 v1, 15, v2
	v_lshlrev_b32_e32 v1, 3, v1
	v_cmp_eq_u32_e32 vcc, 0, v2
	v_and_b32_e32 v1, 0xf8, v1
	v_and_or_b32 v0, v0, 7, v1
	s_and_b64 s[40:41], vcc, s[40:41]
	v_cndmask_b32_e64 v0, v0, 0, s[40:41]
	v_or_b32_e32 v61, v0, v3
.LBB6_12831:                            ;   in Loop: Header=BB6_10813 Depth=3
	s_or_b64 exec, exec, s[50:51]
                                        ; implicit-def: $vgpr3
.LBB6_12832:                            ;   in Loop: Header=BB6_10813 Depth=3
	s_andn2_saveexec_b64 s[40:41], s[48:49]
; %bb.12833:                            ;   in Loop: Header=BB6_10813 Depth=3
	v_or_b32_e32 v61, 0x7e, v3
; %bb.12834:                            ;   in Loop: Header=BB6_10813 Depth=3
	s_or_b64 exec, exec, s[40:41]
                                        ; implicit-def: $vgpr0
.LBB6_12835:                            ;   in Loop: Header=BB6_10813 Depth=3
	s_andn2_saveexec_b64 s[40:41], s[38:39]
; %bb.12836:                            ;   in Loop: Header=BB6_10813 Depth=3
	v_or_b32_sdwa v61, v0, s83 dst_sel:DWORD dst_unused:UNUSED_PAD src0_sel:BYTE_3 src1_sel:DWORD
; %bb.12837:                            ;   in Loop: Header=BB6_10813 Depth=3
	s_or_b64 exec, exec, s[40:41]
	v_lshrrev_b32_e32 v2, 16, v23
	v_lshrrev_b32_e32 v0, 16, v19
	v_cmp_ne_u16_sdwa s[40:41], v2, v53 src0_sel:BYTE_0 src1_sel:DWORD
	s_and_b64 vcc, exec, s[28:29]
	s_mov_b64 s[38:39], -1
                                        ; implicit-def: $vgpr1
	s_cbranch_vccnz .LBB6_12851
; %bb.12838:                            ;   in Loop: Header=BB6_10813 Depth=3
	v_mov_b32_e32 v3, 0
	v_mov_b32_e32 v1, 0
	s_and_saveexec_b64 s[38:39], s[40:41]
	s_cbranch_execz .LBB6_12844
; %bb.12839:                            ;   in Loop: Header=BB6_10813 Depth=3
	v_cmp_ne_u16_sdwa vcc, v2, s82 src0_sel:BYTE_0 src1_sel:DWORD
	v_bfrev_b32_e32 v1, 1
	s_and_saveexec_b64 s[48:49], vcc
	s_cbranch_execz .LBB6_12843
; %bb.12840:                            ;   in Loop: Header=BB6_10813 Depth=3
	v_bfe_u32 v16, v23, 16, 7
	v_cmp_ne_u32_e32 vcc, s83, v16
	v_mov_b32_e32 v1, 0x7f800001
	s_and_saveexec_b64 s[50:51], vcc
	s_cbranch_execz .LBB6_12842
; %bb.12841:                            ;   in Loop: Header=BB6_10813 Depth=3
	v_and_b32_e32 v1, 7, v2
	v_lshrrev_b32_e32 v36, 3, v16
	v_cmp_gt_u32_e32 vcc, 8, v16
	v_ffbh_u32_e32 v16, v1
	v_min_u32_e32 v37, 32, v16
	v_subrev_u32_e32 v16, 28, v37
	v_lshlrev_b64 v[16:17], v16, v[2:3]
	v_sub_u32_e32 v17, 29, v37
	v_and_b32_e32 v16, 7, v16
	v_cndmask_b32_e32 v17, v36, v17, vcc
	v_cndmask_b32_e32 v1, v1, v16, vcc
	v_lshlrev_b32_e32 v16, 24, v2
	v_bfrev_b32_e32 v36, 60
	v_lshlrev_b32_e32 v1, 20, v1
	v_and_b32_e32 v16, 0x80000000, v16
	v_lshl_add_u32 v17, v17, 23, v36
	v_or3_b32 v1, v16, v17, v1
.LBB6_12842:                            ;   in Loop: Header=BB6_10813 Depth=3
	s_or_b64 exec, exec, s[50:51]
.LBB6_12843:                            ;   in Loop: Header=BB6_10813 Depth=3
	s_or_b64 exec, exec, s[48:49]
.LBB6_12844:                            ;   in Loop: Header=BB6_10813 Depth=3
	s_or_b64 exec, exec, s[38:39]
	v_cmp_ne_u16_sdwa vcc, v0, v53 src0_sel:BYTE_0 src1_sel:DWORD
	s_and_saveexec_b64 s[38:39], vcc
	s_cbranch_execz .LBB6_12850
; %bb.12845:                            ;   in Loop: Header=BB6_10813 Depth=3
	v_cmp_ne_u16_sdwa vcc, v0, s82 src0_sel:BYTE_0 src1_sel:DWORD
	v_bfrev_b32_e32 v3, 1
	s_and_saveexec_b64 s[48:49], vcc
	s_cbranch_execz .LBB6_12849
; %bb.12846:                            ;   in Loop: Header=BB6_10813 Depth=3
	v_bfe_u32 v16, v19, 16, 7
	v_cmp_ne_u32_e32 vcc, s83, v16
	v_mov_b32_e32 v3, 0x7f800001
	s_and_saveexec_b64 s[50:51], vcc
	s_cbranch_execz .LBB6_12848
; %bb.12847:                            ;   in Loop: Header=BB6_10813 Depth=3
	v_and_b32_e32 v3, 7, v0
	v_lshrrev_b32_e32 v36, 3, v16
	v_cmp_gt_u32_e32 vcc, 8, v16
	v_ffbh_u32_e32 v16, v3
	v_min_u32_e32 v37, 32, v16
	v_subrev_u32_e32 v16, 28, v37
	v_lshlrev_b64 v[16:17], v16, v[0:1]
	v_sub_u32_e32 v17, 29, v37
	v_and_b32_e32 v16, 7, v16
	v_cndmask_b32_e32 v17, v36, v17, vcc
	v_cndmask_b32_e32 v3, v3, v16, vcc
	v_lshlrev_b32_e32 v16, 24, v0
	v_bfrev_b32_e32 v36, 60
	v_lshlrev_b32_e32 v3, 20, v3
	v_and_b32_e32 v16, 0x80000000, v16
	v_lshl_add_u32 v17, v17, 23, v36
	v_or3_b32 v3, v16, v17, v3
.LBB6_12848:                            ;   in Loop: Header=BB6_10813 Depth=3
	s_or_b64 exec, exec, s[50:51]
.LBB6_12849:                            ;   in Loop: Header=BB6_10813 Depth=3
	s_or_b64 exec, exec, s[48:49]
.LBB6_12850:                            ;   in Loop: Header=BB6_10813 Depth=3
	s_or_b64 exec, exec, s[38:39]
	v_max_f32_e32 v3, v3, v3
	v_max_f32_e32 v1, v1, v1
	;; [unrolled: 1-line block ×3, first 2 shown]
	s_mov_b64 s[38:39], 0
.LBB6_12851:                            ;   in Loop: Header=BB6_10813 Depth=3
	s_and_b64 vcc, exec, s[38:39]
	s_cbranch_vccz .LBB6_12865
; %bb.12852:                            ;   in Loop: Header=BB6_10813 Depth=3
	v_mov_b32_e32 v3, 0
	v_mov_b32_e32 v1, 0
	s_and_saveexec_b64 s[38:39], s[40:41]
	s_cbranch_execz .LBB6_12858
; %bb.12853:                            ;   in Loop: Header=BB6_10813 Depth=3
	v_cmp_ne_u16_sdwa vcc, v2, s82 src0_sel:BYTE_0 src1_sel:DWORD
	v_bfrev_b32_e32 v1, 1
	s_and_saveexec_b64 s[40:41], vcc
	s_cbranch_execz .LBB6_12857
; %bb.12854:                            ;   in Loop: Header=BB6_10813 Depth=3
	v_bfe_u32 v16, v23, 16, 7
	v_cmp_ne_u32_e32 vcc, s83, v16
	v_mov_b32_e32 v1, 0x7f800001
	s_and_saveexec_b64 s[48:49], vcc
	s_cbranch_execz .LBB6_12856
; %bb.12855:                            ;   in Loop: Header=BB6_10813 Depth=3
	v_and_b32_e32 v1, 7, v2
	v_lshrrev_b32_e32 v36, 3, v16
	v_cmp_gt_u32_e32 vcc, 8, v16
	v_ffbh_u32_e32 v16, v1
	v_min_u32_e32 v37, 32, v16
	v_subrev_u32_e32 v16, 28, v37
	v_lshlrev_b64 v[16:17], v16, v[2:3]
	v_sub_u32_e32 v17, 29, v37
	v_and_b32_e32 v16, 7, v16
	v_cndmask_b32_e32 v17, v36, v17, vcc
	v_cndmask_b32_e32 v1, v1, v16, vcc
	v_lshlrev_b32_e32 v2, 24, v2
	v_bfrev_b32_e32 v16, 60
	v_lshlrev_b32_e32 v1, 20, v1
	v_and_b32_e32 v2, 0x80000000, v2
	v_lshl_add_u32 v16, v17, 23, v16
	v_or3_b32 v1, v2, v16, v1
.LBB6_12856:                            ;   in Loop: Header=BB6_10813 Depth=3
	s_or_b64 exec, exec, s[48:49]
.LBB6_12857:                            ;   in Loop: Header=BB6_10813 Depth=3
	s_or_b64 exec, exec, s[40:41]
.LBB6_12858:                            ;   in Loop: Header=BB6_10813 Depth=3
	s_or_b64 exec, exec, s[38:39]
	v_cmp_ne_u16_sdwa vcc, v0, v53 src0_sel:BYTE_0 src1_sel:DWORD
	s_and_saveexec_b64 s[40:41], vcc
	s_cbranch_execz .LBB6_12864
; %bb.12859:                            ;   in Loop: Header=BB6_10813 Depth=3
	v_cmp_ne_u16_sdwa vcc, v0, s82 src0_sel:BYTE_0 src1_sel:DWORD
	v_bfrev_b32_e32 v3, 1
	s_and_saveexec_b64 s[38:39], vcc
	s_cbranch_execz .LBB6_12863
; %bb.12860:                            ;   in Loop: Header=BB6_10813 Depth=3
	v_bfe_u32 v2, v19, 16, 7
	v_cmp_ne_u32_e32 vcc, s83, v2
	v_mov_b32_e32 v3, 0x7f800001
	s_and_saveexec_b64 s[48:49], vcc
	s_cbranch_execz .LBB6_12862
; %bb.12861:                            ;   in Loop: Header=BB6_10813 Depth=3
	v_and_b32_e32 v16, 7, v0
	v_lshrrev_b32_e32 v17, 3, v2
	v_cmp_gt_u32_e32 vcc, 8, v2
	v_ffbh_u32_e32 v2, v16
	v_min_u32_e32 v36, 32, v2
	v_subrev_u32_e32 v2, 28, v36
	v_lshlrev_b64 v[2:3], v2, v[0:1]
	v_sub_u32_e32 v3, 29, v36
	v_and_b32_e32 v2, 7, v2
	v_cndmask_b32_e32 v3, v17, v3, vcc
	v_cndmask_b32_e32 v2, v16, v2, vcc
	v_lshlrev_b32_e32 v0, 24, v0
	v_bfrev_b32_e32 v16, 60
	v_lshlrev_b32_e32 v2, 20, v2
	v_and_b32_e32 v0, 0x80000000, v0
	v_lshl_add_u32 v3, v3, 23, v16
	v_or3_b32 v3, v0, v3, v2
.LBB6_12862:                            ;   in Loop: Header=BB6_10813 Depth=3
	s_or_b64 exec, exec, s[48:49]
.LBB6_12863:                            ;   in Loop: Header=BB6_10813 Depth=3
	s_or_b64 exec, exec, s[38:39]
.LBB6_12864:                            ;   in Loop: Header=BB6_10813 Depth=3
	s_or_b64 exec, exec, s[40:41]
	v_max_f32_e32 v0, v3, v3
	v_max_f32_e32 v1, v1, v1
	v_min_f32_e32 v1, v1, v0
.LBB6_12865:                            ;   in Loop: Header=BB6_10813 Depth=3
	v_and_b32_e32 v52, 0x7f800000, v1
	v_cmp_ne_u64_e32 vcc, s[76:77], v[52:53]
                                        ; implicit-def: $vgpr58
	s_and_saveexec_b64 s[40:41], vcc
	s_xor_b64 s[38:39], exec, s[40:41]
	s_cbranch_execz .LBB6_12879
; %bb.12866:                            ;   in Loop: Header=BB6_10813 Depth=3
	v_and_b32_e32 v52, 0x7fffffff, v1
	v_cmp_gt_u64_e32 vcc, s[78:79], v[52:53]
	v_and_b32_sdwa v3, v1, s82 dst_sel:DWORD dst_unused:UNUSED_PAD src0_sel:BYTE_3 src1_sel:DWORD
                                        ; implicit-def: $vgpr58
	s_and_saveexec_b64 s[40:41], vcc
	s_xor_b64 s[48:49], exec, s[40:41]
	s_cbranch_execz .LBB6_12876
; %bb.12867:                            ;   in Loop: Header=BB6_10813 Depth=3
	v_mov_b32_e32 v58, 0
	v_cmp_ne_u32_e32 vcc, 0, v1
	s_and_saveexec_b64 s[50:51], vcc
	s_cbranch_execz .LBB6_12875
; %bb.12868:                            ;   in Loop: Header=BB6_10813 Depth=3
	v_bfe_u32 v16, v1, 23, 8
	v_and_b32_e32 v0, 0x7fffff, v1
	v_cmp_gt_u32_e64 s[40:41], s85, v16
	v_sub_u32_e32 v1, 0x79, v16
	v_cmp_eq_u32_e32 vcc, 0, v16
	v_cndmask_b32_e64 v1, 0, v1, s[40:41]
	v_mov_b32_e32 v17, 0x78
	v_or_b32_e32 v2, 0x800000, v0
	v_cndmask_b32_e32 v17, v1, v17, vcc
	v_cndmask_b32_e32 v52, v2, v0, vcc
	v_add_u32_e32 v0, 20, v17
	v_lshlrev_b64 v[0:1], v0, -1
	v_add_u32_e32 v2, 19, v17
	v_lshlrev_b64 v[36:37], v2, 1
	v_bfi_b32 v1, v1, 0, 0
	v_bfi_b32 v0, v0, 0, v52
	v_cmp_eq_u64_e64 s[40:41], v[0:1], v[36:37]
	v_lshrrev_b64 v[0:1], v17, v[52:53]
	v_mov_b32_e32 v2, v1
	v_mov_b32_e32 v1, v0
	s_and_saveexec_b64 s[52:53], s[40:41]
; %bb.12869:                            ;   in Loop: Header=BB6_10813 Depth=3
	v_bfe_u32 v1, v0, 20, 1
	v_add_co_u32_e64 v1, s[40:41], v0, v1
	v_add_co_u32_e64 v1, s[40:41], -1, v1
; %bb.12870:                            ;   in Loop: Header=BB6_10813 Depth=3
	s_or_b64 exec, exec, s[52:53]
	v_add_u32_e32 v2, 0xffffff81, v16
	v_mov_b32_e32 v16, 0xffffff82
	v_cndmask_b32_e32 v2, v2, v16, vcc
	v_lshrrev_b32_e32 v16, 23, v0
	v_add3_u32 v17, v17, v2, v16
	v_add_u32_e32 v16, 6, v17
	v_and_b32_e32 v1, 0xfffff, v1
	v_add_u32_e32 v52, v1, v0
	v_cmp_ne_u32_e32 vcc, 0, v16
                                        ; implicit-def: $vgpr0_vgpr1
                                        ; implicit-def: $vgpr2
	s_and_saveexec_b64 s[40:41], vcc
	s_xor_b64 s[40:41], exec, s[40:41]
; %bb.12871:                            ;   in Loop: Header=BB6_10813 Depth=3
	v_cmp_lt_u64_e32 vcc, s[88:89], v[52:53]
	v_add_u32_e32 v0, 7, v17
	v_cndmask_b32_e32 v2, v16, v0, vcc
	v_cndmask_b32_e64 v0, 0, 1, vcc
	v_lshrrev_b64 v[0:1], v0, v[52:53]
; %bb.12872:                            ;   in Loop: Header=BB6_10813 Depth=3
	s_andn2_saveexec_b64 s[40:41], s[40:41]
; %bb.12873:                            ;   in Loop: Header=BB6_10813 Depth=3
	v_mov_b32_e32 v0, v52
	v_bfe_u32 v2, v52, 23, 1
	v_mov_b32_e32 v1, v53
; %bb.12874:                            ;   in Loop: Header=BB6_10813 Depth=3
	s_or_b64 exec, exec, s[40:41]
	v_lshrrev_b64 v[0:1], 20, v[0:1]
	v_cmp_gt_i32_e32 vcc, 16, v2
	v_cndmask_b32_e32 v1, 0, v1, vcc
	v_cndmask_b32_e32 v0, 7, v0, vcc
	v_cmp_eq_u64_e64 s[40:41], 0, v[0:1]
	v_min_i32_e32 v1, 15, v2
	v_lshlrev_b32_e32 v1, 3, v1
	v_cmp_eq_u32_e32 vcc, 0, v2
	v_and_b32_e32 v1, 0xf8, v1
	v_and_or_b32 v0, v0, 7, v1
	s_and_b64 s[40:41], vcc, s[40:41]
	v_cndmask_b32_e64 v0, v0, 0, s[40:41]
	v_or_b32_e32 v58, v0, v3
.LBB6_12875:                            ;   in Loop: Header=BB6_10813 Depth=3
	s_or_b64 exec, exec, s[50:51]
                                        ; implicit-def: $vgpr3
.LBB6_12876:                            ;   in Loop: Header=BB6_10813 Depth=3
	s_andn2_saveexec_b64 s[40:41], s[48:49]
; %bb.12877:                            ;   in Loop: Header=BB6_10813 Depth=3
	v_or_b32_e32 v58, 0x7e, v3
; %bb.12878:                            ;   in Loop: Header=BB6_10813 Depth=3
	s_or_b64 exec, exec, s[40:41]
                                        ; implicit-def: $vgpr1
.LBB6_12879:                            ;   in Loop: Header=BB6_10813 Depth=3
	s_andn2_saveexec_b64 s[40:41], s[38:39]
; %bb.12880:                            ;   in Loop: Header=BB6_10813 Depth=3
	v_or_b32_sdwa v58, v1, s83 dst_sel:DWORD dst_unused:UNUSED_PAD src0_sel:BYTE_3 src1_sel:DWORD
; %bb.12881:                            ;   in Loop: Header=BB6_10813 Depth=3
	s_or_b64 exec, exec, s[40:41]
	v_cmp_lt_u64_e64 s[40:41], s[62:63], v[22:23]
	v_lshrrev_b32_e32 v2, 24, v23
	v_lshrrev_b32_e32 v0, 24, v19
	s_and_b64 vcc, exec, s[28:29]
	s_mov_b64 s[38:39], -1
                                        ; implicit-def: $vgpr1
	s_cbranch_vccnz .LBB6_12895
; %bb.12882:                            ;   in Loop: Header=BB6_10813 Depth=3
	v_mov_b32_e32 v3, 0
	v_mov_b32_e32 v1, 0
	s_and_saveexec_b64 s[38:39], s[40:41]
	s_cbranch_execz .LBB6_12888
; %bb.12883:                            ;   in Loop: Header=BB6_10813 Depth=3
	v_cmp_ne_u32_e32 vcc, s82, v2
	v_bfrev_b32_e32 v1, 1
	s_and_saveexec_b64 s[48:49], vcc
	s_cbranch_execz .LBB6_12887
; %bb.12884:                            ;   in Loop: Header=BB6_10813 Depth=3
	v_bfe_u32 v16, v23, 24, 7
	v_cmp_ne_u32_e32 vcc, s83, v16
	v_mov_b32_e32 v1, 0x7f800001
	s_and_saveexec_b64 s[50:51], vcc
	s_cbranch_execz .LBB6_12886
; %bb.12885:                            ;   in Loop: Header=BB6_10813 Depth=3
	v_and_b32_e32 v1, 7, v2
	v_lshrrev_b32_e32 v22, 3, v16
	v_cmp_gt_u32_e32 vcc, 8, v16
	v_ffbh_u32_e32 v16, v1
	v_min_u32_e32 v36, 32, v16
	v_subrev_u32_e32 v16, 28, v36
	v_lshlrev_b64 v[16:17], v16, v[2:3]
	v_sub_u32_e32 v17, 29, v36
	v_and_b32_e32 v16, 7, v16
	v_cndmask_b32_e32 v17, v22, v17, vcc
	v_cndmask_b32_e32 v1, v1, v16, vcc
	v_lshlrev_b32_e32 v16, 24, v2
	v_bfrev_b32_e32 v22, 60
	v_lshlrev_b32_e32 v1, 20, v1
	v_and_b32_e32 v16, 0x80000000, v16
	v_lshl_add_u32 v17, v17, 23, v22
	v_or3_b32 v1, v16, v17, v1
.LBB6_12886:                            ;   in Loop: Header=BB6_10813 Depth=3
	s_or_b64 exec, exec, s[50:51]
.LBB6_12887:                            ;   in Loop: Header=BB6_10813 Depth=3
	s_or_b64 exec, exec, s[48:49]
.LBB6_12888:                            ;   in Loop: Header=BB6_10813 Depth=3
	s_or_b64 exec, exec, s[38:39]
	v_cmp_lt_u64_e32 vcc, s[62:63], v[18:19]
	s_and_saveexec_b64 s[38:39], vcc
	s_cbranch_execz .LBB6_12894
; %bb.12889:                            ;   in Loop: Header=BB6_10813 Depth=3
	v_cmp_ne_u32_e32 vcc, s82, v0
	v_bfrev_b32_e32 v3, 1
	s_and_saveexec_b64 s[48:49], vcc
	s_cbranch_execz .LBB6_12893
; %bb.12890:                            ;   in Loop: Header=BB6_10813 Depth=3
	v_bfe_u32 v16, v19, 24, 7
	v_cmp_ne_u32_e32 vcc, s83, v16
	v_mov_b32_e32 v3, 0x7f800001
	s_and_saveexec_b64 s[50:51], vcc
	s_cbranch_execz .LBB6_12892
; %bb.12891:                            ;   in Loop: Header=BB6_10813 Depth=3
	v_and_b32_e32 v3, 7, v0
	v_lshrrev_b32_e32 v22, 3, v16
	v_cmp_gt_u32_e32 vcc, 8, v16
	v_ffbh_u32_e32 v16, v3
	v_min_u32_e32 v36, 32, v16
	v_subrev_u32_e32 v16, 28, v36
	v_lshlrev_b64 v[16:17], v16, v[0:1]
	v_sub_u32_e32 v17, 29, v36
	v_and_b32_e32 v16, 7, v16
	v_cndmask_b32_e32 v17, v22, v17, vcc
	v_cndmask_b32_e32 v3, v3, v16, vcc
	v_lshlrev_b32_e32 v16, 24, v0
	v_bfrev_b32_e32 v22, 60
	v_lshlrev_b32_e32 v3, 20, v3
	v_and_b32_e32 v16, 0x80000000, v16
	v_lshl_add_u32 v17, v17, 23, v22
	v_or3_b32 v3, v16, v17, v3
.LBB6_12892:                            ;   in Loop: Header=BB6_10813 Depth=3
	s_or_b64 exec, exec, s[50:51]
.LBB6_12893:                            ;   in Loop: Header=BB6_10813 Depth=3
	s_or_b64 exec, exec, s[48:49]
.LBB6_12894:                            ;   in Loop: Header=BB6_10813 Depth=3
	s_or_b64 exec, exec, s[38:39]
	v_max_f32_e32 v3, v3, v3
	v_max_f32_e32 v1, v1, v1
	;; [unrolled: 1-line block ×3, first 2 shown]
	s_mov_b64 s[38:39], 0
.LBB6_12895:                            ;   in Loop: Header=BB6_10813 Depth=3
	s_and_b64 vcc, exec, s[38:39]
	s_cbranch_vccz .LBB6_12909
; %bb.12896:                            ;   in Loop: Header=BB6_10813 Depth=3
	v_mov_b32_e32 v3, 0
	v_mov_b32_e32 v1, 0
	s_and_saveexec_b64 s[38:39], s[40:41]
	s_cbranch_execz .LBB6_12902
; %bb.12897:                            ;   in Loop: Header=BB6_10813 Depth=3
	v_cmp_ne_u32_e32 vcc, s82, v2
	v_bfrev_b32_e32 v1, 1
	s_and_saveexec_b64 s[40:41], vcc
	s_cbranch_execz .LBB6_12901
; %bb.12898:                            ;   in Loop: Header=BB6_10813 Depth=3
	v_bfe_u32 v16, v23, 24, 7
	v_cmp_ne_u32_e32 vcc, s83, v16
	v_mov_b32_e32 v1, 0x7f800001
	s_and_saveexec_b64 s[48:49], vcc
	s_cbranch_execz .LBB6_12900
; %bb.12899:                            ;   in Loop: Header=BB6_10813 Depth=3
	v_and_b32_e32 v1, 7, v2
	v_lshrrev_b32_e32 v22, 3, v16
	v_cmp_gt_u32_e32 vcc, 8, v16
	v_ffbh_u32_e32 v16, v1
	v_min_u32_e32 v23, 32, v16
	v_subrev_u32_e32 v16, 28, v23
	v_lshlrev_b64 v[16:17], v16, v[2:3]
	v_sub_u32_e32 v17, 29, v23
	v_and_b32_e32 v16, 7, v16
	v_cndmask_b32_e32 v17, v22, v17, vcc
	v_cndmask_b32_e32 v1, v1, v16, vcc
	v_lshlrev_b32_e32 v2, 24, v2
	v_bfrev_b32_e32 v16, 60
	v_lshlrev_b32_e32 v1, 20, v1
	v_and_b32_e32 v2, 0x80000000, v2
	v_lshl_add_u32 v16, v17, 23, v16
	v_or3_b32 v1, v2, v16, v1
.LBB6_12900:                            ;   in Loop: Header=BB6_10813 Depth=3
	s_or_b64 exec, exec, s[48:49]
.LBB6_12901:                            ;   in Loop: Header=BB6_10813 Depth=3
	s_or_b64 exec, exec, s[40:41]
.LBB6_12902:                            ;   in Loop: Header=BB6_10813 Depth=3
	s_or_b64 exec, exec, s[38:39]
	v_cmp_lt_u64_e32 vcc, s[62:63], v[18:19]
	s_and_saveexec_b64 s[40:41], vcc
	s_cbranch_execz .LBB6_12908
; %bb.12903:                            ;   in Loop: Header=BB6_10813 Depth=3
	v_cmp_ne_u32_e32 vcc, s82, v0
	v_bfrev_b32_e32 v3, 1
	s_and_saveexec_b64 s[38:39], vcc
	s_cbranch_execz .LBB6_12907
; %bb.12904:                            ;   in Loop: Header=BB6_10813 Depth=3
	v_bfe_u32 v2, v19, 24, 7
	v_cmp_ne_u32_e32 vcc, s83, v2
	v_mov_b32_e32 v3, 0x7f800001
	s_and_saveexec_b64 s[48:49], vcc
	s_cbranch_execz .LBB6_12906
; %bb.12905:                            ;   in Loop: Header=BB6_10813 Depth=3
	v_and_b32_e32 v16, 7, v0
	v_lshrrev_b32_e32 v17, 3, v2
	v_cmp_gt_u32_e32 vcc, 8, v2
	v_ffbh_u32_e32 v2, v16
	v_min_u32_e32 v18, 32, v2
	v_subrev_u32_e32 v2, 28, v18
	v_lshlrev_b64 v[2:3], v2, v[0:1]
	v_sub_u32_e32 v3, 29, v18
	v_and_b32_e32 v2, 7, v2
	v_cndmask_b32_e32 v3, v17, v3, vcc
	v_cndmask_b32_e32 v2, v16, v2, vcc
	v_lshlrev_b32_e32 v0, 24, v0
	v_bfrev_b32_e32 v16, 60
	v_lshlrev_b32_e32 v2, 20, v2
	v_and_b32_e32 v0, 0x80000000, v0
	v_lshl_add_u32 v3, v3, 23, v16
	v_or3_b32 v3, v0, v3, v2
.LBB6_12906:                            ;   in Loop: Header=BB6_10813 Depth=3
	s_or_b64 exec, exec, s[48:49]
.LBB6_12907:                            ;   in Loop: Header=BB6_10813 Depth=3
	s_or_b64 exec, exec, s[38:39]
.LBB6_12908:                            ;   in Loop: Header=BB6_10813 Depth=3
	s_or_b64 exec, exec, s[40:41]
	v_max_f32_e32 v0, v3, v3
	v_max_f32_e32 v1, v1, v1
	v_min_f32_e32 v1, v1, v0
.LBB6_12909:                            ;   in Loop: Header=BB6_10813 Depth=3
	v_and_b32_e32 v52, 0x7f800000, v1
	v_cmp_ne_u64_e32 vcc, s[76:77], v[52:53]
                                        ; implicit-def: $vgpr18
	s_and_saveexec_b64 s[40:41], vcc
	s_xor_b64 s[38:39], exec, s[40:41]
	s_cbranch_execz .LBB6_12923
; %bb.12910:                            ;   in Loop: Header=BB6_10813 Depth=3
	v_and_b32_e32 v52, 0x7fffffff, v1
	v_cmp_gt_u64_e32 vcc, s[78:79], v[52:53]
	v_and_b32_sdwa v3, v1, s82 dst_sel:DWORD dst_unused:UNUSED_PAD src0_sel:BYTE_3 src1_sel:DWORD
                                        ; implicit-def: $vgpr18
	s_and_saveexec_b64 s[40:41], vcc
	s_xor_b64 s[48:49], exec, s[40:41]
	s_cbranch_execz .LBB6_12920
; %bb.12911:                            ;   in Loop: Header=BB6_10813 Depth=3
	v_mov_b32_e32 v18, 0
	v_cmp_ne_u32_e32 vcc, 0, v1
	s_and_saveexec_b64 s[50:51], vcc
	s_cbranch_execz .LBB6_12919
; %bb.12912:                            ;   in Loop: Header=BB6_10813 Depth=3
	v_bfe_u32 v16, v1, 23, 8
	v_and_b32_e32 v0, 0x7fffff, v1
	v_cmp_gt_u32_e64 s[40:41], s85, v16
	v_sub_u32_e32 v1, 0x79, v16
	v_cmp_eq_u32_e32 vcc, 0, v16
	v_cndmask_b32_e64 v1, 0, v1, s[40:41]
	v_mov_b32_e32 v17, 0x78
	v_or_b32_e32 v2, 0x800000, v0
	v_cndmask_b32_e32 v17, v1, v17, vcc
	v_cndmask_b32_e32 v52, v2, v0, vcc
	v_add_u32_e32 v0, 20, v17
	v_lshlrev_b64 v[0:1], v0, -1
	v_add_u32_e32 v2, 19, v17
	v_lshlrev_b64 v[18:19], v2, 1
	v_bfi_b32 v1, v1, 0, 0
	v_bfi_b32 v0, v0, 0, v52
	v_cmp_eq_u64_e64 s[40:41], v[0:1], v[18:19]
	v_lshrrev_b64 v[0:1], v17, v[52:53]
	v_mov_b32_e32 v2, v1
	v_mov_b32_e32 v1, v0
	s_and_saveexec_b64 s[52:53], s[40:41]
; %bb.12913:                            ;   in Loop: Header=BB6_10813 Depth=3
	v_bfe_u32 v1, v0, 20, 1
	v_add_co_u32_e64 v1, s[40:41], v0, v1
	v_add_co_u32_e64 v1, s[40:41], -1, v1
; %bb.12914:                            ;   in Loop: Header=BB6_10813 Depth=3
	s_or_b64 exec, exec, s[52:53]
	v_add_u32_e32 v2, 0xffffff81, v16
	v_mov_b32_e32 v16, 0xffffff82
	v_cndmask_b32_e32 v2, v2, v16, vcc
	v_lshrrev_b32_e32 v16, 23, v0
	v_add3_u32 v17, v17, v2, v16
	v_add_u32_e32 v16, 6, v17
	v_and_b32_e32 v1, 0xfffff, v1
	v_add_u32_e32 v52, v1, v0
	v_cmp_ne_u32_e32 vcc, 0, v16
                                        ; implicit-def: $vgpr0_vgpr1
                                        ; implicit-def: $vgpr2
	s_and_saveexec_b64 s[40:41], vcc
	s_xor_b64 s[40:41], exec, s[40:41]
; %bb.12915:                            ;   in Loop: Header=BB6_10813 Depth=3
	v_cmp_lt_u64_e32 vcc, s[88:89], v[52:53]
	v_add_u32_e32 v0, 7, v17
	v_cndmask_b32_e32 v2, v16, v0, vcc
	v_cndmask_b32_e64 v0, 0, 1, vcc
	v_lshrrev_b64 v[0:1], v0, v[52:53]
; %bb.12916:                            ;   in Loop: Header=BB6_10813 Depth=3
	s_andn2_saveexec_b64 s[40:41], s[40:41]
; %bb.12917:                            ;   in Loop: Header=BB6_10813 Depth=3
	v_mov_b32_e32 v0, v52
	v_bfe_u32 v2, v52, 23, 1
	v_mov_b32_e32 v1, v53
; %bb.12918:                            ;   in Loop: Header=BB6_10813 Depth=3
	s_or_b64 exec, exec, s[40:41]
	v_lshrrev_b64 v[0:1], 20, v[0:1]
	v_cmp_gt_i32_e32 vcc, 16, v2
	v_cndmask_b32_e32 v1, 0, v1, vcc
	v_cndmask_b32_e32 v0, 7, v0, vcc
	v_cmp_eq_u64_e64 s[40:41], 0, v[0:1]
	v_min_i32_e32 v1, 15, v2
	v_lshlrev_b32_e32 v1, 3, v1
	v_cmp_eq_u32_e32 vcc, 0, v2
	v_and_b32_e32 v1, 0xf8, v1
	v_and_or_b32 v0, v0, 7, v1
	s_and_b64 s[40:41], vcc, s[40:41]
	v_cndmask_b32_e64 v0, v0, 0, s[40:41]
	v_or_b32_e32 v18, v0, v3
.LBB6_12919:                            ;   in Loop: Header=BB6_10813 Depth=3
	s_or_b64 exec, exec, s[50:51]
                                        ; implicit-def: $vgpr3
.LBB6_12920:                            ;   in Loop: Header=BB6_10813 Depth=3
	s_andn2_saveexec_b64 s[40:41], s[48:49]
; %bb.12921:                            ;   in Loop: Header=BB6_10813 Depth=3
	v_or_b32_e32 v18, 0x7e, v3
; %bb.12922:                            ;   in Loop: Header=BB6_10813 Depth=3
	s_or_b64 exec, exec, s[40:41]
                                        ; implicit-def: $vgpr1
.LBB6_12923:                            ;   in Loop: Header=BB6_10813 Depth=3
	s_andn2_saveexec_b64 s[40:41], s[38:39]
; %bb.12924:                            ;   in Loop: Header=BB6_10813 Depth=3
	v_or_b32_sdwa v18, v1, s83 dst_sel:DWORD dst_unused:UNUSED_PAD src0_sel:BYTE_3 src1_sel:DWORD
; %bb.12925:                            ;   in Loop: Header=BB6_10813 Depth=3
	s_or_b64 exec, exec, s[40:41]
	v_cmp_ne_u16_sdwa s[40:41], v12, v53 src0_sel:BYTE_0 src1_sel:DWORD
	s_and_b64 vcc, exec, s[28:29]
	s_mov_b64 s[38:39], -1
                                        ; implicit-def: $vgpr0
	s_cbranch_vccnz .LBB6_12939
; %bb.12926:                            ;   in Loop: Header=BB6_10813 Depth=3
	v_mov_b32_e32 v1, 0
	v_mov_b32_e32 v0, 0
	s_and_saveexec_b64 s[38:39], s[40:41]
	s_cbranch_execz .LBB6_12932
; %bb.12927:                            ;   in Loop: Header=BB6_10813 Depth=3
	v_cmp_ne_u16_sdwa vcc, v12, s82 src0_sel:BYTE_0 src1_sel:DWORD
	v_bfrev_b32_e32 v0, 1
	s_and_saveexec_b64 s[48:49], vcc
	s_cbranch_execz .LBB6_12931
; %bb.12928:                            ;   in Loop: Header=BB6_10813 Depth=3
	v_and_b32_e32 v2, 0x7f, v12
	v_cmp_ne_u32_e32 vcc, s83, v2
	v_mov_b32_e32 v0, 0x7f800001
	s_and_saveexec_b64 s[50:51], vcc
	s_cbranch_execz .LBB6_12930
; %bb.12929:                            ;   in Loop: Header=BB6_10813 Depth=3
	v_and_b32_e32 v0, 7, v12
	v_ffbh_u32_e32 v0, v0
	v_min_u32_e32 v0, 32, v0
	v_lshrrev_b32_e32 v3, 3, v2
	v_cmp_gt_u32_e32 vcc, 8, v2
	v_subrev_u32_e32 v2, 28, v0
	v_sub_u32_e32 v0, 29, v0
	v_cndmask_b32_e32 v2, 0, v2, vcc
	v_cndmask_b32_e32 v0, v3, v0, vcc
	v_lshlrev_b64 v[2:3], v2, v[12:13]
	v_lshlrev_b32_e32 v3, 24, v12
	v_lshlrev_b32_e32 v2, 20, v2
	v_bfrev_b32_e32 v16, 60
	v_and_b32_e32 v2, 0x700000, v2
	v_and_b32_e32 v3, 0x80000000, v3
	v_lshl_add_u32 v0, v0, 23, v16
	v_or3_b32 v0, v3, v0, v2
.LBB6_12930:                            ;   in Loop: Header=BB6_10813 Depth=3
	s_or_b64 exec, exec, s[50:51]
.LBB6_12931:                            ;   in Loop: Header=BB6_10813 Depth=3
	s_or_b64 exec, exec, s[48:49]
.LBB6_12932:                            ;   in Loop: Header=BB6_10813 Depth=3
	s_or_b64 exec, exec, s[38:39]
	s_waitcnt vmcnt(21)
	v_cmp_ne_u16_sdwa vcc, v8, v53 src0_sel:BYTE_0 src1_sel:DWORD
	s_and_saveexec_b64 s[38:39], vcc
	s_cbranch_execz .LBB6_12938
; %bb.12933:                            ;   in Loop: Header=BB6_10813 Depth=3
	v_cmp_ne_u16_sdwa vcc, v8, s82 src0_sel:BYTE_0 src1_sel:DWORD
	v_bfrev_b32_e32 v1, 1
	s_and_saveexec_b64 s[48:49], vcc
	s_cbranch_execz .LBB6_12937
; %bb.12934:                            ;   in Loop: Header=BB6_10813 Depth=3
	v_and_b32_e32 v2, 0x7f, v8
	v_cmp_ne_u32_e32 vcc, s83, v2
	v_mov_b32_e32 v1, 0x7f800001
	s_and_saveexec_b64 s[50:51], vcc
	s_cbranch_execz .LBB6_12936
; %bb.12935:                            ;   in Loop: Header=BB6_10813 Depth=3
	v_and_b32_e32 v1, 7, v8
	v_ffbh_u32_e32 v1, v1
	v_min_u32_e32 v1, 32, v1
	v_lshrrev_b32_e32 v3, 3, v2
	v_cmp_gt_u32_e32 vcc, 8, v2
	v_subrev_u32_e32 v2, 28, v1
	v_sub_u32_e32 v1, 29, v1
	v_cndmask_b32_e32 v3, v3, v1, vcc
	v_cndmask_b32_e32 v1, 0, v2, vcc
	v_lshlrev_b64 v[1:2], v1, v[8:9]
	v_lshlrev_b32_e32 v2, 24, v8
	v_lshlrev_b32_e32 v1, 20, v1
	v_bfrev_b32_e32 v16, 60
	v_and_b32_e32 v1, 0x700000, v1
	v_and_b32_e32 v2, 0x80000000, v2
	v_lshl_add_u32 v3, v3, 23, v16
	v_or3_b32 v1, v2, v3, v1
.LBB6_12936:                            ;   in Loop: Header=BB6_10813 Depth=3
	s_or_b64 exec, exec, s[50:51]
.LBB6_12937:                            ;   in Loop: Header=BB6_10813 Depth=3
	s_or_b64 exec, exec, s[48:49]
.LBB6_12938:                            ;   in Loop: Header=BB6_10813 Depth=3
	s_or_b64 exec, exec, s[38:39]
	v_max_f32_e32 v1, v1, v1
	v_max_f32_e32 v0, v0, v0
	;; [unrolled: 1-line block ×3, first 2 shown]
	s_mov_b64 s[38:39], 0
.LBB6_12939:                            ;   in Loop: Header=BB6_10813 Depth=3
	s_and_b64 vcc, exec, s[38:39]
	s_cbranch_vccz .LBB6_12953
; %bb.12940:                            ;   in Loop: Header=BB6_10813 Depth=3
	v_mov_b32_e32 v1, 0
	v_mov_b32_e32 v0, 0
	s_and_saveexec_b64 s[38:39], s[40:41]
	s_cbranch_execz .LBB6_12946
; %bb.12941:                            ;   in Loop: Header=BB6_10813 Depth=3
	v_cmp_ne_u16_sdwa vcc, v12, s82 src0_sel:BYTE_0 src1_sel:DWORD
	v_bfrev_b32_e32 v0, 1
	s_and_saveexec_b64 s[40:41], vcc
	s_cbranch_execz .LBB6_12945
; %bb.12942:                            ;   in Loop: Header=BB6_10813 Depth=3
	v_and_b32_e32 v2, 0x7f, v12
	v_cmp_ne_u32_e32 vcc, s83, v2
	v_mov_b32_e32 v0, 0x7f800001
	s_and_saveexec_b64 s[48:49], vcc
	s_cbranch_execz .LBB6_12944
; %bb.12943:                            ;   in Loop: Header=BB6_10813 Depth=3
	v_and_b32_e32 v0, 7, v12
	v_ffbh_u32_e32 v0, v0
	v_min_u32_e32 v0, 32, v0
	v_lshrrev_b32_e32 v3, 3, v2
	v_cmp_gt_u32_e32 vcc, 8, v2
	v_subrev_u32_e32 v2, 28, v0
	v_sub_u32_e32 v0, 29, v0
	v_cndmask_b32_e32 v2, 0, v2, vcc
	v_cndmask_b32_e32 v0, v3, v0, vcc
	v_lshlrev_b64 v[2:3], v2, v[12:13]
	v_lshlrev_b32_e32 v3, 24, v12
	v_lshlrev_b32_e32 v2, 20, v2
	v_bfrev_b32_e32 v16, 60
	v_and_b32_e32 v2, 0x700000, v2
	v_and_b32_e32 v3, 0x80000000, v3
	v_lshl_add_u32 v0, v0, 23, v16
	v_or3_b32 v0, v3, v0, v2
.LBB6_12944:                            ;   in Loop: Header=BB6_10813 Depth=3
	s_or_b64 exec, exec, s[48:49]
.LBB6_12945:                            ;   in Loop: Header=BB6_10813 Depth=3
	s_or_b64 exec, exec, s[40:41]
.LBB6_12946:                            ;   in Loop: Header=BB6_10813 Depth=3
	s_or_b64 exec, exec, s[38:39]
	s_waitcnt vmcnt(21)
	v_cmp_ne_u16_sdwa vcc, v8, v53 src0_sel:BYTE_0 src1_sel:DWORD
	s_and_saveexec_b64 s[40:41], vcc
	s_cbranch_execz .LBB6_12952
; %bb.12947:                            ;   in Loop: Header=BB6_10813 Depth=3
	v_cmp_ne_u16_sdwa vcc, v8, s82 src0_sel:BYTE_0 src1_sel:DWORD
	v_bfrev_b32_e32 v1, 1
	s_and_saveexec_b64 s[38:39], vcc
	s_cbranch_execz .LBB6_12951
; %bb.12948:                            ;   in Loop: Header=BB6_10813 Depth=3
	v_and_b32_e32 v2, 0x7f, v8
	v_cmp_ne_u32_e32 vcc, s83, v2
	v_mov_b32_e32 v1, 0x7f800001
	s_and_saveexec_b64 s[48:49], vcc
	s_cbranch_execz .LBB6_12950
; %bb.12949:                            ;   in Loop: Header=BB6_10813 Depth=3
	v_and_b32_e32 v1, 7, v8
	v_ffbh_u32_e32 v1, v1
	v_min_u32_e32 v1, 32, v1
	v_lshrrev_b32_e32 v3, 3, v2
	v_cmp_gt_u32_e32 vcc, 8, v2
	v_subrev_u32_e32 v2, 28, v1
	v_sub_u32_e32 v1, 29, v1
	v_cndmask_b32_e32 v3, v3, v1, vcc
	v_cndmask_b32_e32 v1, 0, v2, vcc
	v_lshlrev_b64 v[1:2], v1, v[8:9]
	v_lshlrev_b32_e32 v2, 24, v8
	v_lshlrev_b32_e32 v1, 20, v1
	v_bfrev_b32_e32 v16, 60
	v_and_b32_e32 v1, 0x700000, v1
	v_and_b32_e32 v2, 0x80000000, v2
	v_lshl_add_u32 v3, v3, 23, v16
	v_or3_b32 v1, v2, v3, v1
.LBB6_12950:                            ;   in Loop: Header=BB6_10813 Depth=3
	s_or_b64 exec, exec, s[48:49]
.LBB6_12951:                            ;   in Loop: Header=BB6_10813 Depth=3
	s_or_b64 exec, exec, s[38:39]
.LBB6_12952:                            ;   in Loop: Header=BB6_10813 Depth=3
	s_or_b64 exec, exec, s[40:41]
	v_max_f32_e32 v1, v1, v1
	v_max_f32_e32 v0, v0, v0
	v_min_f32_e32 v0, v0, v1
.LBB6_12953:                            ;   in Loop: Header=BB6_10813 Depth=3
	v_and_b32_e32 v52, 0x7f800000, v0
	v_cmp_ne_u64_e32 vcc, s[76:77], v[52:53]
                                        ; implicit-def: $vgpr19
	s_and_saveexec_b64 s[40:41], vcc
	s_xor_b64 s[38:39], exec, s[40:41]
	s_cbranch_execz .LBB6_12967
; %bb.12954:                            ;   in Loop: Header=BB6_10813 Depth=3
	v_and_b32_e32 v52, 0x7fffffff, v0
	v_cmp_gt_u64_e32 vcc, s[78:79], v[52:53]
	v_and_b32_sdwa v3, v0, s82 dst_sel:DWORD dst_unused:UNUSED_PAD src0_sel:BYTE_3 src1_sel:DWORD
                                        ; implicit-def: $vgpr19
	s_and_saveexec_b64 s[40:41], vcc
	s_xor_b64 s[48:49], exec, s[40:41]
	s_cbranch_execz .LBB6_12964
; %bb.12955:                            ;   in Loop: Header=BB6_10813 Depth=3
	v_mov_b32_e32 v19, 0
	v_cmp_ne_u32_e32 vcc, 0, v0
	s_and_saveexec_b64 s[50:51], vcc
	s_cbranch_execz .LBB6_12963
; %bb.12956:                            ;   in Loop: Header=BB6_10813 Depth=3
	v_bfe_u32 v16, v0, 23, 8
	v_and_b32_e32 v1, 0x7fffff, v0
	v_cmp_gt_u32_e64 s[40:41], s85, v16
	v_sub_u32_e32 v0, 0x79, v16
	v_cmp_eq_u32_e32 vcc, 0, v16
	v_cndmask_b32_e64 v0, 0, v0, s[40:41]
	v_mov_b32_e32 v17, 0x78
	v_cndmask_b32_e32 v17, v0, v17, vcc
	v_or_b32_e32 v2, 0x800000, v1
	v_add_u32_e32 v0, 20, v17
	v_cndmask_b32_e32 v52, v2, v1, vcc
	v_lshlrev_b64 v[0:1], v0, -1
	v_add_u32_e32 v2, 19, v17
	v_lshlrev_b64 v[22:23], v2, 1
	v_bfi_b32 v1, v1, 0, 0
	v_bfi_b32 v0, v0, 0, v52
	v_cmp_eq_u64_e64 s[40:41], v[0:1], v[22:23]
	v_lshrrev_b64 v[0:1], v17, v[52:53]
	v_mov_b32_e32 v2, v1
	v_mov_b32_e32 v1, v0
	s_and_saveexec_b64 s[52:53], s[40:41]
; %bb.12957:                            ;   in Loop: Header=BB6_10813 Depth=3
	v_bfe_u32 v1, v0, 20, 1
	v_add_co_u32_e64 v1, s[40:41], v0, v1
	v_add_co_u32_e64 v1, s[40:41], -1, v1
; %bb.12958:                            ;   in Loop: Header=BB6_10813 Depth=3
	s_or_b64 exec, exec, s[52:53]
	v_add_u32_e32 v2, 0xffffff81, v16
	v_mov_b32_e32 v16, 0xffffff82
	v_cndmask_b32_e32 v2, v2, v16, vcc
	v_lshrrev_b32_e32 v16, 23, v0
	v_add3_u32 v17, v17, v2, v16
	v_add_u32_e32 v16, 6, v17
	v_and_b32_e32 v1, 0xfffff, v1
	v_add_u32_e32 v52, v1, v0
	v_cmp_ne_u32_e32 vcc, 0, v16
                                        ; implicit-def: $vgpr0_vgpr1
                                        ; implicit-def: $vgpr2
	s_and_saveexec_b64 s[40:41], vcc
	s_xor_b64 s[40:41], exec, s[40:41]
; %bb.12959:                            ;   in Loop: Header=BB6_10813 Depth=3
	v_cmp_lt_u64_e32 vcc, s[88:89], v[52:53]
	v_add_u32_e32 v0, 7, v17
	v_cndmask_b32_e32 v2, v16, v0, vcc
	v_cndmask_b32_e64 v0, 0, 1, vcc
	v_lshrrev_b64 v[0:1], v0, v[52:53]
; %bb.12960:                            ;   in Loop: Header=BB6_10813 Depth=3
	s_andn2_saveexec_b64 s[40:41], s[40:41]
; %bb.12961:                            ;   in Loop: Header=BB6_10813 Depth=3
	v_mov_b32_e32 v0, v52
	v_bfe_u32 v2, v52, 23, 1
	v_mov_b32_e32 v1, v53
; %bb.12962:                            ;   in Loop: Header=BB6_10813 Depth=3
	s_or_b64 exec, exec, s[40:41]
	v_lshrrev_b64 v[0:1], 20, v[0:1]
	v_cmp_gt_i32_e32 vcc, 16, v2
	v_cndmask_b32_e32 v1, 0, v1, vcc
	v_cndmask_b32_e32 v0, 7, v0, vcc
	v_cmp_eq_u64_e64 s[40:41], 0, v[0:1]
	v_min_i32_e32 v1, 15, v2
	v_lshlrev_b32_e32 v1, 3, v1
	v_cmp_eq_u32_e32 vcc, 0, v2
	v_and_b32_e32 v1, 0xf8, v1
	v_and_or_b32 v0, v0, 7, v1
	s_and_b64 s[40:41], vcc, s[40:41]
	v_cndmask_b32_e64 v0, v0, 0, s[40:41]
	v_or_b32_e32 v19, v0, v3
.LBB6_12963:                            ;   in Loop: Header=BB6_10813 Depth=3
	s_or_b64 exec, exec, s[50:51]
                                        ; implicit-def: $vgpr3
.LBB6_12964:                            ;   in Loop: Header=BB6_10813 Depth=3
	s_andn2_saveexec_b64 s[40:41], s[48:49]
; %bb.12965:                            ;   in Loop: Header=BB6_10813 Depth=3
	v_or_b32_e32 v19, 0x7e, v3
; %bb.12966:                            ;   in Loop: Header=BB6_10813 Depth=3
	s_or_b64 exec, exec, s[40:41]
                                        ; implicit-def: $vgpr0
.LBB6_12967:                            ;   in Loop: Header=BB6_10813 Depth=3
	s_andn2_saveexec_b64 s[40:41], s[38:39]
; %bb.12968:                            ;   in Loop: Header=BB6_10813 Depth=3
	v_or_b32_sdwa v19, v0, s83 dst_sel:DWORD dst_unused:UNUSED_PAD src0_sel:BYTE_3 src1_sel:DWORD
; %bb.12969:                            ;   in Loop: Header=BB6_10813 Depth=3
	s_or_b64 exec, exec, s[40:41]
	v_lshrrev_b16_e32 v2, 8, v12
	s_waitcnt vmcnt(21)
	v_lshrrev_b16_e32 v0, 8, v8
	v_cmp_ne_u16_e64 s[40:41], 0, v2
	s_and_b64 vcc, exec, s[28:29]
	s_mov_b64 s[38:39], -1
                                        ; implicit-def: $vgpr1
	s_cbranch_vccnz .LBB6_12983
; %bb.12970:                            ;   in Loop: Header=BB6_10813 Depth=3
	v_mov_b32_e32 v3, 0
	v_mov_b32_e32 v1, 0
	s_and_saveexec_b64 s[38:39], s[40:41]
	s_cbranch_execz .LBB6_12976
; %bb.12971:                            ;   in Loop: Header=BB6_10813 Depth=3
	v_cmp_ne_u16_e32 vcc, s82, v2
	v_bfrev_b32_e32 v1, 1
	s_and_saveexec_b64 s[48:49], vcc
	s_cbranch_execz .LBB6_12975
; %bb.12972:                            ;   in Loop: Header=BB6_10813 Depth=3
	v_and_b32_e32 v16, 0x7f, v2
	v_cmp_ne_u32_e32 vcc, s83, v16
	v_mov_b32_e32 v1, 0x7f800001
	s_and_saveexec_b64 s[50:51], vcc
	s_cbranch_execz .LBB6_12974
; %bb.12973:                            ;   in Loop: Header=BB6_10813 Depth=3
	v_and_b32_e32 v1, 7, v2
	v_lshrrev_b32_e32 v22, 3, v16
	v_cmp_gt_u32_e32 vcc, 8, v16
	v_ffbh_u32_e32 v16, v1
	v_min_u32_e32 v23, 32, v16
	v_subrev_u32_e32 v16, 28, v23
	v_lshlrev_b64 v[16:17], v16, v[2:3]
	v_sub_u32_e32 v17, 29, v23
	v_and_b32_e32 v16, 7, v16
	v_cndmask_b32_e32 v17, v22, v17, vcc
	v_cndmask_b32_e32 v1, v1, v16, vcc
	v_lshlrev_b32_e32 v16, 16, v12
	v_bfrev_b32_e32 v22, 60
	v_lshlrev_b32_e32 v1, 20, v1
	v_and_b32_e32 v16, 0x80000000, v16
	v_lshl_add_u32 v17, v17, 23, v22
	v_or3_b32 v1, v16, v17, v1
.LBB6_12974:                            ;   in Loop: Header=BB6_10813 Depth=3
	s_or_b64 exec, exec, s[50:51]
.LBB6_12975:                            ;   in Loop: Header=BB6_10813 Depth=3
	s_or_b64 exec, exec, s[48:49]
.LBB6_12976:                            ;   in Loop: Header=BB6_10813 Depth=3
	s_or_b64 exec, exec, s[38:39]
	v_cmp_ne_u16_e32 vcc, 0, v0
	s_and_saveexec_b64 s[38:39], vcc
	s_cbranch_execz .LBB6_12982
; %bb.12977:                            ;   in Loop: Header=BB6_10813 Depth=3
	v_cmp_ne_u16_e32 vcc, s82, v0
	v_bfrev_b32_e32 v3, 1
	s_and_saveexec_b64 s[48:49], vcc
	s_cbranch_execz .LBB6_12981
; %bb.12978:                            ;   in Loop: Header=BB6_10813 Depth=3
	v_and_b32_e32 v16, 0x7f, v0
	v_cmp_ne_u32_e32 vcc, s83, v16
	v_mov_b32_e32 v3, 0x7f800001
	s_and_saveexec_b64 s[50:51], vcc
	s_cbranch_execz .LBB6_12980
; %bb.12979:                            ;   in Loop: Header=BB6_10813 Depth=3
	v_and_b32_e32 v3, 7, v0
	v_lshrrev_b32_e32 v22, 3, v16
	v_cmp_gt_u32_e32 vcc, 8, v16
	v_ffbh_u32_e32 v16, v3
	v_min_u32_e32 v23, 32, v16
	v_subrev_u32_e32 v16, 28, v23
	v_lshlrev_b64 v[16:17], v16, v[0:1]
	v_sub_u32_e32 v17, 29, v23
	v_and_b32_e32 v16, 7, v16
	v_cndmask_b32_e32 v17, v22, v17, vcc
	v_cndmask_b32_e32 v3, v3, v16, vcc
	v_lshlrev_b32_e32 v16, 16, v8
	v_bfrev_b32_e32 v22, 60
	v_lshlrev_b32_e32 v3, 20, v3
	v_and_b32_e32 v16, 0x80000000, v16
	v_lshl_add_u32 v17, v17, 23, v22
	v_or3_b32 v3, v16, v17, v3
.LBB6_12980:                            ;   in Loop: Header=BB6_10813 Depth=3
	s_or_b64 exec, exec, s[50:51]
.LBB6_12981:                            ;   in Loop: Header=BB6_10813 Depth=3
	s_or_b64 exec, exec, s[48:49]
.LBB6_12982:                            ;   in Loop: Header=BB6_10813 Depth=3
	s_or_b64 exec, exec, s[38:39]
	v_max_f32_e32 v3, v3, v3
	v_max_f32_e32 v1, v1, v1
	;; [unrolled: 1-line block ×3, first 2 shown]
	s_mov_b64 s[38:39], 0
.LBB6_12983:                            ;   in Loop: Header=BB6_10813 Depth=3
	s_and_b64 vcc, exec, s[38:39]
	s_cbranch_vccz .LBB6_12997
; %bb.12984:                            ;   in Loop: Header=BB6_10813 Depth=3
	v_mov_b32_e32 v3, 0
	v_mov_b32_e32 v1, 0
	s_and_saveexec_b64 s[38:39], s[40:41]
	s_cbranch_execz .LBB6_12990
; %bb.12985:                            ;   in Loop: Header=BB6_10813 Depth=3
	v_cmp_ne_u16_e32 vcc, s82, v2
	v_bfrev_b32_e32 v1, 1
	s_and_saveexec_b64 s[40:41], vcc
	s_cbranch_execz .LBB6_12989
; %bb.12986:                            ;   in Loop: Header=BB6_10813 Depth=3
	v_and_b32_e32 v16, 0x7f, v2
	v_cmp_ne_u32_e32 vcc, s83, v16
	v_mov_b32_e32 v1, 0x7f800001
	s_and_saveexec_b64 s[48:49], vcc
	s_cbranch_execz .LBB6_12988
; %bb.12987:                            ;   in Loop: Header=BB6_10813 Depth=3
	v_and_b32_e32 v17, 7, v2
	v_ffbh_u32_e32 v1, v17
	v_lshrrev_b32_e32 v22, 3, v16
	v_cmp_gt_u32_e32 vcc, 8, v16
	v_min_u32_e32 v16, 32, v1
	v_subrev_u32_e32 v1, 28, v16
	v_lshlrev_b64 v[1:2], v1, v[2:3]
	v_sub_u32_e32 v2, 29, v16
	v_and_b32_e32 v1, 7, v1
	v_cndmask_b32_e32 v2, v22, v2, vcc
	v_cndmask_b32_e32 v1, v17, v1, vcc
	v_lshlrev_b32_e32 v16, 16, v12
	v_bfrev_b32_e32 v17, 60
	v_lshlrev_b32_e32 v1, 20, v1
	v_and_b32_e32 v16, 0x80000000, v16
	v_lshl_add_u32 v2, v2, 23, v17
	v_or3_b32 v1, v16, v2, v1
.LBB6_12988:                            ;   in Loop: Header=BB6_10813 Depth=3
	s_or_b64 exec, exec, s[48:49]
.LBB6_12989:                            ;   in Loop: Header=BB6_10813 Depth=3
	s_or_b64 exec, exec, s[40:41]
.LBB6_12990:                            ;   in Loop: Header=BB6_10813 Depth=3
	s_or_b64 exec, exec, s[38:39]
	v_cmp_ne_u16_e32 vcc, 0, v0
	s_and_saveexec_b64 s[40:41], vcc
	s_cbranch_execz .LBB6_12996
; %bb.12991:                            ;   in Loop: Header=BB6_10813 Depth=3
	v_cmp_ne_u16_e32 vcc, s82, v0
	v_bfrev_b32_e32 v3, 1
	s_and_saveexec_b64 s[38:39], vcc
	s_cbranch_execz .LBB6_12995
; %bb.12992:                            ;   in Loop: Header=BB6_10813 Depth=3
	v_and_b32_e32 v2, 0x7f, v0
	v_cmp_ne_u32_e32 vcc, s83, v2
	v_mov_b32_e32 v3, 0x7f800001
	s_and_saveexec_b64 s[48:49], vcc
	s_cbranch_execz .LBB6_12994
; %bb.12993:                            ;   in Loop: Header=BB6_10813 Depth=3
	v_and_b32_e32 v16, 7, v0
	v_lshrrev_b32_e32 v17, 3, v2
	v_cmp_gt_u32_e32 vcc, 8, v2
	v_ffbh_u32_e32 v2, v16
	v_min_u32_e32 v22, 32, v2
	v_subrev_u32_e32 v2, 28, v22
	v_lshlrev_b64 v[2:3], v2, v[0:1]
	v_sub_u32_e32 v0, 29, v22
	v_and_b32_e32 v2, 7, v2
	v_cndmask_b32_e32 v0, v17, v0, vcc
	v_cndmask_b32_e32 v2, v16, v2, vcc
	v_lshlrev_b32_e32 v3, 16, v8
	v_bfrev_b32_e32 v16, 60
	v_lshlrev_b32_e32 v2, 20, v2
	v_and_b32_e32 v3, 0x80000000, v3
	v_lshl_add_u32 v0, v0, 23, v16
	v_or3_b32 v3, v3, v0, v2
.LBB6_12994:                            ;   in Loop: Header=BB6_10813 Depth=3
	s_or_b64 exec, exec, s[48:49]
.LBB6_12995:                            ;   in Loop: Header=BB6_10813 Depth=3
	s_or_b64 exec, exec, s[38:39]
.LBB6_12996:                            ;   in Loop: Header=BB6_10813 Depth=3
	s_or_b64 exec, exec, s[40:41]
	v_max_f32_e32 v0, v3, v3
	v_max_f32_e32 v1, v1, v1
	v_min_f32_e32 v1, v1, v0
.LBB6_12997:                            ;   in Loop: Header=BB6_10813 Depth=3
	v_and_b32_e32 v52, 0x7f800000, v1
	v_cmp_ne_u64_e32 vcc, s[76:77], v[52:53]
                                        ; implicit-def: $vgpr22
	s_and_saveexec_b64 s[40:41], vcc
	s_xor_b64 s[38:39], exec, s[40:41]
	s_cbranch_execz .LBB6_13011
; %bb.12998:                            ;   in Loop: Header=BB6_10813 Depth=3
	v_and_b32_e32 v52, 0x7fffffff, v1
	v_cmp_gt_u64_e32 vcc, s[78:79], v[52:53]
	v_and_b32_sdwa v3, v1, s82 dst_sel:DWORD dst_unused:UNUSED_PAD src0_sel:BYTE_3 src1_sel:DWORD
                                        ; implicit-def: $vgpr22
	s_and_saveexec_b64 s[40:41], vcc
	s_xor_b64 s[48:49], exec, s[40:41]
	s_cbranch_execz .LBB6_13008
; %bb.12999:                            ;   in Loop: Header=BB6_10813 Depth=3
	v_mov_b32_e32 v22, 0
	v_cmp_ne_u32_e32 vcc, 0, v1
	s_and_saveexec_b64 s[50:51], vcc
	s_cbranch_execz .LBB6_13007
; %bb.13000:                            ;   in Loop: Header=BB6_10813 Depth=3
	v_bfe_u32 v16, v1, 23, 8
	v_and_b32_e32 v0, 0x7fffff, v1
	v_cmp_gt_u32_e64 s[40:41], s85, v16
	v_sub_u32_e32 v1, 0x79, v16
	v_cmp_eq_u32_e32 vcc, 0, v16
	v_cndmask_b32_e64 v1, 0, v1, s[40:41]
	v_mov_b32_e32 v17, 0x78
	v_or_b32_e32 v2, 0x800000, v0
	v_cndmask_b32_e32 v17, v1, v17, vcc
	v_cndmask_b32_e32 v52, v2, v0, vcc
	v_add_u32_e32 v0, 20, v17
	v_lshlrev_b64 v[0:1], v0, -1
	v_add_u32_e32 v2, 19, v17
	v_lshlrev_b64 v[22:23], v2, 1
	v_bfi_b32 v1, v1, 0, 0
	v_bfi_b32 v0, v0, 0, v52
	v_cmp_eq_u64_e64 s[40:41], v[0:1], v[22:23]
	v_lshrrev_b64 v[0:1], v17, v[52:53]
	v_mov_b32_e32 v2, v1
	v_mov_b32_e32 v1, v0
	s_and_saveexec_b64 s[52:53], s[40:41]
; %bb.13001:                            ;   in Loop: Header=BB6_10813 Depth=3
	v_bfe_u32 v1, v0, 20, 1
	v_add_co_u32_e64 v1, s[40:41], v0, v1
	v_add_co_u32_e64 v1, s[40:41], -1, v1
; %bb.13002:                            ;   in Loop: Header=BB6_10813 Depth=3
	s_or_b64 exec, exec, s[52:53]
	v_add_u32_e32 v2, 0xffffff81, v16
	v_mov_b32_e32 v16, 0xffffff82
	v_cndmask_b32_e32 v2, v2, v16, vcc
	v_lshrrev_b32_e32 v16, 23, v0
	v_add3_u32 v17, v17, v2, v16
	v_add_u32_e32 v16, 6, v17
	v_and_b32_e32 v1, 0xfffff, v1
	v_add_u32_e32 v52, v1, v0
	v_cmp_ne_u32_e32 vcc, 0, v16
                                        ; implicit-def: $vgpr0_vgpr1
                                        ; implicit-def: $vgpr2
	s_and_saveexec_b64 s[40:41], vcc
	s_xor_b64 s[40:41], exec, s[40:41]
; %bb.13003:                            ;   in Loop: Header=BB6_10813 Depth=3
	v_cmp_lt_u64_e32 vcc, s[88:89], v[52:53]
	v_add_u32_e32 v0, 7, v17
	v_cndmask_b32_e32 v2, v16, v0, vcc
	v_cndmask_b32_e64 v0, 0, 1, vcc
	v_lshrrev_b64 v[0:1], v0, v[52:53]
; %bb.13004:                            ;   in Loop: Header=BB6_10813 Depth=3
	s_andn2_saveexec_b64 s[40:41], s[40:41]
; %bb.13005:                            ;   in Loop: Header=BB6_10813 Depth=3
	v_mov_b32_e32 v0, v52
	v_bfe_u32 v2, v52, 23, 1
	v_mov_b32_e32 v1, v53
; %bb.13006:                            ;   in Loop: Header=BB6_10813 Depth=3
	s_or_b64 exec, exec, s[40:41]
	v_lshrrev_b64 v[0:1], 20, v[0:1]
	v_cmp_gt_i32_e32 vcc, 16, v2
	v_cndmask_b32_e32 v1, 0, v1, vcc
	v_cndmask_b32_e32 v0, 7, v0, vcc
	v_cmp_eq_u64_e64 s[40:41], 0, v[0:1]
	v_min_i32_e32 v1, 15, v2
	v_lshlrev_b32_e32 v1, 3, v1
	v_cmp_eq_u32_e32 vcc, 0, v2
	v_and_b32_e32 v1, 0xf8, v1
	v_and_or_b32 v0, v0, 7, v1
	s_and_b64 s[40:41], vcc, s[40:41]
	v_cndmask_b32_e64 v0, v0, 0, s[40:41]
	v_or_b32_e32 v22, v0, v3
.LBB6_13007:                            ;   in Loop: Header=BB6_10813 Depth=3
	s_or_b64 exec, exec, s[50:51]
                                        ; implicit-def: $vgpr3
.LBB6_13008:                            ;   in Loop: Header=BB6_10813 Depth=3
	s_andn2_saveexec_b64 s[40:41], s[48:49]
; %bb.13009:                            ;   in Loop: Header=BB6_10813 Depth=3
	v_or_b32_e32 v22, 0x7e, v3
; %bb.13010:                            ;   in Loop: Header=BB6_10813 Depth=3
	s_or_b64 exec, exec, s[40:41]
                                        ; implicit-def: $vgpr1
.LBB6_13011:                            ;   in Loop: Header=BB6_10813 Depth=3
	s_andn2_saveexec_b64 s[40:41], s[38:39]
; %bb.13012:                            ;   in Loop: Header=BB6_10813 Depth=3
	v_or_b32_sdwa v22, v1, s83 dst_sel:DWORD dst_unused:UNUSED_PAD src0_sel:BYTE_3 src1_sel:DWORD
; %bb.13013:                            ;   in Loop: Header=BB6_10813 Depth=3
	s_or_b64 exec, exec, s[40:41]
	v_lshrrev_b32_e32 v2, 16, v12
	v_lshrrev_b32_e32 v0, 16, v8
	v_cmp_ne_u16_sdwa s[40:41], v2, v53 src0_sel:BYTE_0 src1_sel:DWORD
	s_and_b64 vcc, exec, s[28:29]
	s_mov_b64 s[38:39], -1
                                        ; implicit-def: $vgpr1
	s_cbranch_vccnz .LBB6_13027
; %bb.13014:                            ;   in Loop: Header=BB6_10813 Depth=3
	v_mov_b32_e32 v3, 0
	v_mov_b32_e32 v1, 0
	s_and_saveexec_b64 s[38:39], s[40:41]
	s_cbranch_execz .LBB6_13020
; %bb.13015:                            ;   in Loop: Header=BB6_10813 Depth=3
	v_cmp_ne_u16_sdwa vcc, v2, s82 src0_sel:BYTE_0 src1_sel:DWORD
	v_bfrev_b32_e32 v1, 1
	s_and_saveexec_b64 s[48:49], vcc
	s_cbranch_execz .LBB6_13019
; %bb.13016:                            ;   in Loop: Header=BB6_10813 Depth=3
	v_bfe_u32 v16, v12, 16, 7
	v_cmp_ne_u32_e32 vcc, s83, v16
	v_mov_b32_e32 v1, 0x7f800001
	s_and_saveexec_b64 s[50:51], vcc
	s_cbranch_execz .LBB6_13018
; %bb.13017:                            ;   in Loop: Header=BB6_10813 Depth=3
	v_and_b32_e32 v1, 7, v2
	v_lshrrev_b32_e32 v23, 3, v16
	v_cmp_gt_u32_e32 vcc, 8, v16
	v_ffbh_u32_e32 v16, v1
	v_min_u32_e32 v36, 32, v16
	v_subrev_u32_e32 v16, 28, v36
	v_lshlrev_b64 v[16:17], v16, v[2:3]
	v_sub_u32_e32 v17, 29, v36
	v_and_b32_e32 v16, 7, v16
	v_cndmask_b32_e32 v17, v23, v17, vcc
	v_cndmask_b32_e32 v1, v1, v16, vcc
	v_lshlrev_b32_e32 v16, 24, v2
	v_bfrev_b32_e32 v23, 60
	v_lshlrev_b32_e32 v1, 20, v1
	v_and_b32_e32 v16, 0x80000000, v16
	v_lshl_add_u32 v17, v17, 23, v23
	v_or3_b32 v1, v16, v17, v1
.LBB6_13018:                            ;   in Loop: Header=BB6_10813 Depth=3
	s_or_b64 exec, exec, s[50:51]
.LBB6_13019:                            ;   in Loop: Header=BB6_10813 Depth=3
	s_or_b64 exec, exec, s[48:49]
.LBB6_13020:                            ;   in Loop: Header=BB6_10813 Depth=3
	s_or_b64 exec, exec, s[38:39]
	v_cmp_ne_u16_sdwa vcc, v0, v53 src0_sel:BYTE_0 src1_sel:DWORD
	s_and_saveexec_b64 s[38:39], vcc
	s_cbranch_execz .LBB6_13026
; %bb.13021:                            ;   in Loop: Header=BB6_10813 Depth=3
	v_cmp_ne_u16_sdwa vcc, v0, s82 src0_sel:BYTE_0 src1_sel:DWORD
	v_bfrev_b32_e32 v3, 1
	s_and_saveexec_b64 s[48:49], vcc
	s_cbranch_execz .LBB6_13025
; %bb.13022:                            ;   in Loop: Header=BB6_10813 Depth=3
	v_bfe_u32 v16, v8, 16, 7
	v_cmp_ne_u32_e32 vcc, s83, v16
	v_mov_b32_e32 v3, 0x7f800001
	s_and_saveexec_b64 s[50:51], vcc
	s_cbranch_execz .LBB6_13024
; %bb.13023:                            ;   in Loop: Header=BB6_10813 Depth=3
	v_and_b32_e32 v3, 7, v0
	v_lshrrev_b32_e32 v23, 3, v16
	v_cmp_gt_u32_e32 vcc, 8, v16
	v_ffbh_u32_e32 v16, v3
	v_min_u32_e32 v36, 32, v16
	v_subrev_u32_e32 v16, 28, v36
	v_lshlrev_b64 v[16:17], v16, v[0:1]
	v_sub_u32_e32 v17, 29, v36
	v_and_b32_e32 v16, 7, v16
	v_cndmask_b32_e32 v17, v23, v17, vcc
	v_cndmask_b32_e32 v3, v3, v16, vcc
	v_lshlrev_b32_e32 v16, 24, v0
	v_bfrev_b32_e32 v23, 60
	v_lshlrev_b32_e32 v3, 20, v3
	v_and_b32_e32 v16, 0x80000000, v16
	v_lshl_add_u32 v17, v17, 23, v23
	v_or3_b32 v3, v16, v17, v3
.LBB6_13024:                            ;   in Loop: Header=BB6_10813 Depth=3
	s_or_b64 exec, exec, s[50:51]
.LBB6_13025:                            ;   in Loop: Header=BB6_10813 Depth=3
	s_or_b64 exec, exec, s[48:49]
.LBB6_13026:                            ;   in Loop: Header=BB6_10813 Depth=3
	s_or_b64 exec, exec, s[38:39]
	v_max_f32_e32 v3, v3, v3
	v_max_f32_e32 v1, v1, v1
	;; [unrolled: 1-line block ×3, first 2 shown]
	s_mov_b64 s[38:39], 0
.LBB6_13027:                            ;   in Loop: Header=BB6_10813 Depth=3
	s_and_b64 vcc, exec, s[38:39]
	s_cbranch_vccz .LBB6_13041
; %bb.13028:                            ;   in Loop: Header=BB6_10813 Depth=3
	v_mov_b32_e32 v3, 0
	v_mov_b32_e32 v1, 0
	s_and_saveexec_b64 s[38:39], s[40:41]
	s_cbranch_execz .LBB6_13034
; %bb.13029:                            ;   in Loop: Header=BB6_10813 Depth=3
	v_cmp_ne_u16_sdwa vcc, v2, s82 src0_sel:BYTE_0 src1_sel:DWORD
	v_bfrev_b32_e32 v1, 1
	s_and_saveexec_b64 s[40:41], vcc
	s_cbranch_execz .LBB6_13033
; %bb.13030:                            ;   in Loop: Header=BB6_10813 Depth=3
	v_bfe_u32 v16, v12, 16, 7
	v_cmp_ne_u32_e32 vcc, s83, v16
	v_mov_b32_e32 v1, 0x7f800001
	s_and_saveexec_b64 s[48:49], vcc
	s_cbranch_execz .LBB6_13032
; %bb.13031:                            ;   in Loop: Header=BB6_10813 Depth=3
	v_and_b32_e32 v1, 7, v2
	v_lshrrev_b32_e32 v23, 3, v16
	v_cmp_gt_u32_e32 vcc, 8, v16
	v_ffbh_u32_e32 v16, v1
	v_min_u32_e32 v36, 32, v16
	v_subrev_u32_e32 v16, 28, v36
	v_lshlrev_b64 v[16:17], v16, v[2:3]
	v_sub_u32_e32 v17, 29, v36
	v_and_b32_e32 v16, 7, v16
	v_cndmask_b32_e32 v17, v23, v17, vcc
	v_cndmask_b32_e32 v1, v1, v16, vcc
	v_lshlrev_b32_e32 v2, 24, v2
	v_bfrev_b32_e32 v16, 60
	v_lshlrev_b32_e32 v1, 20, v1
	v_and_b32_e32 v2, 0x80000000, v2
	v_lshl_add_u32 v16, v17, 23, v16
	v_or3_b32 v1, v2, v16, v1
.LBB6_13032:                            ;   in Loop: Header=BB6_10813 Depth=3
	s_or_b64 exec, exec, s[48:49]
.LBB6_13033:                            ;   in Loop: Header=BB6_10813 Depth=3
	s_or_b64 exec, exec, s[40:41]
.LBB6_13034:                            ;   in Loop: Header=BB6_10813 Depth=3
	s_or_b64 exec, exec, s[38:39]
	v_cmp_ne_u16_sdwa vcc, v0, v53 src0_sel:BYTE_0 src1_sel:DWORD
	s_and_saveexec_b64 s[40:41], vcc
	s_cbranch_execz .LBB6_13040
; %bb.13035:                            ;   in Loop: Header=BB6_10813 Depth=3
	v_cmp_ne_u16_sdwa vcc, v0, s82 src0_sel:BYTE_0 src1_sel:DWORD
	v_bfrev_b32_e32 v3, 1
	s_and_saveexec_b64 s[38:39], vcc
	s_cbranch_execz .LBB6_13039
; %bb.13036:                            ;   in Loop: Header=BB6_10813 Depth=3
	v_bfe_u32 v2, v8, 16, 7
	v_cmp_ne_u32_e32 vcc, s83, v2
	v_mov_b32_e32 v3, 0x7f800001
	s_and_saveexec_b64 s[48:49], vcc
	s_cbranch_execz .LBB6_13038
; %bb.13037:                            ;   in Loop: Header=BB6_10813 Depth=3
	v_and_b32_e32 v16, 7, v0
	v_lshrrev_b32_e32 v17, 3, v2
	v_cmp_gt_u32_e32 vcc, 8, v2
	v_ffbh_u32_e32 v2, v16
	v_min_u32_e32 v23, 32, v2
	v_subrev_u32_e32 v2, 28, v23
	v_lshlrev_b64 v[2:3], v2, v[0:1]
	v_sub_u32_e32 v3, 29, v23
	v_and_b32_e32 v2, 7, v2
	v_cndmask_b32_e32 v3, v17, v3, vcc
	v_cndmask_b32_e32 v2, v16, v2, vcc
	v_lshlrev_b32_e32 v0, 24, v0
	v_bfrev_b32_e32 v16, 60
	v_lshlrev_b32_e32 v2, 20, v2
	v_and_b32_e32 v0, 0x80000000, v0
	v_lshl_add_u32 v3, v3, 23, v16
	v_or3_b32 v3, v0, v3, v2
.LBB6_13038:                            ;   in Loop: Header=BB6_10813 Depth=3
	s_or_b64 exec, exec, s[48:49]
.LBB6_13039:                            ;   in Loop: Header=BB6_10813 Depth=3
	s_or_b64 exec, exec, s[38:39]
.LBB6_13040:                            ;   in Loop: Header=BB6_10813 Depth=3
	s_or_b64 exec, exec, s[40:41]
	v_max_f32_e32 v0, v3, v3
	v_max_f32_e32 v1, v1, v1
	v_min_f32_e32 v1, v1, v0
.LBB6_13041:                            ;   in Loop: Header=BB6_10813 Depth=3
	v_and_b32_e32 v52, 0x7f800000, v1
	v_cmp_ne_u64_e32 vcc, s[76:77], v[52:53]
                                        ; implicit-def: $vgpr23
	s_and_saveexec_b64 s[40:41], vcc
	s_xor_b64 s[38:39], exec, s[40:41]
	s_cbranch_execz .LBB6_13055
; %bb.13042:                            ;   in Loop: Header=BB6_10813 Depth=3
	v_and_b32_e32 v52, 0x7fffffff, v1
	v_cmp_gt_u64_e32 vcc, s[78:79], v[52:53]
	v_and_b32_sdwa v3, v1, s82 dst_sel:DWORD dst_unused:UNUSED_PAD src0_sel:BYTE_3 src1_sel:DWORD
                                        ; implicit-def: $vgpr23
	s_and_saveexec_b64 s[40:41], vcc
	s_xor_b64 s[48:49], exec, s[40:41]
	s_cbranch_execz .LBB6_13052
; %bb.13043:                            ;   in Loop: Header=BB6_10813 Depth=3
	v_mov_b32_e32 v23, 0
	v_cmp_ne_u32_e32 vcc, 0, v1
	s_and_saveexec_b64 s[50:51], vcc
	s_cbranch_execz .LBB6_13051
; %bb.13044:                            ;   in Loop: Header=BB6_10813 Depth=3
	v_bfe_u32 v16, v1, 23, 8
	v_and_b32_e32 v0, 0x7fffff, v1
	v_cmp_gt_u32_e64 s[40:41], s85, v16
	v_sub_u32_e32 v1, 0x79, v16
	v_cmp_eq_u32_e32 vcc, 0, v16
	v_cndmask_b32_e64 v1, 0, v1, s[40:41]
	v_mov_b32_e32 v17, 0x78
	v_or_b32_e32 v2, 0x800000, v0
	v_cndmask_b32_e32 v17, v1, v17, vcc
	v_cndmask_b32_e32 v52, v2, v0, vcc
	v_add_u32_e32 v0, 20, v17
	v_lshlrev_b64 v[0:1], v0, -1
	v_add_u32_e32 v2, 19, v17
	v_lshlrev_b64 v[36:37], v2, 1
	v_bfi_b32 v1, v1, 0, 0
	v_bfi_b32 v0, v0, 0, v52
	v_cmp_eq_u64_e64 s[40:41], v[0:1], v[36:37]
	v_lshrrev_b64 v[0:1], v17, v[52:53]
	v_mov_b32_e32 v2, v1
	v_mov_b32_e32 v1, v0
	s_and_saveexec_b64 s[52:53], s[40:41]
; %bb.13045:                            ;   in Loop: Header=BB6_10813 Depth=3
	v_bfe_u32 v1, v0, 20, 1
	v_add_co_u32_e64 v1, s[40:41], v0, v1
	v_add_co_u32_e64 v1, s[40:41], -1, v1
; %bb.13046:                            ;   in Loop: Header=BB6_10813 Depth=3
	s_or_b64 exec, exec, s[52:53]
	v_add_u32_e32 v2, 0xffffff81, v16
	v_mov_b32_e32 v16, 0xffffff82
	v_cndmask_b32_e32 v2, v2, v16, vcc
	v_lshrrev_b32_e32 v16, 23, v0
	v_add3_u32 v17, v17, v2, v16
	v_add_u32_e32 v16, 6, v17
	v_and_b32_e32 v1, 0xfffff, v1
	v_add_u32_e32 v52, v1, v0
	v_cmp_ne_u32_e32 vcc, 0, v16
                                        ; implicit-def: $vgpr0_vgpr1
                                        ; implicit-def: $vgpr2
	s_and_saveexec_b64 s[40:41], vcc
	s_xor_b64 s[40:41], exec, s[40:41]
; %bb.13047:                            ;   in Loop: Header=BB6_10813 Depth=3
	v_cmp_lt_u64_e32 vcc, s[88:89], v[52:53]
	v_add_u32_e32 v0, 7, v17
	v_cndmask_b32_e32 v2, v16, v0, vcc
	v_cndmask_b32_e64 v0, 0, 1, vcc
	v_lshrrev_b64 v[0:1], v0, v[52:53]
; %bb.13048:                            ;   in Loop: Header=BB6_10813 Depth=3
	s_andn2_saveexec_b64 s[40:41], s[40:41]
; %bb.13049:                            ;   in Loop: Header=BB6_10813 Depth=3
	v_mov_b32_e32 v0, v52
	v_bfe_u32 v2, v52, 23, 1
	v_mov_b32_e32 v1, v53
; %bb.13050:                            ;   in Loop: Header=BB6_10813 Depth=3
	s_or_b64 exec, exec, s[40:41]
	v_lshrrev_b64 v[0:1], 20, v[0:1]
	v_cmp_gt_i32_e32 vcc, 16, v2
	v_cndmask_b32_e32 v1, 0, v1, vcc
	v_cndmask_b32_e32 v0, 7, v0, vcc
	v_cmp_eq_u64_e64 s[40:41], 0, v[0:1]
	v_min_i32_e32 v1, 15, v2
	v_lshlrev_b32_e32 v1, 3, v1
	v_cmp_eq_u32_e32 vcc, 0, v2
	v_and_b32_e32 v1, 0xf8, v1
	v_and_or_b32 v0, v0, 7, v1
	s_and_b64 s[40:41], vcc, s[40:41]
	v_cndmask_b32_e64 v0, v0, 0, s[40:41]
	v_or_b32_e32 v23, v0, v3
.LBB6_13051:                            ;   in Loop: Header=BB6_10813 Depth=3
	s_or_b64 exec, exec, s[50:51]
                                        ; implicit-def: $vgpr3
.LBB6_13052:                            ;   in Loop: Header=BB6_10813 Depth=3
	s_andn2_saveexec_b64 s[40:41], s[48:49]
; %bb.13053:                            ;   in Loop: Header=BB6_10813 Depth=3
	v_or_b32_e32 v23, 0x7e, v3
; %bb.13054:                            ;   in Loop: Header=BB6_10813 Depth=3
	s_or_b64 exec, exec, s[40:41]
                                        ; implicit-def: $vgpr1
.LBB6_13055:                            ;   in Loop: Header=BB6_10813 Depth=3
	s_andn2_saveexec_b64 s[40:41], s[38:39]
; %bb.13056:                            ;   in Loop: Header=BB6_10813 Depth=3
	v_or_b32_sdwa v23, v1, s83 dst_sel:DWORD dst_unused:UNUSED_PAD src0_sel:BYTE_3 src1_sel:DWORD
; %bb.13057:                            ;   in Loop: Header=BB6_10813 Depth=3
	s_or_b64 exec, exec, s[40:41]
	v_lshrrev_b32_e32 v2, 24, v12
	v_lshrrev_b32_e32 v0, 24, v8
	v_cmp_lt_u32_e64 s[40:41], s63, v12
	s_and_b64 vcc, exec, s[28:29]
	s_mov_b64 s[38:39], -1
                                        ; implicit-def: $vgpr1
	s_cbranch_vccnz .LBB6_13071
; %bb.13058:                            ;   in Loop: Header=BB6_10813 Depth=3
	v_mov_b32_e32 v3, 0
	v_mov_b32_e32 v1, 0
	s_and_saveexec_b64 s[38:39], s[40:41]
	s_cbranch_execz .LBB6_13064
; %bb.13059:                            ;   in Loop: Header=BB6_10813 Depth=3
	v_cmp_ne_u32_e32 vcc, s82, v2
	v_bfrev_b32_e32 v1, 1
	s_and_saveexec_b64 s[48:49], vcc
	s_cbranch_execz .LBB6_13063
; %bb.13060:                            ;   in Loop: Header=BB6_10813 Depth=3
	v_bfe_u32 v16, v12, 24, 7
	v_cmp_ne_u32_e32 vcc, s83, v16
	v_mov_b32_e32 v1, 0x7f800001
	s_and_saveexec_b64 s[50:51], vcc
	s_cbranch_execz .LBB6_13062
; %bb.13061:                            ;   in Loop: Header=BB6_10813 Depth=3
	v_and_b32_e32 v1, 7, v2
	v_lshrrev_b32_e32 v36, 3, v16
	v_cmp_gt_u32_e32 vcc, 8, v16
	v_ffbh_u32_e32 v16, v1
	v_min_u32_e32 v37, 32, v16
	v_subrev_u32_e32 v16, 28, v37
	v_lshlrev_b64 v[16:17], v16, v[2:3]
	v_sub_u32_e32 v17, 29, v37
	v_and_b32_e32 v16, 7, v16
	v_cndmask_b32_e32 v17, v36, v17, vcc
	v_cndmask_b32_e32 v1, v1, v16, vcc
	v_lshlrev_b32_e32 v16, 24, v2
	v_bfrev_b32_e32 v36, 60
	v_lshlrev_b32_e32 v1, 20, v1
	v_and_b32_e32 v16, 0x80000000, v16
	v_lshl_add_u32 v17, v17, 23, v36
	v_or3_b32 v1, v16, v17, v1
.LBB6_13062:                            ;   in Loop: Header=BB6_10813 Depth=3
	s_or_b64 exec, exec, s[50:51]
.LBB6_13063:                            ;   in Loop: Header=BB6_10813 Depth=3
	s_or_b64 exec, exec, s[48:49]
.LBB6_13064:                            ;   in Loop: Header=BB6_10813 Depth=3
	s_or_b64 exec, exec, s[38:39]
	v_cmp_lt_u32_e32 vcc, s63, v8
	s_and_saveexec_b64 s[38:39], vcc
	s_cbranch_execz .LBB6_13070
; %bb.13065:                            ;   in Loop: Header=BB6_10813 Depth=3
	v_cmp_ne_u32_e32 vcc, s82, v0
	v_bfrev_b32_e32 v3, 1
	s_and_saveexec_b64 s[48:49], vcc
	s_cbranch_execz .LBB6_13069
; %bb.13066:                            ;   in Loop: Header=BB6_10813 Depth=3
	v_bfe_u32 v16, v8, 24, 7
	v_cmp_ne_u32_e32 vcc, s83, v16
	v_mov_b32_e32 v3, 0x7f800001
	s_and_saveexec_b64 s[50:51], vcc
	s_cbranch_execz .LBB6_13068
; %bb.13067:                            ;   in Loop: Header=BB6_10813 Depth=3
	v_and_b32_e32 v3, 7, v0
	v_lshrrev_b32_e32 v36, 3, v16
	v_cmp_gt_u32_e32 vcc, 8, v16
	v_ffbh_u32_e32 v16, v3
	v_min_u32_e32 v37, 32, v16
	v_subrev_u32_e32 v16, 28, v37
	v_lshlrev_b64 v[16:17], v16, v[0:1]
	v_sub_u32_e32 v17, 29, v37
	v_and_b32_e32 v16, 7, v16
	v_cndmask_b32_e32 v17, v36, v17, vcc
	v_cndmask_b32_e32 v3, v3, v16, vcc
	v_lshlrev_b32_e32 v16, 24, v0
	v_bfrev_b32_e32 v36, 60
	v_lshlrev_b32_e32 v3, 20, v3
	v_and_b32_e32 v16, 0x80000000, v16
	v_lshl_add_u32 v17, v17, 23, v36
	v_or3_b32 v3, v16, v17, v3
.LBB6_13068:                            ;   in Loop: Header=BB6_10813 Depth=3
	s_or_b64 exec, exec, s[50:51]
.LBB6_13069:                            ;   in Loop: Header=BB6_10813 Depth=3
	s_or_b64 exec, exec, s[48:49]
.LBB6_13070:                            ;   in Loop: Header=BB6_10813 Depth=3
	s_or_b64 exec, exec, s[38:39]
	v_max_f32_e32 v3, v3, v3
	v_max_f32_e32 v1, v1, v1
	;; [unrolled: 1-line block ×3, first 2 shown]
	s_mov_b64 s[38:39], 0
.LBB6_13071:                            ;   in Loop: Header=BB6_10813 Depth=3
	s_and_b64 vcc, exec, s[38:39]
	s_cbranch_vccz .LBB6_13085
; %bb.13072:                            ;   in Loop: Header=BB6_10813 Depth=3
	v_mov_b32_e32 v3, 0
	v_mov_b32_e32 v1, 0
	s_and_saveexec_b64 s[38:39], s[40:41]
	s_cbranch_execz .LBB6_13078
; %bb.13073:                            ;   in Loop: Header=BB6_10813 Depth=3
	v_cmp_ne_u32_e32 vcc, s82, v2
	v_bfrev_b32_e32 v1, 1
	s_and_saveexec_b64 s[40:41], vcc
	s_cbranch_execz .LBB6_13077
; %bb.13074:                            ;   in Loop: Header=BB6_10813 Depth=3
	v_bfe_u32 v16, v12, 24, 7
	v_cmp_ne_u32_e32 vcc, s83, v16
	v_mov_b32_e32 v1, 0x7f800001
	s_and_saveexec_b64 s[48:49], vcc
	s_cbranch_execz .LBB6_13076
; %bb.13075:                            ;   in Loop: Header=BB6_10813 Depth=3
	v_and_b32_e32 v1, 7, v2
	v_lshrrev_b32_e32 v36, 3, v16
	v_cmp_gt_u32_e32 vcc, 8, v16
	v_ffbh_u32_e32 v16, v1
	v_min_u32_e32 v37, 32, v16
	v_subrev_u32_e32 v16, 28, v37
	v_lshlrev_b64 v[16:17], v16, v[2:3]
	v_sub_u32_e32 v17, 29, v37
	v_and_b32_e32 v16, 7, v16
	v_cndmask_b32_e32 v17, v36, v17, vcc
	v_cndmask_b32_e32 v1, v1, v16, vcc
	v_lshlrev_b32_e32 v2, 24, v2
	v_bfrev_b32_e32 v16, 60
	v_lshlrev_b32_e32 v1, 20, v1
	v_and_b32_e32 v2, 0x80000000, v2
	v_lshl_add_u32 v16, v17, 23, v16
	v_or3_b32 v1, v2, v16, v1
.LBB6_13076:                            ;   in Loop: Header=BB6_10813 Depth=3
	s_or_b64 exec, exec, s[48:49]
.LBB6_13077:                            ;   in Loop: Header=BB6_10813 Depth=3
	s_or_b64 exec, exec, s[40:41]
.LBB6_13078:                            ;   in Loop: Header=BB6_10813 Depth=3
	s_or_b64 exec, exec, s[38:39]
	v_cmp_lt_u32_e32 vcc, s63, v8
	s_and_saveexec_b64 s[40:41], vcc
	s_cbranch_execz .LBB6_13084
; %bb.13079:                            ;   in Loop: Header=BB6_10813 Depth=3
	v_cmp_ne_u32_e32 vcc, s82, v0
	v_bfrev_b32_e32 v3, 1
	s_and_saveexec_b64 s[38:39], vcc
	s_cbranch_execz .LBB6_13083
; %bb.13080:                            ;   in Loop: Header=BB6_10813 Depth=3
	v_bfe_u32 v2, v8, 24, 7
	v_cmp_ne_u32_e32 vcc, s83, v2
	v_mov_b32_e32 v3, 0x7f800001
	s_and_saveexec_b64 s[48:49], vcc
	s_cbranch_execz .LBB6_13082
; %bb.13081:                            ;   in Loop: Header=BB6_10813 Depth=3
	v_and_b32_e32 v16, 7, v0
	v_lshrrev_b32_e32 v17, 3, v2
	v_cmp_gt_u32_e32 vcc, 8, v2
	v_ffbh_u32_e32 v2, v16
	v_min_u32_e32 v36, 32, v2
	v_subrev_u32_e32 v2, 28, v36
	v_lshlrev_b64 v[2:3], v2, v[0:1]
	v_sub_u32_e32 v3, 29, v36
	v_and_b32_e32 v2, 7, v2
	v_cndmask_b32_e32 v3, v17, v3, vcc
	v_cndmask_b32_e32 v2, v16, v2, vcc
	v_lshlrev_b32_e32 v0, 24, v0
	v_bfrev_b32_e32 v16, 60
	v_lshlrev_b32_e32 v2, 20, v2
	v_and_b32_e32 v0, 0x80000000, v0
	v_lshl_add_u32 v3, v3, 23, v16
	v_or3_b32 v3, v0, v3, v2
.LBB6_13082:                            ;   in Loop: Header=BB6_10813 Depth=3
	s_or_b64 exec, exec, s[48:49]
.LBB6_13083:                            ;   in Loop: Header=BB6_10813 Depth=3
	s_or_b64 exec, exec, s[38:39]
.LBB6_13084:                            ;   in Loop: Header=BB6_10813 Depth=3
	s_or_b64 exec, exec, s[40:41]
	v_max_f32_e32 v0, v3, v3
	v_max_f32_e32 v1, v1, v1
	v_min_f32_e32 v1, v1, v0
.LBB6_13085:                            ;   in Loop: Header=BB6_10813 Depth=3
	v_and_b32_e32 v52, 0x7f800000, v1
	v_cmp_ne_u64_e32 vcc, s[76:77], v[52:53]
	v_mov_b32_e32 v26, v56
                                        ; implicit-def: $vgpr56
	s_and_saveexec_b64 s[40:41], vcc
	s_xor_b64 s[38:39], exec, s[40:41]
	s_cbranch_execz .LBB6_13099
; %bb.13086:                            ;   in Loop: Header=BB6_10813 Depth=3
	v_and_b32_e32 v52, 0x7fffffff, v1
	v_cmp_gt_u64_e32 vcc, s[78:79], v[52:53]
	v_and_b32_sdwa v3, v1, s82 dst_sel:DWORD dst_unused:UNUSED_PAD src0_sel:BYTE_3 src1_sel:DWORD
                                        ; implicit-def: $vgpr56
	s_and_saveexec_b64 s[40:41], vcc
	s_xor_b64 s[48:49], exec, s[40:41]
	s_cbranch_execz .LBB6_13096
; %bb.13087:                            ;   in Loop: Header=BB6_10813 Depth=3
	v_mov_b32_e32 v56, 0
	v_cmp_ne_u32_e32 vcc, 0, v1
	s_and_saveexec_b64 s[50:51], vcc
	s_cbranch_execz .LBB6_13095
; %bb.13088:                            ;   in Loop: Header=BB6_10813 Depth=3
	v_bfe_u32 v16, v1, 23, 8
	v_and_b32_e32 v0, 0x7fffff, v1
	v_cmp_gt_u32_e64 s[40:41], s85, v16
	v_sub_u32_e32 v1, 0x79, v16
	v_cmp_eq_u32_e32 vcc, 0, v16
	v_cndmask_b32_e64 v1, 0, v1, s[40:41]
	v_mov_b32_e32 v17, 0x78
	v_or_b32_e32 v2, 0x800000, v0
	v_cndmask_b32_e32 v17, v1, v17, vcc
	v_cndmask_b32_e32 v52, v2, v0, vcc
	v_add_u32_e32 v0, 20, v17
	v_lshlrev_b64 v[0:1], v0, -1
	v_add_u32_e32 v2, 19, v17
	v_lshlrev_b64 v[36:37], v2, 1
	v_bfi_b32 v1, v1, 0, 0
	v_bfi_b32 v0, v0, 0, v52
	v_cmp_eq_u64_e64 s[40:41], v[0:1], v[36:37]
	v_lshrrev_b64 v[0:1], v17, v[52:53]
	v_mov_b32_e32 v2, v1
	v_mov_b32_e32 v1, v0
	s_and_saveexec_b64 s[52:53], s[40:41]
; %bb.13089:                            ;   in Loop: Header=BB6_10813 Depth=3
	v_bfe_u32 v1, v0, 20, 1
	v_add_co_u32_e64 v1, s[40:41], v0, v1
	v_add_co_u32_e64 v1, s[40:41], -1, v1
; %bb.13090:                            ;   in Loop: Header=BB6_10813 Depth=3
	s_or_b64 exec, exec, s[52:53]
	v_add_u32_e32 v2, 0xffffff81, v16
	v_mov_b32_e32 v16, 0xffffff82
	v_cndmask_b32_e32 v2, v2, v16, vcc
	v_lshrrev_b32_e32 v16, 23, v0
	v_add3_u32 v17, v17, v2, v16
	v_add_u32_e32 v16, 6, v17
	v_and_b32_e32 v1, 0xfffff, v1
	v_add_u32_e32 v52, v1, v0
	v_cmp_ne_u32_e32 vcc, 0, v16
                                        ; implicit-def: $vgpr0_vgpr1
                                        ; implicit-def: $vgpr2
	s_and_saveexec_b64 s[40:41], vcc
	s_xor_b64 s[40:41], exec, s[40:41]
; %bb.13091:                            ;   in Loop: Header=BB6_10813 Depth=3
	v_cmp_lt_u64_e32 vcc, s[88:89], v[52:53]
	v_add_u32_e32 v0, 7, v17
	v_cndmask_b32_e32 v2, v16, v0, vcc
	v_cndmask_b32_e64 v0, 0, 1, vcc
	v_lshrrev_b64 v[0:1], v0, v[52:53]
; %bb.13092:                            ;   in Loop: Header=BB6_10813 Depth=3
	s_andn2_saveexec_b64 s[40:41], s[40:41]
; %bb.13093:                            ;   in Loop: Header=BB6_10813 Depth=3
	v_mov_b32_e32 v0, v52
	v_bfe_u32 v2, v52, 23, 1
	v_mov_b32_e32 v1, v53
; %bb.13094:                            ;   in Loop: Header=BB6_10813 Depth=3
	s_or_b64 exec, exec, s[40:41]
	v_lshrrev_b64 v[0:1], 20, v[0:1]
	v_cmp_gt_i32_e32 vcc, 16, v2
	v_cndmask_b32_e32 v1, 0, v1, vcc
	v_cndmask_b32_e32 v0, 7, v0, vcc
	v_cmp_eq_u64_e64 s[40:41], 0, v[0:1]
	v_min_i32_e32 v1, 15, v2
	v_lshlrev_b32_e32 v1, 3, v1
	v_cmp_eq_u32_e32 vcc, 0, v2
	v_and_b32_e32 v1, 0xf8, v1
	v_and_or_b32 v0, v0, 7, v1
	s_and_b64 s[40:41], vcc, s[40:41]
	v_cndmask_b32_e64 v0, v0, 0, s[40:41]
	v_or_b32_e32 v56, v0, v3
.LBB6_13095:                            ;   in Loop: Header=BB6_10813 Depth=3
	s_or_b64 exec, exec, s[50:51]
                                        ; implicit-def: $vgpr3
.LBB6_13096:                            ;   in Loop: Header=BB6_10813 Depth=3
	s_andn2_saveexec_b64 s[40:41], s[48:49]
; %bb.13097:                            ;   in Loop: Header=BB6_10813 Depth=3
	v_or_b32_e32 v56, 0x7e, v3
; %bb.13098:                            ;   in Loop: Header=BB6_10813 Depth=3
	s_or_b64 exec, exec, s[40:41]
                                        ; implicit-def: $vgpr1
.LBB6_13099:                            ;   in Loop: Header=BB6_10813 Depth=3
	s_andn2_saveexec_b64 s[40:41], s[38:39]
; %bb.13100:                            ;   in Loop: Header=BB6_10813 Depth=3
	v_or_b32_sdwa v56, v1, s83 dst_sel:DWORD dst_unused:UNUSED_PAD src0_sel:BYTE_3 src1_sel:DWORD
; %bb.13101:                            ;   in Loop: Header=BB6_10813 Depth=3
	s_or_b64 exec, exec, s[40:41]
	v_mov_b32_e32 v52, v13
	v_mov_b32_e32 v2, v9
	;; [unrolled: 1-line block ×3, first 2 shown]
	v_cmp_ne_u16_sdwa s[40:41], v13, v53 src0_sel:BYTE_0 src1_sel:DWORD
	s_and_b64 vcc, exec, s[28:29]
	s_mov_b64 s[38:39], -1
                                        ; implicit-def: $vgpr0
	s_cbranch_vccnz .LBB6_13115
; %bb.13102:                            ;   in Loop: Header=BB6_10813 Depth=3
	v_mov_b32_e32 v1, 0
	v_mov_b32_e32 v0, 0
	s_and_saveexec_b64 s[38:39], s[40:41]
	s_cbranch_execz .LBB6_13108
; %bb.13103:                            ;   in Loop: Header=BB6_10813 Depth=3
	v_cmp_ne_u16_sdwa vcc, v13, s82 src0_sel:BYTE_0 src1_sel:DWORD
	v_bfrev_b32_e32 v0, 1
	s_and_saveexec_b64 s[48:49], vcc
	s_cbranch_execz .LBB6_13107
; %bb.13104:                            ;   in Loop: Header=BB6_10813 Depth=3
	v_and_b32_e32 v16, 0x7f, v13
	v_cmp_ne_u32_e32 vcc, s83, v16
	v_mov_b32_e32 v0, 0x7f800001
	s_and_saveexec_b64 s[50:51], vcc
	s_cbranch_execz .LBB6_13106
; %bb.13105:                            ;   in Loop: Header=BB6_10813 Depth=3
	v_and_b32_e32 v0, 7, v13
	v_ffbh_u32_e32 v0, v0
	v_min_u32_e32 v0, 32, v0
	v_lshrrev_b32_e32 v17, 3, v16
	v_cmp_gt_u32_e32 vcc, 8, v16
	v_subrev_u32_e32 v16, 28, v0
	v_sub_u32_e32 v0, 29, v0
	v_cndmask_b32_e32 v16, 0, v16, vcc
	v_cndmask_b32_e32 v0, v17, v0, vcc
	v_lshlrev_b64 v[16:17], v16, v[52:53]
	v_lshlrev_b32_e32 v17, 24, v52
	v_lshlrev_b32_e32 v16, 20, v16
	v_bfrev_b32_e32 v36, 60
	v_and_b32_e32 v16, 0x700000, v16
	v_and_b32_e32 v17, 0x80000000, v17
	v_lshl_add_u32 v0, v0, 23, v36
	v_or3_b32 v0, v17, v0, v16
.LBB6_13106:                            ;   in Loop: Header=BB6_10813 Depth=3
	s_or_b64 exec, exec, s[50:51]
.LBB6_13107:                            ;   in Loop: Header=BB6_10813 Depth=3
	s_or_b64 exec, exec, s[48:49]
.LBB6_13108:                            ;   in Loop: Header=BB6_10813 Depth=3
	s_or_b64 exec, exec, s[38:39]
	v_cmp_ne_u16_sdwa vcc, v9, v53 src0_sel:BYTE_0 src1_sel:DWORD
	s_and_saveexec_b64 s[38:39], vcc
	s_cbranch_execz .LBB6_13114
; %bb.13109:                            ;   in Loop: Header=BB6_10813 Depth=3
	v_cmp_ne_u16_sdwa vcc, v9, s82 src0_sel:BYTE_0 src1_sel:DWORD
	v_bfrev_b32_e32 v1, 1
	s_and_saveexec_b64 s[48:49], vcc
	s_cbranch_execz .LBB6_13113
; %bb.13110:                            ;   in Loop: Header=BB6_10813 Depth=3
	v_and_b32_e32 v16, 0x7f, v9
	v_cmp_ne_u32_e32 vcc, s83, v16
	v_mov_b32_e32 v1, 0x7f800001
	s_and_saveexec_b64 s[50:51], vcc
	s_cbranch_execz .LBB6_13112
; %bb.13111:                            ;   in Loop: Header=BB6_10813 Depth=3
	v_and_b32_e32 v1, 7, v9
	v_ffbh_u32_e32 v1, v1
	v_min_u32_e32 v1, 32, v1
	v_lshrrev_b32_e32 v17, 3, v16
	v_cmp_gt_u32_e32 vcc, 8, v16
	v_subrev_u32_e32 v16, 28, v1
	v_sub_u32_e32 v1, 29, v1
	v_cndmask_b32_e32 v16, 0, v16, vcc
	v_cndmask_b32_e32 v1, v17, v1, vcc
	v_lshlrev_b64 v[16:17], v16, v[2:3]
	v_lshlrev_b32_e32 v17, 24, v2
	v_lshlrev_b32_e32 v16, 20, v16
	v_bfrev_b32_e32 v36, 60
	v_and_b32_e32 v16, 0x700000, v16
	v_and_b32_e32 v17, 0x80000000, v17
	v_lshl_add_u32 v1, v1, 23, v36
	v_or3_b32 v1, v17, v1, v16
.LBB6_13112:                            ;   in Loop: Header=BB6_10813 Depth=3
	s_or_b64 exec, exec, s[50:51]
.LBB6_13113:                            ;   in Loop: Header=BB6_10813 Depth=3
	s_or_b64 exec, exec, s[48:49]
.LBB6_13114:                            ;   in Loop: Header=BB6_10813 Depth=3
	s_or_b64 exec, exec, s[38:39]
	v_max_f32_e32 v1, v1, v1
	v_max_f32_e32 v0, v0, v0
	;; [unrolled: 1-line block ×3, first 2 shown]
	s_mov_b64 s[38:39], 0
.LBB6_13115:                            ;   in Loop: Header=BB6_10813 Depth=3
	s_and_b64 vcc, exec, s[38:39]
	s_cbranch_vccz .LBB6_13129
; %bb.13116:                            ;   in Loop: Header=BB6_10813 Depth=3
	v_mov_b32_e32 v1, 0
	v_mov_b32_e32 v0, 0
	s_and_saveexec_b64 s[38:39], s[40:41]
	s_cbranch_execz .LBB6_13122
; %bb.13117:                            ;   in Loop: Header=BB6_10813 Depth=3
	v_cmp_ne_u16_sdwa vcc, v13, s82 src0_sel:BYTE_0 src1_sel:DWORD
	v_bfrev_b32_e32 v0, 1
	s_and_saveexec_b64 s[40:41], vcc
	s_cbranch_execz .LBB6_13121
; %bb.13118:                            ;   in Loop: Header=BB6_10813 Depth=3
	v_and_b32_e32 v16, 0x7f, v13
	v_cmp_ne_u32_e32 vcc, s83, v16
	v_mov_b32_e32 v0, 0x7f800001
	s_and_saveexec_b64 s[48:49], vcc
	s_cbranch_execz .LBB6_13120
; %bb.13119:                            ;   in Loop: Header=BB6_10813 Depth=3
	v_and_b32_e32 v0, 7, v13
	v_ffbh_u32_e32 v0, v0
	v_min_u32_e32 v0, 32, v0
	v_lshrrev_b32_e32 v17, 3, v16
	v_cmp_gt_u32_e32 vcc, 8, v16
	v_subrev_u32_e32 v16, 28, v0
	v_sub_u32_e32 v0, 29, v0
	v_cndmask_b32_e32 v16, 0, v16, vcc
	v_cndmask_b32_e32 v0, v17, v0, vcc
	v_lshlrev_b64 v[16:17], v16, v[52:53]
	v_lshlrev_b32_e32 v17, 24, v52
	v_lshlrev_b32_e32 v16, 20, v16
	v_bfrev_b32_e32 v36, 60
	v_and_b32_e32 v16, 0x700000, v16
	v_and_b32_e32 v17, 0x80000000, v17
	v_lshl_add_u32 v0, v0, 23, v36
	v_or3_b32 v0, v17, v0, v16
.LBB6_13120:                            ;   in Loop: Header=BB6_10813 Depth=3
	s_or_b64 exec, exec, s[48:49]
.LBB6_13121:                            ;   in Loop: Header=BB6_10813 Depth=3
	s_or_b64 exec, exec, s[40:41]
.LBB6_13122:                            ;   in Loop: Header=BB6_10813 Depth=3
	s_or_b64 exec, exec, s[38:39]
	v_cmp_ne_u16_sdwa vcc, v9, v53 src0_sel:BYTE_0 src1_sel:DWORD
	s_and_saveexec_b64 s[40:41], vcc
	s_cbranch_execz .LBB6_13128
; %bb.13123:                            ;   in Loop: Header=BB6_10813 Depth=3
	v_cmp_ne_u16_sdwa vcc, v9, s82 src0_sel:BYTE_0 src1_sel:DWORD
	v_bfrev_b32_e32 v1, 1
	s_and_saveexec_b64 s[38:39], vcc
	s_cbranch_execz .LBB6_13127
; %bb.13124:                            ;   in Loop: Header=BB6_10813 Depth=3
	v_and_b32_e32 v16, 0x7f, v9
	v_cmp_ne_u32_e32 vcc, s83, v16
	v_mov_b32_e32 v1, 0x7f800001
	s_and_saveexec_b64 s[48:49], vcc
	s_cbranch_execz .LBB6_13126
; %bb.13125:                            ;   in Loop: Header=BB6_10813 Depth=3
	v_and_b32_e32 v1, 7, v9
	v_ffbh_u32_e32 v1, v1
	v_min_u32_e32 v1, 32, v1
	v_lshrrev_b32_e32 v17, 3, v16
	v_cmp_gt_u32_e32 vcc, 8, v16
	v_subrev_u32_e32 v16, 28, v1
	v_sub_u32_e32 v1, 29, v1
	v_cndmask_b32_e32 v16, 0, v16, vcc
	v_cndmask_b32_e32 v1, v17, v1, vcc
	v_lshlrev_b64 v[16:17], v16, v[2:3]
	v_bfrev_b32_e32 v17, 60
	v_lshlrev_b32_e32 v3, 20, v16
	v_lshlrev_b32_e32 v16, 24, v2
	v_and_b32_e32 v3, 0x700000, v3
	v_and_b32_e32 v16, 0x80000000, v16
	v_lshl_add_u32 v1, v1, 23, v17
	v_or3_b32 v1, v16, v1, v3
.LBB6_13126:                            ;   in Loop: Header=BB6_10813 Depth=3
	s_or_b64 exec, exec, s[48:49]
.LBB6_13127:                            ;   in Loop: Header=BB6_10813 Depth=3
	s_or_b64 exec, exec, s[38:39]
.LBB6_13128:                            ;   in Loop: Header=BB6_10813 Depth=3
	s_or_b64 exec, exec, s[40:41]
	v_max_f32_e32 v1, v1, v1
	v_max_f32_e32 v0, v0, v0
	v_min_f32_e32 v0, v0, v1
.LBB6_13129:                            ;   in Loop: Header=BB6_10813 Depth=3
	v_and_b32_e32 v16, 0x7f800000, v0
	v_mov_b32_e32 v17, v53
	v_cmp_ne_u64_e32 vcc, s[76:77], v[16:17]
                                        ; implicit-def: $vgpr17
	s_and_saveexec_b64 s[40:41], vcc
	s_xor_b64 s[38:39], exec, s[40:41]
	s_cbranch_execz .LBB6_13143
; %bb.13130:                            ;   in Loop: Header=BB6_10813 Depth=3
	v_and_b32_e32 v16, 0x7fffffff, v0
	v_mov_b32_e32 v17, v53
	v_cmp_gt_u64_e32 vcc, s[78:79], v[16:17]
	v_and_b32_sdwa v3, v0, s82 dst_sel:DWORD dst_unused:UNUSED_PAD src0_sel:BYTE_3 src1_sel:DWORD
                                        ; implicit-def: $vgpr17
	s_and_saveexec_b64 s[40:41], vcc
	s_xor_b64 s[48:49], exec, s[40:41]
	s_cbranch_execz .LBB6_13140
; %bb.13131:                            ;   in Loop: Header=BB6_10813 Depth=3
	v_mov_b32_e32 v17, 0
	v_cmp_ne_u32_e32 vcc, 0, v0
	s_and_saveexec_b64 s[50:51], vcc
	s_cbranch_execz .LBB6_13139
; %bb.13132:                            ;   in Loop: Header=BB6_10813 Depth=3
	v_bfe_u32 v38, v0, 23, 8
	v_and_b32_e32 v1, 0x7fffff, v0
	v_cmp_gt_u32_e64 s[40:41], s85, v38
	v_sub_u32_e32 v0, 0x79, v38
	v_cmp_eq_u32_e32 vcc, 0, v38
	v_cndmask_b32_e64 v0, 0, v0, s[40:41]
	v_mov_b32_e32 v17, 0x78
	v_or_b32_e32 v16, 0x800000, v1
	v_cndmask_b32_e32 v39, v0, v17, vcc
	v_cndmask_b32_e32 v0, v16, v1, vcc
	v_add_u32_e32 v16, 20, v39
	v_lshlrev_b64 v[16:17], v16, -1
	v_mov_b32_e32 v1, v53
	v_add_u32_e32 v36, 19, v39
	v_bfi_b32 v16, v16, 0, v0
	v_lshlrev_b64 v[36:37], v36, 1
	v_lshrrev_b64 v[0:1], v39, v[0:1]
	v_bfi_b32 v17, v17, 0, 0
	v_cmp_eq_u64_e64 s[40:41], v[16:17], v[36:37]
	v_mov_b32_e32 v17, v1
	v_mov_b32_e32 v16, v0
	s_and_saveexec_b64 s[52:53], s[40:41]
; %bb.13133:                            ;   in Loop: Header=BB6_10813 Depth=3
	v_bfe_u32 v1, v0, 20, 1
	v_add_co_u32_e64 v1, s[40:41], v0, v1
	v_add_co_u32_e64 v16, s[40:41], -1, v1
; %bb.13134:                            ;   in Loop: Header=BB6_10813 Depth=3
	s_or_b64 exec, exec, s[52:53]
	v_add_u32_e32 v1, 0xffffff81, v38
	v_mov_b32_e32 v17, 0xffffff82
	v_cndmask_b32_e32 v1, v1, v17, vcc
	v_lshrrev_b32_e32 v17, 23, v0
	v_add3_u32 v38, v39, v1, v17
	v_add_u32_e32 v17, 6, v38
	v_and_b32_e32 v1, 0xfffff, v16
	v_add_u32_e32 v0, v1, v0
	v_mov_b32_e32 v1, v53
	v_cmp_ne_u32_e32 vcc, 0, v17
                                        ; implicit-def: $vgpr16
	s_and_saveexec_b64 s[40:41], vcc
	s_xor_b64 s[40:41], exec, s[40:41]
; %bb.13135:                            ;   in Loop: Header=BB6_10813 Depth=3
	v_cmp_lt_u64_e32 vcc, s[88:89], v[0:1]
	v_add_u32_e32 v16, 7, v38
	v_cndmask_b32_e32 v16, v17, v16, vcc
	v_cndmask_b32_e64 v17, 0, 1, vcc
	v_lshrrev_b64 v[0:1], v17, v[0:1]
; %bb.13136:                            ;   in Loop: Header=BB6_10813 Depth=3
	s_andn2_saveexec_b64 s[40:41], s[40:41]
; %bb.13137:                            ;   in Loop: Header=BB6_10813 Depth=3
	v_bfe_u32 v16, v0, 23, 1
; %bb.13138:                            ;   in Loop: Header=BB6_10813 Depth=3
	s_or_b64 exec, exec, s[40:41]
	v_lshrrev_b64 v[0:1], 20, v[0:1]
	v_cmp_gt_i32_e32 vcc, 16, v16
	v_cndmask_b32_e32 v1, 0, v1, vcc
	v_cndmask_b32_e32 v0, 7, v0, vcc
	v_cmp_eq_u64_e64 s[40:41], 0, v[0:1]
	v_min_i32_e32 v1, 15, v16
	v_lshlrev_b32_e32 v1, 3, v1
	v_cmp_eq_u32_e32 vcc, 0, v16
	v_and_b32_e32 v1, 0xf8, v1
	v_and_or_b32 v0, v0, 7, v1
	s_and_b64 s[40:41], vcc, s[40:41]
	v_cndmask_b32_e64 v0, v0, 0, s[40:41]
	v_or_b32_e32 v17, v0, v3
.LBB6_13139:                            ;   in Loop: Header=BB6_10813 Depth=3
	s_or_b64 exec, exec, s[50:51]
                                        ; implicit-def: $vgpr3
.LBB6_13140:                            ;   in Loop: Header=BB6_10813 Depth=3
	s_andn2_saveexec_b64 s[40:41], s[48:49]
; %bb.13141:                            ;   in Loop: Header=BB6_10813 Depth=3
	v_or_b32_e32 v17, 0x7e, v3
; %bb.13142:                            ;   in Loop: Header=BB6_10813 Depth=3
	s_or_b64 exec, exec, s[40:41]
                                        ; implicit-def: $vgpr0
.LBB6_13143:                            ;   in Loop: Header=BB6_10813 Depth=3
	s_andn2_saveexec_b64 s[40:41], s[38:39]
; %bb.13144:                            ;   in Loop: Header=BB6_10813 Depth=3
	v_or_b32_sdwa v17, v0, s83 dst_sel:DWORD dst_unused:UNUSED_PAD src0_sel:BYTE_3 src1_sel:DWORD
; %bb.13145:                            ;   in Loop: Header=BB6_10813 Depth=3
	s_or_b64 exec, exec, s[40:41]
	v_lshrrev_b16_e32 v16, 8, v52
	v_lshrrev_b16_e32 v3, 8, v2
	v_cmp_ne_u16_e64 s[40:41], 0, v16
	s_and_b64 vcc, exec, s[28:29]
	s_mov_b64 s[38:39], -1
                                        ; implicit-def: $vgpr0
	s_cbranch_vccnz .LBB6_13159
; %bb.13146:                            ;   in Loop: Header=BB6_10813 Depth=3
	v_mov_b32_e32 v1, 0
	v_mov_b32_e32 v0, 0
	s_and_saveexec_b64 s[38:39], s[40:41]
	s_cbranch_execz .LBB6_13152
; %bb.13147:                            ;   in Loop: Header=BB6_10813 Depth=3
	v_cmp_ne_u16_e32 vcc, s82, v16
	v_bfrev_b32_e32 v0, 1
	s_and_saveexec_b64 s[48:49], vcc
	s_cbranch_execz .LBB6_13151
; %bb.13148:                            ;   in Loop: Header=BB6_10813 Depth=3
	v_and_b32_e32 v38, 0x7f, v16
	v_cmp_ne_u32_e32 vcc, s83, v38
	v_mov_b32_e32 v0, 0x7f800001
	s_and_saveexec_b64 s[50:51], vcc
	s_cbranch_execz .LBB6_13150
; %bb.13149:                            ;   in Loop: Header=BB6_10813 Depth=3
	v_and_b32_e32 v0, 7, v16
	v_ffbh_u32_e32 v36, v0
	v_lshrrev_b32_e32 v39, 3, v38
	v_cmp_gt_u32_e32 vcc, 8, v38
	v_min_u32_e32 v38, 32, v36
	v_subrev_u32_e32 v36, 28, v38
	v_lshlrev_b64 v[36:37], v36, v[16:17]
	v_sub_u32_e32 v37, 29, v38
	v_and_b32_e32 v36, 7, v36
	v_cndmask_b32_e32 v37, v39, v37, vcc
	v_cndmask_b32_e32 v0, v0, v36, vcc
	v_lshlrev_b32_e32 v36, 16, v52
	v_bfrev_b32_e32 v38, 60
	v_lshlrev_b32_e32 v0, 20, v0
	v_and_b32_e32 v36, 0x80000000, v36
	v_lshl_add_u32 v37, v37, 23, v38
	v_or3_b32 v0, v36, v37, v0
.LBB6_13150:                            ;   in Loop: Header=BB6_10813 Depth=3
	s_or_b64 exec, exec, s[50:51]
.LBB6_13151:                            ;   in Loop: Header=BB6_10813 Depth=3
	s_or_b64 exec, exec, s[48:49]
.LBB6_13152:                            ;   in Loop: Header=BB6_10813 Depth=3
	s_or_b64 exec, exec, s[38:39]
	v_cmp_ne_u16_e32 vcc, 0, v3
	s_and_saveexec_b64 s[38:39], vcc
	s_cbranch_execz .LBB6_13158
; %bb.13153:                            ;   in Loop: Header=BB6_10813 Depth=3
	v_cmp_ne_u16_e32 vcc, s82, v3
	v_bfrev_b32_e32 v1, 1
	s_and_saveexec_b64 s[48:49], vcc
	s_cbranch_execz .LBB6_13157
; %bb.13154:                            ;   in Loop: Header=BB6_10813 Depth=3
	v_and_b32_e32 v38, 0x7f, v3
	v_cmp_ne_u32_e32 vcc, s83, v38
	v_mov_b32_e32 v1, 0x7f800001
	s_and_saveexec_b64 s[50:51], vcc
	s_cbranch_execz .LBB6_13156
; %bb.13155:                            ;   in Loop: Header=BB6_10813 Depth=3
	v_and_b32_e32 v1, 7, v3
	v_ffbh_u32_e32 v36, v1
	v_lshrrev_b32_e32 v39, 3, v38
	v_cmp_gt_u32_e32 vcc, 8, v38
	v_min_u32_e32 v38, 32, v36
	v_subrev_u32_e32 v36, 28, v38
	v_lshlrev_b64 v[36:37], v36, v[3:4]
	v_sub_u32_e32 v37, 29, v38
	v_and_b32_e32 v36, 7, v36
	v_cndmask_b32_e32 v37, v39, v37, vcc
	v_cndmask_b32_e32 v1, v1, v36, vcc
	v_lshlrev_b32_e32 v36, 16, v2
	v_bfrev_b32_e32 v38, 60
	v_lshlrev_b32_e32 v1, 20, v1
	v_and_b32_e32 v36, 0x80000000, v36
	v_lshl_add_u32 v37, v37, 23, v38
	v_or3_b32 v1, v36, v37, v1
.LBB6_13156:                            ;   in Loop: Header=BB6_10813 Depth=3
	s_or_b64 exec, exec, s[50:51]
.LBB6_13157:                            ;   in Loop: Header=BB6_10813 Depth=3
	s_or_b64 exec, exec, s[48:49]
.LBB6_13158:                            ;   in Loop: Header=BB6_10813 Depth=3
	s_or_b64 exec, exec, s[38:39]
	v_max_f32_e32 v1, v1, v1
	v_max_f32_e32 v0, v0, v0
	;; [unrolled: 1-line block ×3, first 2 shown]
	s_mov_b64 s[38:39], 0
.LBB6_13159:                            ;   in Loop: Header=BB6_10813 Depth=3
	s_and_b64 vcc, exec, s[38:39]
	s_cbranch_vccz .LBB6_13173
; %bb.13160:                            ;   in Loop: Header=BB6_10813 Depth=3
	v_mov_b32_e32 v1, 0
	v_mov_b32_e32 v0, 0
	s_and_saveexec_b64 s[38:39], s[40:41]
	s_cbranch_execz .LBB6_13166
; %bb.13161:                            ;   in Loop: Header=BB6_10813 Depth=3
	v_cmp_ne_u16_e32 vcc, s82, v16
	v_bfrev_b32_e32 v0, 1
	s_and_saveexec_b64 s[40:41], vcc
	s_cbranch_execz .LBB6_13165
; %bb.13162:                            ;   in Loop: Header=BB6_10813 Depth=3
	v_and_b32_e32 v38, 0x7f, v16
	v_cmp_ne_u32_e32 vcc, s83, v38
	v_mov_b32_e32 v0, 0x7f800001
	s_and_saveexec_b64 s[48:49], vcc
	s_cbranch_execz .LBB6_13164
; %bb.13163:                            ;   in Loop: Header=BB6_10813 Depth=3
	v_and_b32_e32 v0, 7, v16
	v_ffbh_u32_e32 v36, v0
	v_lshrrev_b32_e32 v39, 3, v38
	v_cmp_gt_u32_e32 vcc, 8, v38
	v_min_u32_e32 v38, 32, v36
	v_subrev_u32_e32 v36, 28, v38
	v_lshlrev_b64 v[36:37], v36, v[16:17]
	v_sub_u32_e32 v16, 29, v38
	v_and_b32_e32 v36, 7, v36
	v_cndmask_b32_e32 v16, v39, v16, vcc
	v_cndmask_b32_e32 v0, v0, v36, vcc
	v_lshlrev_b32_e32 v36, 16, v52
	v_bfrev_b32_e32 v37, 60
	v_lshlrev_b32_e32 v0, 20, v0
	v_and_b32_e32 v36, 0x80000000, v36
	v_lshl_add_u32 v16, v16, 23, v37
	v_or3_b32 v0, v36, v16, v0
.LBB6_13164:                            ;   in Loop: Header=BB6_10813 Depth=3
	s_or_b64 exec, exec, s[48:49]
.LBB6_13165:                            ;   in Loop: Header=BB6_10813 Depth=3
	s_or_b64 exec, exec, s[40:41]
.LBB6_13166:                            ;   in Loop: Header=BB6_10813 Depth=3
	s_or_b64 exec, exec, s[38:39]
	v_cmp_ne_u16_e32 vcc, 0, v3
	s_and_saveexec_b64 s[40:41], vcc
	s_cbranch_execz .LBB6_13172
; %bb.13167:                            ;   in Loop: Header=BB6_10813 Depth=3
	v_cmp_ne_u16_e32 vcc, s82, v3
	v_bfrev_b32_e32 v1, 1
	s_and_saveexec_b64 s[38:39], vcc
	s_cbranch_execz .LBB6_13171
; %bb.13168:                            ;   in Loop: Header=BB6_10813 Depth=3
	v_and_b32_e32 v16, 0x7f, v3
	v_cmp_ne_u32_e32 vcc, s83, v16
	v_mov_b32_e32 v1, 0x7f800001
	s_and_saveexec_b64 s[48:49], vcc
	s_cbranch_execz .LBB6_13170
; %bb.13169:                            ;   in Loop: Header=BB6_10813 Depth=3
	v_and_b32_e32 v1, 7, v3
	v_lshrrev_b32_e32 v38, 3, v16
	v_cmp_gt_u32_e32 vcc, 8, v16
	v_ffbh_u32_e32 v16, v1
	v_min_u32_e32 v16, 32, v16
	v_subrev_u32_e32 v36, 28, v16
	v_lshlrev_b64 v[36:37], v36, v[3:4]
	v_sub_u32_e32 v3, 29, v16
	v_and_b32_e32 v16, 7, v36
	v_cndmask_b32_e32 v3, v38, v3, vcc
	v_cndmask_b32_e32 v1, v1, v16, vcc
	v_lshlrev_b32_e32 v2, 16, v2
	v_bfrev_b32_e32 v16, 60
	v_lshlrev_b32_e32 v1, 20, v1
	v_and_b32_e32 v2, 0x80000000, v2
	v_lshl_add_u32 v3, v3, 23, v16
	v_or3_b32 v1, v2, v3, v1
.LBB6_13170:                            ;   in Loop: Header=BB6_10813 Depth=3
	s_or_b64 exec, exec, s[48:49]
.LBB6_13171:                            ;   in Loop: Header=BB6_10813 Depth=3
	s_or_b64 exec, exec, s[38:39]
.LBB6_13172:                            ;   in Loop: Header=BB6_10813 Depth=3
	s_or_b64 exec, exec, s[40:41]
	v_max_f32_e32 v1, v1, v1
	v_max_f32_e32 v0, v0, v0
	v_min_f32_e32 v0, v0, v1
.LBB6_13173:                            ;   in Loop: Header=BB6_10813 Depth=3
	v_and_b32_e32 v52, 0x7f800000, v0
	v_cmp_ne_u64_e32 vcc, s[76:77], v[52:53]
                                        ; implicit-def: $vgpr16
	s_and_saveexec_b64 s[40:41], vcc
	s_xor_b64 s[38:39], exec, s[40:41]
	s_cbranch_execz .LBB6_13187
; %bb.13174:                            ;   in Loop: Header=BB6_10813 Depth=3
	v_and_b32_e32 v52, 0x7fffffff, v0
	v_cmp_gt_u64_e32 vcc, s[78:79], v[52:53]
	v_and_b32_sdwa v3, v0, s82 dst_sel:DWORD dst_unused:UNUSED_PAD src0_sel:BYTE_3 src1_sel:DWORD
                                        ; implicit-def: $vgpr16
	s_and_saveexec_b64 s[40:41], vcc
	s_xor_b64 s[48:49], exec, s[40:41]
	s_cbranch_execz .LBB6_13184
; %bb.13175:                            ;   in Loop: Header=BB6_10813 Depth=3
	v_mov_b32_e32 v16, 0
	v_cmp_ne_u32_e32 vcc, 0, v0
	s_and_saveexec_b64 s[50:51], vcc
	s_cbranch_execz .LBB6_13183
; %bb.13176:                            ;   in Loop: Header=BB6_10813 Depth=3
	v_bfe_u32 v16, v0, 23, 8
	v_and_b32_e32 v1, 0x7fffff, v0
	v_cmp_gt_u32_e64 s[40:41], s85, v16
	v_sub_u32_e32 v0, 0x79, v16
	v_cmp_eq_u32_e32 vcc, 0, v16
	v_cndmask_b32_e64 v0, 0, v0, s[40:41]
	v_mov_b32_e32 v36, 0x78
	v_cndmask_b32_e32 v38, v0, v36, vcc
	v_or_b32_e32 v2, 0x800000, v1
	v_add_u32_e32 v0, 20, v38
	v_cndmask_b32_e32 v52, v2, v1, vcc
	v_lshlrev_b64 v[0:1], v0, -1
	v_add_u32_e32 v2, 19, v38
	v_lshlrev_b64 v[36:37], v2, 1
	v_bfi_b32 v1, v1, 0, 0
	v_bfi_b32 v0, v0, 0, v52
	v_cmp_eq_u64_e64 s[40:41], v[0:1], v[36:37]
	v_lshrrev_b64 v[0:1], v38, v[52:53]
	v_mov_b32_e32 v2, v1
	v_mov_b32_e32 v1, v0
	s_and_saveexec_b64 s[52:53], s[40:41]
; %bb.13177:                            ;   in Loop: Header=BB6_10813 Depth=3
	v_bfe_u32 v1, v0, 20, 1
	v_add_co_u32_e64 v1, s[40:41], v0, v1
	v_add_co_u32_e64 v1, s[40:41], -1, v1
; %bb.13178:                            ;   in Loop: Header=BB6_10813 Depth=3
	s_or_b64 exec, exec, s[52:53]
	v_add_u32_e32 v2, 0xffffff81, v16
	v_mov_b32_e32 v16, 0xffffff82
	v_cndmask_b32_e32 v2, v2, v16, vcc
	v_lshrrev_b32_e32 v16, 23, v0
	v_add3_u32 v38, v38, v2, v16
	v_add_u32_e32 v16, 6, v38
	v_and_b32_e32 v1, 0xfffff, v1
	v_add_u32_e32 v52, v1, v0
	v_cmp_ne_u32_e32 vcc, 0, v16
                                        ; implicit-def: $vgpr0_vgpr1
                                        ; implicit-def: $vgpr2
	s_and_saveexec_b64 s[40:41], vcc
	s_xor_b64 s[40:41], exec, s[40:41]
; %bb.13179:                            ;   in Loop: Header=BB6_10813 Depth=3
	v_cmp_lt_u64_e32 vcc, s[88:89], v[52:53]
	v_add_u32_e32 v0, 7, v38
	v_cndmask_b32_e32 v2, v16, v0, vcc
	v_cndmask_b32_e64 v0, 0, 1, vcc
	v_lshrrev_b64 v[0:1], v0, v[52:53]
; %bb.13180:                            ;   in Loop: Header=BB6_10813 Depth=3
	s_andn2_saveexec_b64 s[40:41], s[40:41]
; %bb.13181:                            ;   in Loop: Header=BB6_10813 Depth=3
	v_mov_b32_e32 v0, v52
	v_bfe_u32 v2, v52, 23, 1
	v_mov_b32_e32 v1, v53
; %bb.13182:                            ;   in Loop: Header=BB6_10813 Depth=3
	s_or_b64 exec, exec, s[40:41]
	v_lshrrev_b64 v[0:1], 20, v[0:1]
	v_cmp_gt_i32_e32 vcc, 16, v2
	v_cndmask_b32_e32 v1, 0, v1, vcc
	v_cndmask_b32_e32 v0, 7, v0, vcc
	v_cmp_eq_u64_e64 s[40:41], 0, v[0:1]
	v_min_i32_e32 v1, 15, v2
	v_lshlrev_b32_e32 v1, 3, v1
	v_cmp_eq_u32_e32 vcc, 0, v2
	v_and_b32_e32 v1, 0xf8, v1
	v_and_or_b32 v0, v0, 7, v1
	s_and_b64 s[40:41], vcc, s[40:41]
	v_cndmask_b32_e64 v0, v0, 0, s[40:41]
	v_or_b32_e32 v16, v0, v3
.LBB6_13183:                            ;   in Loop: Header=BB6_10813 Depth=3
	s_or_b64 exec, exec, s[50:51]
                                        ; implicit-def: $vgpr3
.LBB6_13184:                            ;   in Loop: Header=BB6_10813 Depth=3
	s_andn2_saveexec_b64 s[40:41], s[48:49]
; %bb.13185:                            ;   in Loop: Header=BB6_10813 Depth=3
	v_or_b32_e32 v16, 0x7e, v3
; %bb.13186:                            ;   in Loop: Header=BB6_10813 Depth=3
	s_or_b64 exec, exec, s[40:41]
                                        ; implicit-def: $vgpr0
.LBB6_13187:                            ;   in Loop: Header=BB6_10813 Depth=3
	s_andn2_saveexec_b64 s[40:41], s[38:39]
; %bb.13188:                            ;   in Loop: Header=BB6_10813 Depth=3
	v_or_b32_sdwa v16, v0, s83 dst_sel:DWORD dst_unused:UNUSED_PAD src0_sel:BYTE_3 src1_sel:DWORD
; %bb.13189:                            ;   in Loop: Header=BB6_10813 Depth=3
	s_or_b64 exec, exec, s[40:41]
	v_lshrrev_b32_e32 v2, 16, v13
	v_lshrrev_b32_e32 v0, 16, v9
	v_cmp_ne_u16_sdwa s[40:41], v2, v53 src0_sel:BYTE_0 src1_sel:DWORD
	s_and_b64 vcc, exec, s[28:29]
	s_mov_b64 s[38:39], -1
                                        ; implicit-def: $vgpr1
	s_cbranch_vccnz .LBB6_13203
; %bb.13190:                            ;   in Loop: Header=BB6_10813 Depth=3
	v_mov_b32_e32 v3, 0
	v_mov_b32_e32 v1, 0
	s_and_saveexec_b64 s[38:39], s[40:41]
	s_cbranch_execz .LBB6_13196
; %bb.13191:                            ;   in Loop: Header=BB6_10813 Depth=3
	v_cmp_ne_u16_sdwa vcc, v2, s82 src0_sel:BYTE_0 src1_sel:DWORD
	v_bfrev_b32_e32 v1, 1
	s_and_saveexec_b64 s[48:49], vcc
	s_cbranch_execz .LBB6_13195
; %bb.13192:                            ;   in Loop: Header=BB6_10813 Depth=3
	v_bfe_u32 v38, v13, 16, 7
	v_cmp_ne_u32_e32 vcc, s83, v38
	v_mov_b32_e32 v1, 0x7f800001
	s_and_saveexec_b64 s[50:51], vcc
	s_cbranch_execz .LBB6_13194
; %bb.13193:                            ;   in Loop: Header=BB6_10813 Depth=3
	v_and_b32_e32 v1, 7, v2
	v_ffbh_u32_e32 v36, v1
	v_lshrrev_b32_e32 v39, 3, v38
	v_cmp_gt_u32_e32 vcc, 8, v38
	v_min_u32_e32 v38, 32, v36
	v_subrev_u32_e32 v36, 28, v38
	v_lshlrev_b64 v[36:37], v36, v[2:3]
	v_sub_u32_e32 v37, 29, v38
	v_and_b32_e32 v36, 7, v36
	v_cndmask_b32_e32 v37, v39, v37, vcc
	v_cndmask_b32_e32 v1, v1, v36, vcc
	v_lshlrev_b32_e32 v36, 24, v2
	v_bfrev_b32_e32 v38, 60
	v_lshlrev_b32_e32 v1, 20, v1
	v_and_b32_e32 v36, 0x80000000, v36
	v_lshl_add_u32 v37, v37, 23, v38
	v_or3_b32 v1, v36, v37, v1
.LBB6_13194:                            ;   in Loop: Header=BB6_10813 Depth=3
	s_or_b64 exec, exec, s[50:51]
.LBB6_13195:                            ;   in Loop: Header=BB6_10813 Depth=3
	s_or_b64 exec, exec, s[48:49]
.LBB6_13196:                            ;   in Loop: Header=BB6_10813 Depth=3
	s_or_b64 exec, exec, s[38:39]
	v_cmp_ne_u16_sdwa vcc, v0, v53 src0_sel:BYTE_0 src1_sel:DWORD
	s_and_saveexec_b64 s[38:39], vcc
	s_cbranch_execz .LBB6_13202
; %bb.13197:                            ;   in Loop: Header=BB6_10813 Depth=3
	v_cmp_ne_u16_sdwa vcc, v0, s82 src0_sel:BYTE_0 src1_sel:DWORD
	v_bfrev_b32_e32 v3, 1
	s_and_saveexec_b64 s[48:49], vcc
	s_cbranch_execz .LBB6_13201
; %bb.13198:                            ;   in Loop: Header=BB6_10813 Depth=3
	v_bfe_u32 v38, v9, 16, 7
	v_cmp_ne_u32_e32 vcc, s83, v38
	v_mov_b32_e32 v3, 0x7f800001
	s_and_saveexec_b64 s[50:51], vcc
	s_cbranch_execz .LBB6_13200
; %bb.13199:                            ;   in Loop: Header=BB6_10813 Depth=3
	v_and_b32_e32 v3, 7, v0
	v_ffbh_u32_e32 v36, v3
	v_lshrrev_b32_e32 v39, 3, v38
	v_cmp_gt_u32_e32 vcc, 8, v38
	v_min_u32_e32 v38, 32, v36
	v_subrev_u32_e32 v36, 28, v38
	v_lshlrev_b64 v[36:37], v36, v[0:1]
	v_sub_u32_e32 v37, 29, v38
	v_and_b32_e32 v36, 7, v36
	v_cndmask_b32_e32 v37, v39, v37, vcc
	v_cndmask_b32_e32 v3, v3, v36, vcc
	v_lshlrev_b32_e32 v36, 24, v0
	v_bfrev_b32_e32 v38, 60
	v_lshlrev_b32_e32 v3, 20, v3
	v_and_b32_e32 v36, 0x80000000, v36
	v_lshl_add_u32 v37, v37, 23, v38
	v_or3_b32 v3, v36, v37, v3
.LBB6_13200:                            ;   in Loop: Header=BB6_10813 Depth=3
	s_or_b64 exec, exec, s[50:51]
.LBB6_13201:                            ;   in Loop: Header=BB6_10813 Depth=3
	s_or_b64 exec, exec, s[48:49]
.LBB6_13202:                            ;   in Loop: Header=BB6_10813 Depth=3
	s_or_b64 exec, exec, s[38:39]
	v_max_f32_e32 v3, v3, v3
	v_max_f32_e32 v1, v1, v1
	v_max_f32_e32 v1, v1, v3
	s_mov_b64 s[38:39], 0
.LBB6_13203:                            ;   in Loop: Header=BB6_10813 Depth=3
	s_and_b64 vcc, exec, s[38:39]
	s_cbranch_vccz .LBB6_13217
; %bb.13204:                            ;   in Loop: Header=BB6_10813 Depth=3
	v_mov_b32_e32 v3, 0
	v_mov_b32_e32 v1, 0
	s_and_saveexec_b64 s[38:39], s[40:41]
	s_cbranch_execz .LBB6_13210
; %bb.13205:                            ;   in Loop: Header=BB6_10813 Depth=3
	v_cmp_ne_u16_sdwa vcc, v2, s82 src0_sel:BYTE_0 src1_sel:DWORD
	v_bfrev_b32_e32 v1, 1
	s_and_saveexec_b64 s[40:41], vcc
	s_cbranch_execz .LBB6_13209
; %bb.13206:                            ;   in Loop: Header=BB6_10813 Depth=3
	v_bfe_u32 v38, v13, 16, 7
	v_cmp_ne_u32_e32 vcc, s83, v38
	v_mov_b32_e32 v1, 0x7f800001
	s_and_saveexec_b64 s[48:49], vcc
	s_cbranch_execz .LBB6_13208
; %bb.13207:                            ;   in Loop: Header=BB6_10813 Depth=3
	v_and_b32_e32 v1, 7, v2
	v_ffbh_u32_e32 v36, v1
	v_lshrrev_b32_e32 v39, 3, v38
	v_cmp_gt_u32_e32 vcc, 8, v38
	v_min_u32_e32 v38, 32, v36
	v_subrev_u32_e32 v36, 28, v38
	v_lshlrev_b64 v[36:37], v36, v[2:3]
	v_sub_u32_e32 v37, 29, v38
	v_and_b32_e32 v36, 7, v36
	v_cndmask_b32_e32 v37, v39, v37, vcc
	v_cndmask_b32_e32 v1, v1, v36, vcc
	v_lshlrev_b32_e32 v2, 24, v2
	v_bfrev_b32_e32 v36, 60
	v_lshlrev_b32_e32 v1, 20, v1
	v_and_b32_e32 v2, 0x80000000, v2
	v_lshl_add_u32 v36, v37, 23, v36
	v_or3_b32 v1, v2, v36, v1
.LBB6_13208:                            ;   in Loop: Header=BB6_10813 Depth=3
	s_or_b64 exec, exec, s[48:49]
.LBB6_13209:                            ;   in Loop: Header=BB6_10813 Depth=3
	s_or_b64 exec, exec, s[40:41]
.LBB6_13210:                            ;   in Loop: Header=BB6_10813 Depth=3
	s_or_b64 exec, exec, s[38:39]
	v_cmp_ne_u16_sdwa vcc, v0, v53 src0_sel:BYTE_0 src1_sel:DWORD
	s_and_saveexec_b64 s[40:41], vcc
	s_cbranch_execz .LBB6_13216
; %bb.13211:                            ;   in Loop: Header=BB6_10813 Depth=3
	v_cmp_ne_u16_sdwa vcc, v0, s82 src0_sel:BYTE_0 src1_sel:DWORD
	v_bfrev_b32_e32 v3, 1
	s_and_saveexec_b64 s[38:39], vcc
	s_cbranch_execz .LBB6_13215
; %bb.13212:                            ;   in Loop: Header=BB6_10813 Depth=3
	v_bfe_u32 v2, v9, 16, 7
	v_cmp_ne_u32_e32 vcc, s83, v2
	v_mov_b32_e32 v3, 0x7f800001
	s_and_saveexec_b64 s[48:49], vcc
	s_cbranch_execz .LBB6_13214
; %bb.13213:                            ;   in Loop: Header=BB6_10813 Depth=3
	v_and_b32_e32 v36, 7, v0
	v_lshrrev_b32_e32 v37, 3, v2
	v_cmp_gt_u32_e32 vcc, 8, v2
	v_ffbh_u32_e32 v2, v36
	v_min_u32_e32 v38, 32, v2
	v_subrev_u32_e32 v2, 28, v38
	v_lshlrev_b64 v[2:3], v2, v[0:1]
	v_sub_u32_e32 v3, 29, v38
	v_and_b32_e32 v2, 7, v2
	v_cndmask_b32_e32 v3, v37, v3, vcc
	v_cndmask_b32_e32 v2, v36, v2, vcc
	v_lshlrev_b32_e32 v0, 24, v0
	v_bfrev_b32_e32 v36, 60
	v_lshlrev_b32_e32 v2, 20, v2
	v_and_b32_e32 v0, 0x80000000, v0
	v_lshl_add_u32 v3, v3, 23, v36
	v_or3_b32 v3, v0, v3, v2
.LBB6_13214:                            ;   in Loop: Header=BB6_10813 Depth=3
	s_or_b64 exec, exec, s[48:49]
.LBB6_13215:                            ;   in Loop: Header=BB6_10813 Depth=3
	s_or_b64 exec, exec, s[38:39]
.LBB6_13216:                            ;   in Loop: Header=BB6_10813 Depth=3
	s_or_b64 exec, exec, s[40:41]
	v_max_f32_e32 v0, v3, v3
	v_max_f32_e32 v1, v1, v1
	v_min_f32_e32 v1, v1, v0
.LBB6_13217:                            ;   in Loop: Header=BB6_10813 Depth=3
	v_and_b32_e32 v52, 0x7f800000, v1
	v_cmp_ne_u64_e32 vcc, s[76:77], v[52:53]
	v_mov_b32_e32 v46, v54
	v_mov_b32_e32 v54, v57
                                        ; implicit-def: $vgpr57
	s_and_saveexec_b64 s[40:41], vcc
	s_xor_b64 s[38:39], exec, s[40:41]
	s_cbranch_execz .LBB6_13231
; %bb.13218:                            ;   in Loop: Header=BB6_10813 Depth=3
	v_and_b32_e32 v52, 0x7fffffff, v1
	v_cmp_gt_u64_e32 vcc, s[78:79], v[52:53]
	v_and_b32_sdwa v3, v1, s82 dst_sel:DWORD dst_unused:UNUSED_PAD src0_sel:BYTE_3 src1_sel:DWORD
                                        ; implicit-def: $vgpr57
	s_and_saveexec_b64 s[40:41], vcc
	s_xor_b64 s[48:49], exec, s[40:41]
	s_cbranch_execz .LBB6_13228
; %bb.13219:                            ;   in Loop: Header=BB6_10813 Depth=3
	v_mov_b32_e32 v57, 0
	v_cmp_ne_u32_e32 vcc, 0, v1
	s_and_saveexec_b64 s[50:51], vcc
	s_cbranch_execz .LBB6_13227
; %bb.13220:                            ;   in Loop: Header=BB6_10813 Depth=3
	v_bfe_u32 v38, v1, 23, 8
	v_and_b32_e32 v0, 0x7fffff, v1
	v_cmp_gt_u32_e64 s[40:41], s85, v38
	v_sub_u32_e32 v1, 0x79, v38
	v_cmp_eq_u32_e32 vcc, 0, v38
	v_cndmask_b32_e64 v1, 0, v1, s[40:41]
	v_mov_b32_e32 v36, 0x78
	v_or_b32_e32 v2, 0x800000, v0
	v_cndmask_b32_e32 v39, v1, v36, vcc
	v_cndmask_b32_e32 v52, v2, v0, vcc
	v_add_u32_e32 v0, 20, v39
	v_lshlrev_b64 v[0:1], v0, -1
	v_add_u32_e32 v2, 19, v39
	v_lshlrev_b64 v[36:37], v2, 1
	v_bfi_b32 v1, v1, 0, 0
	v_bfi_b32 v0, v0, 0, v52
	v_cmp_eq_u64_e64 s[40:41], v[0:1], v[36:37]
	v_lshrrev_b64 v[0:1], v39, v[52:53]
	v_mov_b32_e32 v2, v1
	v_mov_b32_e32 v1, v0
	s_and_saveexec_b64 s[52:53], s[40:41]
; %bb.13221:                            ;   in Loop: Header=BB6_10813 Depth=3
	v_bfe_u32 v1, v0, 20, 1
	v_add_co_u32_e64 v1, s[40:41], v0, v1
	v_add_co_u32_e64 v1, s[40:41], -1, v1
; %bb.13222:                            ;   in Loop: Header=BB6_10813 Depth=3
	s_or_b64 exec, exec, s[52:53]
	v_add_u32_e32 v2, 0xffffff81, v38
	v_mov_b32_e32 v36, 0xffffff82
	v_cndmask_b32_e32 v2, v2, v36, vcc
	v_lshrrev_b32_e32 v36, 23, v0
	v_add3_u32 v39, v39, v2, v36
	v_add_u32_e32 v38, 6, v39
	v_and_b32_e32 v1, 0xfffff, v1
	v_add_u32_e32 v52, v1, v0
	v_cmp_ne_u32_e32 vcc, 0, v38
                                        ; implicit-def: $vgpr0_vgpr1
                                        ; implicit-def: $vgpr2
	s_and_saveexec_b64 s[40:41], vcc
	s_xor_b64 s[40:41], exec, s[40:41]
; %bb.13223:                            ;   in Loop: Header=BB6_10813 Depth=3
	v_cmp_lt_u64_e32 vcc, s[88:89], v[52:53]
	v_add_u32_e32 v0, 7, v39
	v_cndmask_b32_e32 v2, v38, v0, vcc
	v_cndmask_b32_e64 v0, 0, 1, vcc
	v_lshrrev_b64 v[0:1], v0, v[52:53]
; %bb.13224:                            ;   in Loop: Header=BB6_10813 Depth=3
	s_andn2_saveexec_b64 s[40:41], s[40:41]
; %bb.13225:                            ;   in Loop: Header=BB6_10813 Depth=3
	v_mov_b32_e32 v0, v52
	v_bfe_u32 v2, v52, 23, 1
	v_mov_b32_e32 v1, v53
; %bb.13226:                            ;   in Loop: Header=BB6_10813 Depth=3
	s_or_b64 exec, exec, s[40:41]
	v_lshrrev_b64 v[0:1], 20, v[0:1]
	v_cmp_gt_i32_e32 vcc, 16, v2
	v_cndmask_b32_e32 v1, 0, v1, vcc
	v_cndmask_b32_e32 v0, 7, v0, vcc
	v_cmp_eq_u64_e64 s[40:41], 0, v[0:1]
	v_min_i32_e32 v1, 15, v2
	v_lshlrev_b32_e32 v1, 3, v1
	v_cmp_eq_u32_e32 vcc, 0, v2
	v_and_b32_e32 v1, 0xf8, v1
	v_and_or_b32 v0, v0, 7, v1
	s_and_b64 s[40:41], vcc, s[40:41]
	v_cndmask_b32_e64 v0, v0, 0, s[40:41]
	v_or_b32_e32 v57, v0, v3
.LBB6_13227:                            ;   in Loop: Header=BB6_10813 Depth=3
	s_or_b64 exec, exec, s[50:51]
                                        ; implicit-def: $vgpr3
.LBB6_13228:                            ;   in Loop: Header=BB6_10813 Depth=3
	s_andn2_saveexec_b64 s[40:41], s[48:49]
; %bb.13229:                            ;   in Loop: Header=BB6_10813 Depth=3
	v_or_b32_e32 v57, 0x7e, v3
; %bb.13230:                            ;   in Loop: Header=BB6_10813 Depth=3
	s_or_b64 exec, exec, s[40:41]
                                        ; implicit-def: $vgpr1
.LBB6_13231:                            ;   in Loop: Header=BB6_10813 Depth=3
	s_andn2_saveexec_b64 s[40:41], s[38:39]
; %bb.13232:                            ;   in Loop: Header=BB6_10813 Depth=3
	v_or_b32_sdwa v57, v1, s83 dst_sel:DWORD dst_unused:UNUSED_PAD src0_sel:BYTE_3 src1_sel:DWORD
; %bb.13233:                            ;   in Loop: Header=BB6_10813 Depth=3
	s_or_b64 exec, exec, s[40:41]
	v_cmp_lt_u64_e64 s[40:41], s[62:63], v[12:13]
	v_lshrrev_b32_e32 v2, 24, v13
	v_lshrrev_b32_e32 v0, 24, v9
	s_and_b64 vcc, exec, s[28:29]
	s_mov_b64 s[38:39], -1
                                        ; implicit-def: $vgpr1
	s_cbranch_vccnz .LBB6_13247
; %bb.13234:                            ;   in Loop: Header=BB6_10813 Depth=3
	v_mov_b32_e32 v3, 0
	v_mov_b32_e32 v1, 0
	s_and_saveexec_b64 s[38:39], s[40:41]
	s_cbranch_execz .LBB6_13240
; %bb.13235:                            ;   in Loop: Header=BB6_10813 Depth=3
	v_cmp_ne_u32_e32 vcc, s82, v2
	v_bfrev_b32_e32 v1, 1
	s_and_saveexec_b64 s[48:49], vcc
	s_cbranch_execz .LBB6_13239
; %bb.13236:                            ;   in Loop: Header=BB6_10813 Depth=3
	v_bfe_u32 v12, v13, 24, 7
	v_cmp_ne_u32_e32 vcc, s83, v12
	v_mov_b32_e32 v1, 0x7f800001
	s_and_saveexec_b64 s[50:51], vcc
	s_cbranch_execz .LBB6_13238
; %bb.13237:                            ;   in Loop: Header=BB6_10813 Depth=3
	v_and_b32_e32 v1, 7, v2
	v_lshrrev_b32_e32 v38, 3, v12
	v_cmp_gt_u32_e32 vcc, 8, v12
	v_ffbh_u32_e32 v12, v1
	v_min_u32_e32 v12, 32, v12
	v_subrev_u32_e32 v36, 28, v12
	v_lshlrev_b64 v[36:37], v36, v[2:3]
	v_sub_u32_e32 v12, 29, v12
	v_and_b32_e32 v36, 7, v36
	v_cndmask_b32_e32 v12, v38, v12, vcc
	v_cndmask_b32_e32 v1, v1, v36, vcc
	v_lshlrev_b32_e32 v36, 24, v2
	v_bfrev_b32_e32 v37, 60
	v_lshlrev_b32_e32 v1, 20, v1
	v_and_b32_e32 v36, 0x80000000, v36
	v_lshl_add_u32 v12, v12, 23, v37
	v_or3_b32 v1, v36, v12, v1
.LBB6_13238:                            ;   in Loop: Header=BB6_10813 Depth=3
	s_or_b64 exec, exec, s[50:51]
.LBB6_13239:                            ;   in Loop: Header=BB6_10813 Depth=3
	s_or_b64 exec, exec, s[48:49]
.LBB6_13240:                            ;   in Loop: Header=BB6_10813 Depth=3
	s_or_b64 exec, exec, s[38:39]
	v_cmp_lt_u64_e32 vcc, s[62:63], v[8:9]
	s_and_saveexec_b64 s[38:39], vcc
	s_cbranch_execz .LBB6_13246
; %bb.13241:                            ;   in Loop: Header=BB6_10813 Depth=3
	v_cmp_ne_u32_e32 vcc, s82, v0
	v_bfrev_b32_e32 v3, 1
	s_and_saveexec_b64 s[48:49], vcc
	s_cbranch_execz .LBB6_13245
; %bb.13242:                            ;   in Loop: Header=BB6_10813 Depth=3
	v_bfe_u32 v12, v9, 24, 7
	v_cmp_ne_u32_e32 vcc, s83, v12
	v_mov_b32_e32 v3, 0x7f800001
	s_and_saveexec_b64 s[50:51], vcc
	s_cbranch_execz .LBB6_13244
; %bb.13243:                            ;   in Loop: Header=BB6_10813 Depth=3
	v_and_b32_e32 v3, 7, v0
	v_lshrrev_b32_e32 v38, 3, v12
	v_cmp_gt_u32_e32 vcc, 8, v12
	v_ffbh_u32_e32 v12, v3
	v_min_u32_e32 v12, 32, v12
	v_subrev_u32_e32 v36, 28, v12
	v_lshlrev_b64 v[36:37], v36, v[0:1]
	v_sub_u32_e32 v12, 29, v12
	v_and_b32_e32 v36, 7, v36
	v_cndmask_b32_e32 v12, v38, v12, vcc
	v_cndmask_b32_e32 v3, v3, v36, vcc
	v_lshlrev_b32_e32 v36, 24, v0
	v_bfrev_b32_e32 v37, 60
	v_lshlrev_b32_e32 v3, 20, v3
	v_and_b32_e32 v36, 0x80000000, v36
	v_lshl_add_u32 v12, v12, 23, v37
	v_or3_b32 v3, v36, v12, v3
.LBB6_13244:                            ;   in Loop: Header=BB6_10813 Depth=3
	s_or_b64 exec, exec, s[50:51]
.LBB6_13245:                            ;   in Loop: Header=BB6_10813 Depth=3
	s_or_b64 exec, exec, s[48:49]
.LBB6_13246:                            ;   in Loop: Header=BB6_10813 Depth=3
	s_or_b64 exec, exec, s[38:39]
	v_max_f32_e32 v3, v3, v3
	v_max_f32_e32 v1, v1, v1
	v_max_f32_e32 v1, v1, v3
	s_mov_b64 s[38:39], 0
.LBB6_13247:                            ;   in Loop: Header=BB6_10813 Depth=3
	s_and_b64 vcc, exec, s[38:39]
	s_cbranch_vccz .LBB6_13261
; %bb.13248:                            ;   in Loop: Header=BB6_10813 Depth=3
	v_mov_b32_e32 v3, 0
	v_mov_b32_e32 v1, 0
	s_and_saveexec_b64 s[38:39], s[40:41]
	s_cbranch_execz .LBB6_13254
; %bb.13249:                            ;   in Loop: Header=BB6_10813 Depth=3
	v_cmp_ne_u32_e32 vcc, s82, v2
	v_bfrev_b32_e32 v1, 1
	s_and_saveexec_b64 s[40:41], vcc
	s_cbranch_execz .LBB6_13253
; %bb.13250:                            ;   in Loop: Header=BB6_10813 Depth=3
	v_bfe_u32 v12, v13, 24, 7
	v_cmp_ne_u32_e32 vcc, s83, v12
	v_mov_b32_e32 v1, 0x7f800001
	s_and_saveexec_b64 s[48:49], vcc
	s_cbranch_execz .LBB6_13252
; %bb.13251:                            ;   in Loop: Header=BB6_10813 Depth=3
	v_and_b32_e32 v1, 7, v2
	v_lshrrev_b32_e32 v36, 3, v12
	v_cmp_gt_u32_e32 vcc, 8, v12
	v_ffbh_u32_e32 v12, v1
	v_min_u32_e32 v37, 32, v12
	v_subrev_u32_e32 v12, 28, v37
	v_lshlrev_b64 v[12:13], v12, v[2:3]
	v_sub_u32_e32 v13, 29, v37
	v_and_b32_e32 v12, 7, v12
	v_cndmask_b32_e32 v13, v36, v13, vcc
	v_cndmask_b32_e32 v1, v1, v12, vcc
	v_lshlrev_b32_e32 v2, 24, v2
	v_bfrev_b32_e32 v12, 60
	v_lshlrev_b32_e32 v1, 20, v1
	v_and_b32_e32 v2, 0x80000000, v2
	v_lshl_add_u32 v12, v13, 23, v12
	v_or3_b32 v1, v2, v12, v1
.LBB6_13252:                            ;   in Loop: Header=BB6_10813 Depth=3
	s_or_b64 exec, exec, s[48:49]
.LBB6_13253:                            ;   in Loop: Header=BB6_10813 Depth=3
	s_or_b64 exec, exec, s[40:41]
.LBB6_13254:                            ;   in Loop: Header=BB6_10813 Depth=3
	s_or_b64 exec, exec, s[38:39]
	v_cmp_lt_u64_e32 vcc, s[62:63], v[8:9]
	s_and_saveexec_b64 s[40:41], vcc
	s_cbranch_execz .LBB6_13260
; %bb.13255:                            ;   in Loop: Header=BB6_10813 Depth=3
	v_cmp_ne_u32_e32 vcc, s82, v0
	v_bfrev_b32_e32 v3, 1
	s_and_saveexec_b64 s[38:39], vcc
	s_cbranch_execz .LBB6_13259
; %bb.13256:                            ;   in Loop: Header=BB6_10813 Depth=3
	v_bfe_u32 v2, v9, 24, 7
	v_cmp_ne_u32_e32 vcc, s83, v2
	v_mov_b32_e32 v3, 0x7f800001
	s_and_saveexec_b64 s[48:49], vcc
	s_cbranch_execz .LBB6_13258
; %bb.13257:                            ;   in Loop: Header=BB6_10813 Depth=3
	v_and_b32_e32 v8, 7, v0
	v_lshrrev_b32_e32 v9, 3, v2
	v_cmp_gt_u32_e32 vcc, 8, v2
	v_ffbh_u32_e32 v2, v8
	v_min_u32_e32 v12, 32, v2
	v_subrev_u32_e32 v2, 28, v12
	v_lshlrev_b64 v[2:3], v2, v[0:1]
	v_sub_u32_e32 v3, 29, v12
	v_and_b32_e32 v2, 7, v2
	v_cndmask_b32_e32 v3, v9, v3, vcc
	v_cndmask_b32_e32 v2, v8, v2, vcc
	v_lshlrev_b32_e32 v0, 24, v0
	v_bfrev_b32_e32 v8, 60
	v_lshlrev_b32_e32 v2, 20, v2
	v_and_b32_e32 v0, 0x80000000, v0
	v_lshl_add_u32 v3, v3, 23, v8
	v_or3_b32 v3, v0, v3, v2
.LBB6_13258:                            ;   in Loop: Header=BB6_10813 Depth=3
	s_or_b64 exec, exec, s[48:49]
.LBB6_13259:                            ;   in Loop: Header=BB6_10813 Depth=3
	s_or_b64 exec, exec, s[38:39]
.LBB6_13260:                            ;   in Loop: Header=BB6_10813 Depth=3
	s_or_b64 exec, exec, s[40:41]
	v_max_f32_e32 v0, v3, v3
	v_max_f32_e32 v1, v1, v1
	v_min_f32_e32 v1, v1, v0
.LBB6_13261:                            ;   in Loop: Header=BB6_10813 Depth=3
	v_and_b32_e32 v52, 0x7f800000, v1
	v_cmp_ne_u64_e32 vcc, s[76:77], v[52:53]
                                        ; implicit-def: $vgpr12
	s_and_saveexec_b64 s[40:41], vcc
	s_xor_b64 s[38:39], exec, s[40:41]
	s_cbranch_execz .LBB6_13275
; %bb.13262:                            ;   in Loop: Header=BB6_10813 Depth=3
	v_and_b32_e32 v52, 0x7fffffff, v1
	v_cmp_gt_u64_e32 vcc, s[78:79], v[52:53]
	v_and_b32_sdwa v3, v1, s82 dst_sel:DWORD dst_unused:UNUSED_PAD src0_sel:BYTE_3 src1_sel:DWORD
                                        ; implicit-def: $vgpr12
	s_and_saveexec_b64 s[40:41], vcc
	s_xor_b64 s[48:49], exec, s[40:41]
	s_cbranch_execz .LBB6_13272
; %bb.13263:                            ;   in Loop: Header=BB6_10813 Depth=3
	v_mov_b32_e32 v12, 0
	v_cmp_ne_u32_e32 vcc, 0, v1
	s_and_saveexec_b64 s[50:51], vcc
	s_cbranch_execz .LBB6_13271
; %bb.13264:                            ;   in Loop: Header=BB6_10813 Depth=3
	v_bfe_u32 v8, v1, 23, 8
	v_and_b32_e32 v0, 0x7fffff, v1
	v_cmp_gt_u32_e64 s[40:41], s85, v8
	v_sub_u32_e32 v1, 0x79, v8
	v_cmp_eq_u32_e32 vcc, 0, v8
	v_cndmask_b32_e64 v1, 0, v1, s[40:41]
	v_mov_b32_e32 v9, 0x78
	v_or_b32_e32 v2, 0x800000, v0
	v_cndmask_b32_e32 v9, v1, v9, vcc
	v_cndmask_b32_e32 v52, v2, v0, vcc
	v_add_u32_e32 v0, 20, v9
	v_lshlrev_b64 v[0:1], v0, -1
	v_add_u32_e32 v2, 19, v9
	v_lshlrev_b64 v[12:13], v2, 1
	v_bfi_b32 v1, v1, 0, 0
	v_bfi_b32 v0, v0, 0, v52
	v_cmp_eq_u64_e64 s[40:41], v[0:1], v[12:13]
	v_lshrrev_b64 v[0:1], v9, v[52:53]
	v_mov_b32_e32 v2, v1
	v_mov_b32_e32 v1, v0
	s_and_saveexec_b64 s[52:53], s[40:41]
; %bb.13265:                            ;   in Loop: Header=BB6_10813 Depth=3
	v_bfe_u32 v1, v0, 20, 1
	v_add_co_u32_e64 v1, s[40:41], v0, v1
	v_add_co_u32_e64 v1, s[40:41], -1, v1
; %bb.13266:                            ;   in Loop: Header=BB6_10813 Depth=3
	s_or_b64 exec, exec, s[52:53]
	v_add_u32_e32 v2, 0xffffff81, v8
	v_mov_b32_e32 v8, 0xffffff82
	v_cndmask_b32_e32 v2, v2, v8, vcc
	v_lshrrev_b32_e32 v8, 23, v0
	v_add3_u32 v9, v9, v2, v8
	v_add_u32_e32 v8, 6, v9
	v_and_b32_e32 v1, 0xfffff, v1
	v_add_u32_e32 v52, v1, v0
	v_cmp_ne_u32_e32 vcc, 0, v8
                                        ; implicit-def: $vgpr0_vgpr1
                                        ; implicit-def: $vgpr2
	s_and_saveexec_b64 s[40:41], vcc
	s_xor_b64 s[40:41], exec, s[40:41]
; %bb.13267:                            ;   in Loop: Header=BB6_10813 Depth=3
	v_cmp_lt_u64_e32 vcc, s[88:89], v[52:53]
	v_add_u32_e32 v0, 7, v9
	v_cndmask_b32_e32 v2, v8, v0, vcc
	v_cndmask_b32_e64 v0, 0, 1, vcc
	v_lshrrev_b64 v[0:1], v0, v[52:53]
; %bb.13268:                            ;   in Loop: Header=BB6_10813 Depth=3
	s_andn2_saveexec_b64 s[40:41], s[40:41]
; %bb.13269:                            ;   in Loop: Header=BB6_10813 Depth=3
	v_mov_b32_e32 v0, v52
	v_bfe_u32 v2, v52, 23, 1
	v_mov_b32_e32 v1, v53
; %bb.13270:                            ;   in Loop: Header=BB6_10813 Depth=3
	s_or_b64 exec, exec, s[40:41]
	v_lshrrev_b64 v[0:1], 20, v[0:1]
	v_cmp_gt_i32_e32 vcc, 16, v2
	v_cndmask_b32_e32 v1, 0, v1, vcc
	v_cndmask_b32_e32 v0, 7, v0, vcc
	v_cmp_eq_u64_e64 s[40:41], 0, v[0:1]
	v_min_i32_e32 v1, 15, v2
	v_lshlrev_b32_e32 v1, 3, v1
	v_cmp_eq_u32_e32 vcc, 0, v2
	v_and_b32_e32 v1, 0xf8, v1
	v_and_or_b32 v0, v0, 7, v1
	s_and_b64 s[40:41], vcc, s[40:41]
	v_cndmask_b32_e64 v0, v0, 0, s[40:41]
	v_or_b32_e32 v12, v0, v3
.LBB6_13271:                            ;   in Loop: Header=BB6_10813 Depth=3
	s_or_b64 exec, exec, s[50:51]
                                        ; implicit-def: $vgpr3
.LBB6_13272:                            ;   in Loop: Header=BB6_10813 Depth=3
	s_andn2_saveexec_b64 s[40:41], s[48:49]
; %bb.13273:                            ;   in Loop: Header=BB6_10813 Depth=3
	v_or_b32_e32 v12, 0x7e, v3
; %bb.13274:                            ;   in Loop: Header=BB6_10813 Depth=3
	s_or_b64 exec, exec, s[40:41]
                                        ; implicit-def: $vgpr1
.LBB6_13275:                            ;   in Loop: Header=BB6_10813 Depth=3
	s_andn2_saveexec_b64 s[40:41], s[38:39]
; %bb.13276:                            ;   in Loop: Header=BB6_10813 Depth=3
	v_or_b32_sdwa v12, v1, s83 dst_sel:DWORD dst_unused:UNUSED_PAD src0_sel:BYTE_3 src1_sel:DWORD
; %bb.13277:                            ;   in Loop: Header=BB6_10813 Depth=3
	s_or_b64 exec, exec, s[40:41]
	v_cmp_ne_u16_sdwa s[40:41], v14, v53 src0_sel:BYTE_0 src1_sel:DWORD
	s_and_b64 vcc, exec, s[28:29]
	s_mov_b64 s[38:39], -1
                                        ; implicit-def: $vgpr0
	s_cbranch_vccnz .LBB6_13291
; %bb.13278:                            ;   in Loop: Header=BB6_10813 Depth=3
	v_mov_b32_e32 v1, 0
	v_mov_b32_e32 v0, 0
	s_and_saveexec_b64 s[38:39], s[40:41]
	s_cbranch_execz .LBB6_13284
; %bb.13279:                            ;   in Loop: Header=BB6_10813 Depth=3
	v_cmp_ne_u16_sdwa vcc, v14, s82 src0_sel:BYTE_0 src1_sel:DWORD
	v_bfrev_b32_e32 v0, 1
	s_and_saveexec_b64 s[48:49], vcc
	s_cbranch_execz .LBB6_13283
; %bb.13280:                            ;   in Loop: Header=BB6_10813 Depth=3
	v_and_b32_e32 v2, 0x7f, v14
	v_cmp_ne_u32_e32 vcc, s83, v2
	v_mov_b32_e32 v0, 0x7f800001
	s_and_saveexec_b64 s[50:51], vcc
	s_cbranch_execz .LBB6_13282
; %bb.13281:                            ;   in Loop: Header=BB6_10813 Depth=3
	v_and_b32_e32 v0, 7, v14
	v_ffbh_u32_e32 v0, v0
	v_min_u32_e32 v0, 32, v0
	v_lshrrev_b32_e32 v3, 3, v2
	v_cmp_gt_u32_e32 vcc, 8, v2
	v_subrev_u32_e32 v2, 28, v0
	v_sub_u32_e32 v0, 29, v0
	v_cndmask_b32_e32 v2, 0, v2, vcc
	v_cndmask_b32_e32 v0, v3, v0, vcc
	v_lshlrev_b64 v[2:3], v2, v[14:15]
	v_lshlrev_b32_e32 v3, 24, v14
	v_lshlrev_b32_e32 v2, 20, v2
	v_bfrev_b32_e32 v8, 60
	v_and_b32_e32 v2, 0x700000, v2
	v_and_b32_e32 v3, 0x80000000, v3
	v_lshl_add_u32 v0, v0, 23, v8
	v_or3_b32 v0, v3, v0, v2
.LBB6_13282:                            ;   in Loop: Header=BB6_10813 Depth=3
	s_or_b64 exec, exec, s[50:51]
.LBB6_13283:                            ;   in Loop: Header=BB6_10813 Depth=3
	s_or_b64 exec, exec, s[48:49]
.LBB6_13284:                            ;   in Loop: Header=BB6_10813 Depth=3
	s_or_b64 exec, exec, s[38:39]
	v_cmp_ne_u16_sdwa vcc, v10, v53 src0_sel:BYTE_0 src1_sel:DWORD
	s_and_saveexec_b64 s[38:39], vcc
	s_cbranch_execz .LBB6_13290
; %bb.13285:                            ;   in Loop: Header=BB6_10813 Depth=3
	v_cmp_ne_u16_sdwa vcc, v10, s82 src0_sel:BYTE_0 src1_sel:DWORD
	v_bfrev_b32_e32 v1, 1
	s_and_saveexec_b64 s[48:49], vcc
	s_cbranch_execz .LBB6_13289
; %bb.13286:                            ;   in Loop: Header=BB6_10813 Depth=3
	v_and_b32_e32 v2, 0x7f, v10
	v_cmp_ne_u32_e32 vcc, s83, v2
	v_mov_b32_e32 v1, 0x7f800001
	s_and_saveexec_b64 s[50:51], vcc
	s_cbranch_execz .LBB6_13288
; %bb.13287:                            ;   in Loop: Header=BB6_10813 Depth=3
	v_and_b32_e32 v1, 7, v10
	v_ffbh_u32_e32 v1, v1
	v_min_u32_e32 v1, 32, v1
	v_lshrrev_b32_e32 v3, 3, v2
	v_cmp_gt_u32_e32 vcc, 8, v2
	v_subrev_u32_e32 v2, 28, v1
	v_sub_u32_e32 v1, 29, v1
	v_cndmask_b32_e32 v3, v3, v1, vcc
	v_cndmask_b32_e32 v1, 0, v2, vcc
	v_lshlrev_b64 v[1:2], v1, v[10:11]
	v_lshlrev_b32_e32 v2, 24, v10
	v_lshlrev_b32_e32 v1, 20, v1
	v_bfrev_b32_e32 v8, 60
	v_and_b32_e32 v1, 0x700000, v1
	v_and_b32_e32 v2, 0x80000000, v2
	v_lshl_add_u32 v3, v3, 23, v8
	v_or3_b32 v1, v2, v3, v1
.LBB6_13288:                            ;   in Loop: Header=BB6_10813 Depth=3
	s_or_b64 exec, exec, s[50:51]
.LBB6_13289:                            ;   in Loop: Header=BB6_10813 Depth=3
	s_or_b64 exec, exec, s[48:49]
.LBB6_13290:                            ;   in Loop: Header=BB6_10813 Depth=3
	s_or_b64 exec, exec, s[38:39]
	v_max_f32_e32 v1, v1, v1
	v_max_f32_e32 v0, v0, v0
	;; [unrolled: 1-line block ×3, first 2 shown]
	s_mov_b64 s[38:39], 0
.LBB6_13291:                            ;   in Loop: Header=BB6_10813 Depth=3
	s_and_b64 vcc, exec, s[38:39]
	s_cbranch_vccz .LBB6_13305
; %bb.13292:                            ;   in Loop: Header=BB6_10813 Depth=3
	v_mov_b32_e32 v1, 0
	v_mov_b32_e32 v0, 0
	s_and_saveexec_b64 s[38:39], s[40:41]
	s_cbranch_execz .LBB6_13298
; %bb.13293:                            ;   in Loop: Header=BB6_10813 Depth=3
	v_cmp_ne_u16_sdwa vcc, v14, s82 src0_sel:BYTE_0 src1_sel:DWORD
	v_bfrev_b32_e32 v0, 1
	s_and_saveexec_b64 s[40:41], vcc
	s_cbranch_execz .LBB6_13297
; %bb.13294:                            ;   in Loop: Header=BB6_10813 Depth=3
	v_and_b32_e32 v2, 0x7f, v14
	v_cmp_ne_u32_e32 vcc, s83, v2
	v_mov_b32_e32 v0, 0x7f800001
	s_and_saveexec_b64 s[48:49], vcc
	s_cbranch_execz .LBB6_13296
; %bb.13295:                            ;   in Loop: Header=BB6_10813 Depth=3
	v_and_b32_e32 v0, 7, v14
	v_ffbh_u32_e32 v0, v0
	v_min_u32_e32 v0, 32, v0
	v_lshrrev_b32_e32 v3, 3, v2
	v_cmp_gt_u32_e32 vcc, 8, v2
	v_subrev_u32_e32 v2, 28, v0
	v_sub_u32_e32 v0, 29, v0
	v_cndmask_b32_e32 v2, 0, v2, vcc
	v_cndmask_b32_e32 v0, v3, v0, vcc
	v_lshlrev_b64 v[2:3], v2, v[14:15]
	v_lshlrev_b32_e32 v3, 24, v14
	v_lshlrev_b32_e32 v2, 20, v2
	v_bfrev_b32_e32 v8, 60
	v_and_b32_e32 v2, 0x700000, v2
	v_and_b32_e32 v3, 0x80000000, v3
	v_lshl_add_u32 v0, v0, 23, v8
	v_or3_b32 v0, v3, v0, v2
.LBB6_13296:                            ;   in Loop: Header=BB6_10813 Depth=3
	s_or_b64 exec, exec, s[48:49]
.LBB6_13297:                            ;   in Loop: Header=BB6_10813 Depth=3
	s_or_b64 exec, exec, s[40:41]
.LBB6_13298:                            ;   in Loop: Header=BB6_10813 Depth=3
	s_or_b64 exec, exec, s[38:39]
	v_cmp_ne_u16_sdwa vcc, v10, v53 src0_sel:BYTE_0 src1_sel:DWORD
	s_and_saveexec_b64 s[40:41], vcc
	s_cbranch_execz .LBB6_13304
; %bb.13299:                            ;   in Loop: Header=BB6_10813 Depth=3
	v_cmp_ne_u16_sdwa vcc, v10, s82 src0_sel:BYTE_0 src1_sel:DWORD
	v_bfrev_b32_e32 v1, 1
	s_and_saveexec_b64 s[38:39], vcc
	s_cbranch_execz .LBB6_13303
; %bb.13300:                            ;   in Loop: Header=BB6_10813 Depth=3
	v_and_b32_e32 v2, 0x7f, v10
	v_cmp_ne_u32_e32 vcc, s83, v2
	v_mov_b32_e32 v1, 0x7f800001
	s_and_saveexec_b64 s[48:49], vcc
	s_cbranch_execz .LBB6_13302
; %bb.13301:                            ;   in Loop: Header=BB6_10813 Depth=3
	v_and_b32_e32 v1, 7, v10
	v_ffbh_u32_e32 v1, v1
	v_min_u32_e32 v1, 32, v1
	v_lshrrev_b32_e32 v3, 3, v2
	v_cmp_gt_u32_e32 vcc, 8, v2
	v_subrev_u32_e32 v2, 28, v1
	v_sub_u32_e32 v1, 29, v1
	v_cndmask_b32_e32 v3, v3, v1, vcc
	v_cndmask_b32_e32 v1, 0, v2, vcc
	v_lshlrev_b64 v[1:2], v1, v[10:11]
	v_lshlrev_b32_e32 v2, 24, v10
	v_lshlrev_b32_e32 v1, 20, v1
	v_bfrev_b32_e32 v8, 60
	v_and_b32_e32 v1, 0x700000, v1
	v_and_b32_e32 v2, 0x80000000, v2
	v_lshl_add_u32 v3, v3, 23, v8
	v_or3_b32 v1, v2, v3, v1
.LBB6_13302:                            ;   in Loop: Header=BB6_10813 Depth=3
	s_or_b64 exec, exec, s[48:49]
.LBB6_13303:                            ;   in Loop: Header=BB6_10813 Depth=3
	s_or_b64 exec, exec, s[38:39]
.LBB6_13304:                            ;   in Loop: Header=BB6_10813 Depth=3
	s_or_b64 exec, exec, s[40:41]
	v_max_f32_e32 v1, v1, v1
	v_max_f32_e32 v0, v0, v0
	v_min_f32_e32 v0, v0, v1
.LBB6_13305:                            ;   in Loop: Header=BB6_10813 Depth=3
	v_and_b32_e32 v52, 0x7f800000, v0
	v_cmp_ne_u64_e32 vcc, s[76:77], v[52:53]
                                        ; implicit-def: $vgpr13
	s_and_saveexec_b64 s[40:41], vcc
	s_xor_b64 s[38:39], exec, s[40:41]
	s_cbranch_execz .LBB6_13319
; %bb.13306:                            ;   in Loop: Header=BB6_10813 Depth=3
	v_and_b32_e32 v52, 0x7fffffff, v0
	v_cmp_gt_u64_e32 vcc, s[78:79], v[52:53]
	v_and_b32_sdwa v3, v0, s82 dst_sel:DWORD dst_unused:UNUSED_PAD src0_sel:BYTE_3 src1_sel:DWORD
                                        ; implicit-def: $vgpr13
	s_and_saveexec_b64 s[40:41], vcc
	s_xor_b64 s[48:49], exec, s[40:41]
	s_cbranch_execz .LBB6_13316
; %bb.13307:                            ;   in Loop: Header=BB6_10813 Depth=3
	v_mov_b32_e32 v13, 0
	v_cmp_ne_u32_e32 vcc, 0, v0
	s_and_saveexec_b64 s[50:51], vcc
	s_cbranch_execz .LBB6_13315
; %bb.13308:                            ;   in Loop: Header=BB6_10813 Depth=3
	v_bfe_u32 v8, v0, 23, 8
	v_and_b32_e32 v1, 0x7fffff, v0
	v_cmp_gt_u32_e64 s[40:41], s85, v8
	v_sub_u32_e32 v0, 0x79, v8
	v_cmp_eq_u32_e32 vcc, 0, v8
	v_cndmask_b32_e64 v0, 0, v0, s[40:41]
	v_mov_b32_e32 v9, 0x78
	v_cndmask_b32_e32 v9, v0, v9, vcc
	v_or_b32_e32 v2, 0x800000, v1
	v_add_u32_e32 v0, 20, v9
	v_cndmask_b32_e32 v52, v2, v1, vcc
	v_lshlrev_b64 v[0:1], v0, -1
	v_add_u32_e32 v2, 19, v9
	v_lshlrev_b64 v[36:37], v2, 1
	v_bfi_b32 v1, v1, 0, 0
	v_bfi_b32 v0, v0, 0, v52
	v_cmp_eq_u64_e64 s[40:41], v[0:1], v[36:37]
	v_lshrrev_b64 v[0:1], v9, v[52:53]
	v_mov_b32_e32 v2, v1
	v_mov_b32_e32 v1, v0
	s_and_saveexec_b64 s[52:53], s[40:41]
; %bb.13309:                            ;   in Loop: Header=BB6_10813 Depth=3
	v_bfe_u32 v1, v0, 20, 1
	v_add_co_u32_e64 v1, s[40:41], v0, v1
	v_add_co_u32_e64 v1, s[40:41], -1, v1
; %bb.13310:                            ;   in Loop: Header=BB6_10813 Depth=3
	s_or_b64 exec, exec, s[52:53]
	v_add_u32_e32 v2, 0xffffff81, v8
	v_mov_b32_e32 v8, 0xffffff82
	v_cndmask_b32_e32 v2, v2, v8, vcc
	v_lshrrev_b32_e32 v8, 23, v0
	v_add3_u32 v9, v9, v2, v8
	v_add_u32_e32 v8, 6, v9
	v_and_b32_e32 v1, 0xfffff, v1
	v_add_u32_e32 v52, v1, v0
	v_cmp_ne_u32_e32 vcc, 0, v8
                                        ; implicit-def: $vgpr0_vgpr1
                                        ; implicit-def: $vgpr2
	s_and_saveexec_b64 s[40:41], vcc
	s_xor_b64 s[40:41], exec, s[40:41]
; %bb.13311:                            ;   in Loop: Header=BB6_10813 Depth=3
	v_cmp_lt_u64_e32 vcc, s[88:89], v[52:53]
	v_add_u32_e32 v0, 7, v9
	v_cndmask_b32_e32 v2, v8, v0, vcc
	v_cndmask_b32_e64 v0, 0, 1, vcc
	v_lshrrev_b64 v[0:1], v0, v[52:53]
; %bb.13312:                            ;   in Loop: Header=BB6_10813 Depth=3
	s_andn2_saveexec_b64 s[40:41], s[40:41]
; %bb.13313:                            ;   in Loop: Header=BB6_10813 Depth=3
	v_mov_b32_e32 v0, v52
	v_bfe_u32 v2, v52, 23, 1
	v_mov_b32_e32 v1, v53
; %bb.13314:                            ;   in Loop: Header=BB6_10813 Depth=3
	s_or_b64 exec, exec, s[40:41]
	v_lshrrev_b64 v[0:1], 20, v[0:1]
	v_cmp_gt_i32_e32 vcc, 16, v2
	v_cndmask_b32_e32 v1, 0, v1, vcc
	v_cndmask_b32_e32 v0, 7, v0, vcc
	v_cmp_eq_u64_e64 s[40:41], 0, v[0:1]
	v_min_i32_e32 v1, 15, v2
	v_lshlrev_b32_e32 v1, 3, v1
	v_cmp_eq_u32_e32 vcc, 0, v2
	v_and_b32_e32 v1, 0xf8, v1
	v_and_or_b32 v0, v0, 7, v1
	s_and_b64 s[40:41], vcc, s[40:41]
	v_cndmask_b32_e64 v0, v0, 0, s[40:41]
	v_or_b32_e32 v13, v0, v3
.LBB6_13315:                            ;   in Loop: Header=BB6_10813 Depth=3
	s_or_b64 exec, exec, s[50:51]
                                        ; implicit-def: $vgpr3
.LBB6_13316:                            ;   in Loop: Header=BB6_10813 Depth=3
	s_andn2_saveexec_b64 s[40:41], s[48:49]
; %bb.13317:                            ;   in Loop: Header=BB6_10813 Depth=3
	v_or_b32_e32 v13, 0x7e, v3
; %bb.13318:                            ;   in Loop: Header=BB6_10813 Depth=3
	s_or_b64 exec, exec, s[40:41]
                                        ; implicit-def: $vgpr0
.LBB6_13319:                            ;   in Loop: Header=BB6_10813 Depth=3
	s_andn2_saveexec_b64 s[40:41], s[38:39]
; %bb.13320:                            ;   in Loop: Header=BB6_10813 Depth=3
	v_or_b32_sdwa v13, v0, s83 dst_sel:DWORD dst_unused:UNUSED_PAD src0_sel:BYTE_3 src1_sel:DWORD
; %bb.13321:                            ;   in Loop: Header=BB6_10813 Depth=3
	s_or_b64 exec, exec, s[40:41]
	v_lshrrev_b16_e32 v2, 8, v14
	v_lshrrev_b16_e32 v0, 8, v10
	v_cmp_ne_u16_e64 s[40:41], 0, v2
	s_and_b64 vcc, exec, s[28:29]
	s_mov_b64 s[38:39], -1
                                        ; implicit-def: $vgpr1
	s_cbranch_vccnz .LBB6_13335
; %bb.13322:                            ;   in Loop: Header=BB6_10813 Depth=3
	v_mov_b32_e32 v3, 0
	v_mov_b32_e32 v1, 0
	s_and_saveexec_b64 s[38:39], s[40:41]
	s_cbranch_execz .LBB6_13328
; %bb.13323:                            ;   in Loop: Header=BB6_10813 Depth=3
	v_cmp_ne_u16_e32 vcc, s82, v2
	v_bfrev_b32_e32 v1, 1
	s_and_saveexec_b64 s[48:49], vcc
	s_cbranch_execz .LBB6_13327
; %bb.13324:                            ;   in Loop: Header=BB6_10813 Depth=3
	v_and_b32_e32 v8, 0x7f, v2
	v_cmp_ne_u32_e32 vcc, s83, v8
	v_mov_b32_e32 v1, 0x7f800001
	s_and_saveexec_b64 s[50:51], vcc
	s_cbranch_execz .LBB6_13326
; %bb.13325:                            ;   in Loop: Header=BB6_10813 Depth=3
	v_and_b32_e32 v1, 7, v2
	v_lshrrev_b32_e32 v36, 3, v8
	v_cmp_gt_u32_e32 vcc, 8, v8
	v_ffbh_u32_e32 v8, v1
	v_min_u32_e32 v37, 32, v8
	v_subrev_u32_e32 v8, 28, v37
	v_lshlrev_b64 v[8:9], v8, v[2:3]
	v_sub_u32_e32 v9, 29, v37
	v_and_b32_e32 v8, 7, v8
	v_cndmask_b32_e32 v9, v36, v9, vcc
	v_cndmask_b32_e32 v1, v1, v8, vcc
	v_lshlrev_b32_e32 v8, 16, v14
	v_bfrev_b32_e32 v36, 60
	v_lshlrev_b32_e32 v1, 20, v1
	v_and_b32_e32 v8, 0x80000000, v8
	v_lshl_add_u32 v9, v9, 23, v36
	v_or3_b32 v1, v8, v9, v1
.LBB6_13326:                            ;   in Loop: Header=BB6_10813 Depth=3
	s_or_b64 exec, exec, s[50:51]
.LBB6_13327:                            ;   in Loop: Header=BB6_10813 Depth=3
	s_or_b64 exec, exec, s[48:49]
.LBB6_13328:                            ;   in Loop: Header=BB6_10813 Depth=3
	s_or_b64 exec, exec, s[38:39]
	v_cmp_ne_u16_e32 vcc, 0, v0
	s_and_saveexec_b64 s[38:39], vcc
	s_cbranch_execz .LBB6_13334
; %bb.13329:                            ;   in Loop: Header=BB6_10813 Depth=3
	v_cmp_ne_u16_e32 vcc, s82, v0
	v_bfrev_b32_e32 v3, 1
	s_and_saveexec_b64 s[48:49], vcc
	s_cbranch_execz .LBB6_13333
; %bb.13330:                            ;   in Loop: Header=BB6_10813 Depth=3
	v_and_b32_e32 v8, 0x7f, v0
	v_cmp_ne_u32_e32 vcc, s83, v8
	v_mov_b32_e32 v3, 0x7f800001
	s_and_saveexec_b64 s[50:51], vcc
	s_cbranch_execz .LBB6_13332
; %bb.13331:                            ;   in Loop: Header=BB6_10813 Depth=3
	v_and_b32_e32 v3, 7, v0
	v_lshrrev_b32_e32 v36, 3, v8
	v_cmp_gt_u32_e32 vcc, 8, v8
	v_ffbh_u32_e32 v8, v3
	v_min_u32_e32 v37, 32, v8
	v_subrev_u32_e32 v8, 28, v37
	v_lshlrev_b64 v[8:9], v8, v[0:1]
	v_sub_u32_e32 v9, 29, v37
	v_and_b32_e32 v8, 7, v8
	v_cndmask_b32_e32 v9, v36, v9, vcc
	v_cndmask_b32_e32 v3, v3, v8, vcc
	v_lshlrev_b32_e32 v8, 16, v10
	v_bfrev_b32_e32 v36, 60
	v_lshlrev_b32_e32 v3, 20, v3
	v_and_b32_e32 v8, 0x80000000, v8
	v_lshl_add_u32 v9, v9, 23, v36
	v_or3_b32 v3, v8, v9, v3
.LBB6_13332:                            ;   in Loop: Header=BB6_10813 Depth=3
	s_or_b64 exec, exec, s[50:51]
.LBB6_13333:                            ;   in Loop: Header=BB6_10813 Depth=3
	s_or_b64 exec, exec, s[48:49]
.LBB6_13334:                            ;   in Loop: Header=BB6_10813 Depth=3
	s_or_b64 exec, exec, s[38:39]
	v_max_f32_e32 v3, v3, v3
	v_max_f32_e32 v1, v1, v1
	;; [unrolled: 1-line block ×3, first 2 shown]
	s_mov_b64 s[38:39], 0
.LBB6_13335:                            ;   in Loop: Header=BB6_10813 Depth=3
	s_and_b64 vcc, exec, s[38:39]
	s_cbranch_vccz .LBB6_13349
; %bb.13336:                            ;   in Loop: Header=BB6_10813 Depth=3
	v_mov_b32_e32 v3, 0
	v_mov_b32_e32 v1, 0
	s_and_saveexec_b64 s[38:39], s[40:41]
	s_cbranch_execz .LBB6_13342
; %bb.13337:                            ;   in Loop: Header=BB6_10813 Depth=3
	v_cmp_ne_u16_e32 vcc, s82, v2
	v_bfrev_b32_e32 v1, 1
	s_and_saveexec_b64 s[40:41], vcc
	s_cbranch_execz .LBB6_13341
; %bb.13338:                            ;   in Loop: Header=BB6_10813 Depth=3
	v_and_b32_e32 v8, 0x7f, v2
	v_cmp_ne_u32_e32 vcc, s83, v8
	v_mov_b32_e32 v1, 0x7f800001
	s_and_saveexec_b64 s[48:49], vcc
	s_cbranch_execz .LBB6_13340
; %bb.13339:                            ;   in Loop: Header=BB6_10813 Depth=3
	v_and_b32_e32 v9, 7, v2
	v_ffbh_u32_e32 v1, v9
	v_lshrrev_b32_e32 v36, 3, v8
	v_cmp_gt_u32_e32 vcc, 8, v8
	v_min_u32_e32 v8, 32, v1
	v_subrev_u32_e32 v1, 28, v8
	v_lshlrev_b64 v[1:2], v1, v[2:3]
	v_sub_u32_e32 v2, 29, v8
	v_and_b32_e32 v1, 7, v1
	v_cndmask_b32_e32 v2, v36, v2, vcc
	v_cndmask_b32_e32 v1, v9, v1, vcc
	v_lshlrev_b32_e32 v8, 16, v14
	v_bfrev_b32_e32 v9, 60
	v_lshlrev_b32_e32 v1, 20, v1
	v_and_b32_e32 v8, 0x80000000, v8
	v_lshl_add_u32 v2, v2, 23, v9
	v_or3_b32 v1, v8, v2, v1
.LBB6_13340:                            ;   in Loop: Header=BB6_10813 Depth=3
	s_or_b64 exec, exec, s[48:49]
.LBB6_13341:                            ;   in Loop: Header=BB6_10813 Depth=3
	s_or_b64 exec, exec, s[40:41]
.LBB6_13342:                            ;   in Loop: Header=BB6_10813 Depth=3
	s_or_b64 exec, exec, s[38:39]
	v_cmp_ne_u16_e32 vcc, 0, v0
	s_and_saveexec_b64 s[40:41], vcc
	s_cbranch_execz .LBB6_13348
; %bb.13343:                            ;   in Loop: Header=BB6_10813 Depth=3
	v_cmp_ne_u16_e32 vcc, s82, v0
	v_bfrev_b32_e32 v3, 1
	s_and_saveexec_b64 s[38:39], vcc
	s_cbranch_execz .LBB6_13347
; %bb.13344:                            ;   in Loop: Header=BB6_10813 Depth=3
	v_and_b32_e32 v2, 0x7f, v0
	v_cmp_ne_u32_e32 vcc, s83, v2
	v_mov_b32_e32 v3, 0x7f800001
	s_and_saveexec_b64 s[48:49], vcc
	s_cbranch_execz .LBB6_13346
; %bb.13345:                            ;   in Loop: Header=BB6_10813 Depth=3
	v_and_b32_e32 v8, 7, v0
	v_lshrrev_b32_e32 v9, 3, v2
	v_cmp_gt_u32_e32 vcc, 8, v2
	v_ffbh_u32_e32 v2, v8
	v_min_u32_e32 v36, 32, v2
	v_subrev_u32_e32 v2, 28, v36
	v_lshlrev_b64 v[2:3], v2, v[0:1]
	v_sub_u32_e32 v0, 29, v36
	v_and_b32_e32 v2, 7, v2
	v_cndmask_b32_e32 v0, v9, v0, vcc
	v_cndmask_b32_e32 v2, v8, v2, vcc
	v_lshlrev_b32_e32 v3, 16, v10
	v_bfrev_b32_e32 v8, 60
	v_lshlrev_b32_e32 v2, 20, v2
	v_and_b32_e32 v3, 0x80000000, v3
	v_lshl_add_u32 v0, v0, 23, v8
	v_or3_b32 v3, v3, v0, v2
.LBB6_13346:                            ;   in Loop: Header=BB6_10813 Depth=3
	s_or_b64 exec, exec, s[48:49]
.LBB6_13347:                            ;   in Loop: Header=BB6_10813 Depth=3
	s_or_b64 exec, exec, s[38:39]
.LBB6_13348:                            ;   in Loop: Header=BB6_10813 Depth=3
	s_or_b64 exec, exec, s[40:41]
	v_max_f32_e32 v0, v3, v3
	v_max_f32_e32 v1, v1, v1
	v_min_f32_e32 v1, v1, v0
.LBB6_13349:                            ;   in Loop: Header=BB6_10813 Depth=3
	v_and_b32_e32 v52, 0x7f800000, v1
	v_cmp_ne_u64_e32 vcc, s[76:77], v[52:53]
                                        ; implicit-def: $vgpr59
	s_and_saveexec_b64 s[40:41], vcc
	s_xor_b64 s[38:39], exec, s[40:41]
	s_cbranch_execz .LBB6_13363
; %bb.13350:                            ;   in Loop: Header=BB6_10813 Depth=3
	v_and_b32_e32 v52, 0x7fffffff, v1
	v_cmp_gt_u64_e32 vcc, s[78:79], v[52:53]
	v_and_b32_sdwa v3, v1, s82 dst_sel:DWORD dst_unused:UNUSED_PAD src0_sel:BYTE_3 src1_sel:DWORD
                                        ; implicit-def: $vgpr59
	s_and_saveexec_b64 s[40:41], vcc
	s_xor_b64 s[48:49], exec, s[40:41]
	s_cbranch_execz .LBB6_13360
; %bb.13351:                            ;   in Loop: Header=BB6_10813 Depth=3
	v_mov_b32_e32 v59, 0
	v_cmp_ne_u32_e32 vcc, 0, v1
	s_and_saveexec_b64 s[50:51], vcc
	s_cbranch_execz .LBB6_13359
; %bb.13352:                            ;   in Loop: Header=BB6_10813 Depth=3
	v_bfe_u32 v8, v1, 23, 8
	v_and_b32_e32 v0, 0x7fffff, v1
	v_cmp_gt_u32_e64 s[40:41], s85, v8
	v_sub_u32_e32 v1, 0x79, v8
	v_cmp_eq_u32_e32 vcc, 0, v8
	v_cndmask_b32_e64 v1, 0, v1, s[40:41]
	v_mov_b32_e32 v9, 0x78
	v_or_b32_e32 v2, 0x800000, v0
	v_cndmask_b32_e32 v9, v1, v9, vcc
	v_cndmask_b32_e32 v52, v2, v0, vcc
	v_add_u32_e32 v0, 20, v9
	v_lshlrev_b64 v[0:1], v0, -1
	v_add_u32_e32 v2, 19, v9
	v_lshlrev_b64 v[36:37], v2, 1
	v_bfi_b32 v1, v1, 0, 0
	v_bfi_b32 v0, v0, 0, v52
	v_cmp_eq_u64_e64 s[40:41], v[0:1], v[36:37]
	v_lshrrev_b64 v[0:1], v9, v[52:53]
	v_mov_b32_e32 v2, v1
	v_mov_b32_e32 v1, v0
	s_and_saveexec_b64 s[52:53], s[40:41]
; %bb.13353:                            ;   in Loop: Header=BB6_10813 Depth=3
	v_bfe_u32 v1, v0, 20, 1
	v_add_co_u32_e64 v1, s[40:41], v0, v1
	v_add_co_u32_e64 v1, s[40:41], -1, v1
; %bb.13354:                            ;   in Loop: Header=BB6_10813 Depth=3
	s_or_b64 exec, exec, s[52:53]
	v_add_u32_e32 v2, 0xffffff81, v8
	v_mov_b32_e32 v8, 0xffffff82
	v_cndmask_b32_e32 v2, v2, v8, vcc
	v_lshrrev_b32_e32 v8, 23, v0
	v_add3_u32 v9, v9, v2, v8
	v_add_u32_e32 v8, 6, v9
	v_and_b32_e32 v1, 0xfffff, v1
	v_add_u32_e32 v52, v1, v0
	v_cmp_ne_u32_e32 vcc, 0, v8
                                        ; implicit-def: $vgpr0_vgpr1
                                        ; implicit-def: $vgpr2
	s_and_saveexec_b64 s[40:41], vcc
	s_xor_b64 s[40:41], exec, s[40:41]
; %bb.13355:                            ;   in Loop: Header=BB6_10813 Depth=3
	v_cmp_lt_u64_e32 vcc, s[88:89], v[52:53]
	v_add_u32_e32 v0, 7, v9
	v_cndmask_b32_e32 v2, v8, v0, vcc
	v_cndmask_b32_e64 v0, 0, 1, vcc
	v_lshrrev_b64 v[0:1], v0, v[52:53]
; %bb.13356:                            ;   in Loop: Header=BB6_10813 Depth=3
	s_andn2_saveexec_b64 s[40:41], s[40:41]
; %bb.13357:                            ;   in Loop: Header=BB6_10813 Depth=3
	v_mov_b32_e32 v0, v52
	v_bfe_u32 v2, v52, 23, 1
	v_mov_b32_e32 v1, v53
; %bb.13358:                            ;   in Loop: Header=BB6_10813 Depth=3
	s_or_b64 exec, exec, s[40:41]
	v_lshrrev_b64 v[0:1], 20, v[0:1]
	v_cmp_gt_i32_e32 vcc, 16, v2
	v_cndmask_b32_e32 v1, 0, v1, vcc
	v_cndmask_b32_e32 v0, 7, v0, vcc
	v_cmp_eq_u64_e64 s[40:41], 0, v[0:1]
	v_min_i32_e32 v1, 15, v2
	v_lshlrev_b32_e32 v1, 3, v1
	v_cmp_eq_u32_e32 vcc, 0, v2
	v_and_b32_e32 v1, 0xf8, v1
	v_and_or_b32 v0, v0, 7, v1
	s_and_b64 s[40:41], vcc, s[40:41]
	v_cndmask_b32_e64 v0, v0, 0, s[40:41]
	v_or_b32_e32 v59, v0, v3
.LBB6_13359:                            ;   in Loop: Header=BB6_10813 Depth=3
	s_or_b64 exec, exec, s[50:51]
                                        ; implicit-def: $vgpr3
.LBB6_13360:                            ;   in Loop: Header=BB6_10813 Depth=3
	s_andn2_saveexec_b64 s[40:41], s[48:49]
; %bb.13361:                            ;   in Loop: Header=BB6_10813 Depth=3
	v_or_b32_e32 v59, 0x7e, v3
; %bb.13362:                            ;   in Loop: Header=BB6_10813 Depth=3
	s_or_b64 exec, exec, s[40:41]
                                        ; implicit-def: $vgpr1
.LBB6_13363:                            ;   in Loop: Header=BB6_10813 Depth=3
	s_andn2_saveexec_b64 s[40:41], s[38:39]
; %bb.13364:                            ;   in Loop: Header=BB6_10813 Depth=3
	v_or_b32_sdwa v59, v1, s83 dst_sel:DWORD dst_unused:UNUSED_PAD src0_sel:BYTE_3 src1_sel:DWORD
; %bb.13365:                            ;   in Loop: Header=BB6_10813 Depth=3
	s_or_b64 exec, exec, s[40:41]
	v_lshrrev_b32_e32 v2, 16, v14
	v_lshrrev_b32_e32 v0, 16, v10
	v_cmp_ne_u16_sdwa s[40:41], v2, v53 src0_sel:BYTE_0 src1_sel:DWORD
	s_and_b64 vcc, exec, s[28:29]
	s_mov_b64 s[38:39], -1
                                        ; implicit-def: $vgpr1
	s_cbranch_vccnz .LBB6_13379
; %bb.13366:                            ;   in Loop: Header=BB6_10813 Depth=3
	v_mov_b32_e32 v3, 0
	v_mov_b32_e32 v1, 0
	s_and_saveexec_b64 s[38:39], s[40:41]
	s_cbranch_execz .LBB6_13372
; %bb.13367:                            ;   in Loop: Header=BB6_10813 Depth=3
	v_cmp_ne_u16_sdwa vcc, v2, s82 src0_sel:BYTE_0 src1_sel:DWORD
	v_bfrev_b32_e32 v1, 1
	s_and_saveexec_b64 s[48:49], vcc
	s_cbranch_execz .LBB6_13371
; %bb.13368:                            ;   in Loop: Header=BB6_10813 Depth=3
	v_bfe_u32 v8, v14, 16, 7
	v_cmp_ne_u32_e32 vcc, s83, v8
	v_mov_b32_e32 v1, 0x7f800001
	s_and_saveexec_b64 s[50:51], vcc
	s_cbranch_execz .LBB6_13370
; %bb.13369:                            ;   in Loop: Header=BB6_10813 Depth=3
	v_and_b32_e32 v1, 7, v2
	v_lshrrev_b32_e32 v36, 3, v8
	v_cmp_gt_u32_e32 vcc, 8, v8
	v_ffbh_u32_e32 v8, v1
	v_min_u32_e32 v37, 32, v8
	v_subrev_u32_e32 v8, 28, v37
	v_lshlrev_b64 v[8:9], v8, v[2:3]
	v_sub_u32_e32 v9, 29, v37
	v_and_b32_e32 v8, 7, v8
	v_cndmask_b32_e32 v9, v36, v9, vcc
	v_cndmask_b32_e32 v1, v1, v8, vcc
	v_lshlrev_b32_e32 v8, 24, v2
	v_bfrev_b32_e32 v36, 60
	v_lshlrev_b32_e32 v1, 20, v1
	v_and_b32_e32 v8, 0x80000000, v8
	v_lshl_add_u32 v9, v9, 23, v36
	v_or3_b32 v1, v8, v9, v1
.LBB6_13370:                            ;   in Loop: Header=BB6_10813 Depth=3
	s_or_b64 exec, exec, s[50:51]
.LBB6_13371:                            ;   in Loop: Header=BB6_10813 Depth=3
	s_or_b64 exec, exec, s[48:49]
.LBB6_13372:                            ;   in Loop: Header=BB6_10813 Depth=3
	s_or_b64 exec, exec, s[38:39]
	v_cmp_ne_u16_sdwa vcc, v0, v53 src0_sel:BYTE_0 src1_sel:DWORD
	s_and_saveexec_b64 s[38:39], vcc
	s_cbranch_execz .LBB6_13378
; %bb.13373:                            ;   in Loop: Header=BB6_10813 Depth=3
	v_cmp_ne_u16_sdwa vcc, v0, s82 src0_sel:BYTE_0 src1_sel:DWORD
	v_bfrev_b32_e32 v3, 1
	s_and_saveexec_b64 s[48:49], vcc
	s_cbranch_execz .LBB6_13377
; %bb.13374:                            ;   in Loop: Header=BB6_10813 Depth=3
	v_bfe_u32 v8, v10, 16, 7
	v_cmp_ne_u32_e32 vcc, s83, v8
	v_mov_b32_e32 v3, 0x7f800001
	s_and_saveexec_b64 s[50:51], vcc
	s_cbranch_execz .LBB6_13376
; %bb.13375:                            ;   in Loop: Header=BB6_10813 Depth=3
	v_and_b32_e32 v3, 7, v0
	v_lshrrev_b32_e32 v36, 3, v8
	v_cmp_gt_u32_e32 vcc, 8, v8
	v_ffbh_u32_e32 v8, v3
	v_min_u32_e32 v37, 32, v8
	v_subrev_u32_e32 v8, 28, v37
	v_lshlrev_b64 v[8:9], v8, v[0:1]
	v_sub_u32_e32 v9, 29, v37
	v_and_b32_e32 v8, 7, v8
	v_cndmask_b32_e32 v9, v36, v9, vcc
	v_cndmask_b32_e32 v3, v3, v8, vcc
	v_lshlrev_b32_e32 v8, 24, v0
	v_bfrev_b32_e32 v36, 60
	v_lshlrev_b32_e32 v3, 20, v3
	v_and_b32_e32 v8, 0x80000000, v8
	v_lshl_add_u32 v9, v9, 23, v36
	v_or3_b32 v3, v8, v9, v3
.LBB6_13376:                            ;   in Loop: Header=BB6_10813 Depth=3
	s_or_b64 exec, exec, s[50:51]
.LBB6_13377:                            ;   in Loop: Header=BB6_10813 Depth=3
	s_or_b64 exec, exec, s[48:49]
.LBB6_13378:                            ;   in Loop: Header=BB6_10813 Depth=3
	s_or_b64 exec, exec, s[38:39]
	v_max_f32_e32 v3, v3, v3
	v_max_f32_e32 v1, v1, v1
	;; [unrolled: 1-line block ×3, first 2 shown]
	s_mov_b64 s[38:39], 0
.LBB6_13379:                            ;   in Loop: Header=BB6_10813 Depth=3
	s_and_b64 vcc, exec, s[38:39]
	s_cbranch_vccz .LBB6_13393
; %bb.13380:                            ;   in Loop: Header=BB6_10813 Depth=3
	v_mov_b32_e32 v3, 0
	v_mov_b32_e32 v1, 0
	s_and_saveexec_b64 s[38:39], s[40:41]
	s_cbranch_execz .LBB6_13386
; %bb.13381:                            ;   in Loop: Header=BB6_10813 Depth=3
	v_cmp_ne_u16_sdwa vcc, v2, s82 src0_sel:BYTE_0 src1_sel:DWORD
	v_bfrev_b32_e32 v1, 1
	s_and_saveexec_b64 s[40:41], vcc
	s_cbranch_execz .LBB6_13385
; %bb.13382:                            ;   in Loop: Header=BB6_10813 Depth=3
	v_bfe_u32 v8, v14, 16, 7
	v_cmp_ne_u32_e32 vcc, s83, v8
	v_mov_b32_e32 v1, 0x7f800001
	s_and_saveexec_b64 s[48:49], vcc
	s_cbranch_execz .LBB6_13384
; %bb.13383:                            ;   in Loop: Header=BB6_10813 Depth=3
	v_and_b32_e32 v1, 7, v2
	v_lshrrev_b32_e32 v36, 3, v8
	v_cmp_gt_u32_e32 vcc, 8, v8
	v_ffbh_u32_e32 v8, v1
	v_min_u32_e32 v37, 32, v8
	v_subrev_u32_e32 v8, 28, v37
	v_lshlrev_b64 v[8:9], v8, v[2:3]
	v_sub_u32_e32 v9, 29, v37
	v_and_b32_e32 v8, 7, v8
	v_cndmask_b32_e32 v9, v36, v9, vcc
	v_cndmask_b32_e32 v1, v1, v8, vcc
	v_lshlrev_b32_e32 v2, 24, v2
	v_bfrev_b32_e32 v8, 60
	v_lshlrev_b32_e32 v1, 20, v1
	v_and_b32_e32 v2, 0x80000000, v2
	v_lshl_add_u32 v8, v9, 23, v8
	v_or3_b32 v1, v2, v8, v1
.LBB6_13384:                            ;   in Loop: Header=BB6_10813 Depth=3
	s_or_b64 exec, exec, s[48:49]
.LBB6_13385:                            ;   in Loop: Header=BB6_10813 Depth=3
	s_or_b64 exec, exec, s[40:41]
.LBB6_13386:                            ;   in Loop: Header=BB6_10813 Depth=3
	s_or_b64 exec, exec, s[38:39]
	v_cmp_ne_u16_sdwa vcc, v0, v53 src0_sel:BYTE_0 src1_sel:DWORD
	s_and_saveexec_b64 s[40:41], vcc
	s_cbranch_execz .LBB6_13392
; %bb.13387:                            ;   in Loop: Header=BB6_10813 Depth=3
	v_cmp_ne_u16_sdwa vcc, v0, s82 src0_sel:BYTE_0 src1_sel:DWORD
	v_bfrev_b32_e32 v3, 1
	s_and_saveexec_b64 s[38:39], vcc
	s_cbranch_execz .LBB6_13391
; %bb.13388:                            ;   in Loop: Header=BB6_10813 Depth=3
	v_bfe_u32 v2, v10, 16, 7
	v_cmp_ne_u32_e32 vcc, s83, v2
	v_mov_b32_e32 v3, 0x7f800001
	s_and_saveexec_b64 s[48:49], vcc
	s_cbranch_execz .LBB6_13390
; %bb.13389:                            ;   in Loop: Header=BB6_10813 Depth=3
	v_and_b32_e32 v8, 7, v0
	v_lshrrev_b32_e32 v9, 3, v2
	v_cmp_gt_u32_e32 vcc, 8, v2
	v_ffbh_u32_e32 v2, v8
	v_min_u32_e32 v36, 32, v2
	v_subrev_u32_e32 v2, 28, v36
	v_lshlrev_b64 v[2:3], v2, v[0:1]
	v_sub_u32_e32 v3, 29, v36
	v_and_b32_e32 v2, 7, v2
	v_cndmask_b32_e32 v3, v9, v3, vcc
	v_cndmask_b32_e32 v2, v8, v2, vcc
	v_lshlrev_b32_e32 v0, 24, v0
	v_bfrev_b32_e32 v8, 60
	v_lshlrev_b32_e32 v2, 20, v2
	v_and_b32_e32 v0, 0x80000000, v0
	v_lshl_add_u32 v3, v3, 23, v8
	v_or3_b32 v3, v0, v3, v2
.LBB6_13390:                            ;   in Loop: Header=BB6_10813 Depth=3
	s_or_b64 exec, exec, s[48:49]
.LBB6_13391:                            ;   in Loop: Header=BB6_10813 Depth=3
	s_or_b64 exec, exec, s[38:39]
.LBB6_13392:                            ;   in Loop: Header=BB6_10813 Depth=3
	s_or_b64 exec, exec, s[40:41]
	v_max_f32_e32 v0, v3, v3
	v_max_f32_e32 v1, v1, v1
	v_min_f32_e32 v1, v1, v0
.LBB6_13393:                            ;   in Loop: Header=BB6_10813 Depth=3
	v_and_b32_e32 v52, 0x7f800000, v1
	v_cmp_ne_u64_e32 vcc, s[76:77], v[52:53]
                                        ; implicit-def: $vgpr38
	s_and_saveexec_b64 s[40:41], vcc
	s_xor_b64 s[38:39], exec, s[40:41]
	s_cbranch_execz .LBB6_13407
; %bb.13394:                            ;   in Loop: Header=BB6_10813 Depth=3
	v_and_b32_e32 v52, 0x7fffffff, v1
	v_cmp_gt_u64_e32 vcc, s[78:79], v[52:53]
	v_and_b32_sdwa v3, v1, s82 dst_sel:DWORD dst_unused:UNUSED_PAD src0_sel:BYTE_3 src1_sel:DWORD
                                        ; implicit-def: $vgpr38
	s_and_saveexec_b64 s[40:41], vcc
	s_xor_b64 s[48:49], exec, s[40:41]
	s_cbranch_execz .LBB6_13404
; %bb.13395:                            ;   in Loop: Header=BB6_10813 Depth=3
	v_mov_b32_e32 v38, 0
	v_cmp_ne_u32_e32 vcc, 0, v1
	s_and_saveexec_b64 s[50:51], vcc
	s_cbranch_execz .LBB6_13403
; %bb.13396:                            ;   in Loop: Header=BB6_10813 Depth=3
	v_bfe_u32 v8, v1, 23, 8
	v_and_b32_e32 v0, 0x7fffff, v1
	v_cmp_gt_u32_e64 s[40:41], s85, v8
	v_sub_u32_e32 v1, 0x79, v8
	v_cmp_eq_u32_e32 vcc, 0, v8
	v_cndmask_b32_e64 v1, 0, v1, s[40:41]
	v_mov_b32_e32 v9, 0x78
	v_or_b32_e32 v2, 0x800000, v0
	v_cndmask_b32_e32 v9, v1, v9, vcc
	v_cndmask_b32_e32 v52, v2, v0, vcc
	v_add_u32_e32 v0, 20, v9
	v_lshlrev_b64 v[0:1], v0, -1
	v_add_u32_e32 v2, 19, v9
	v_lshlrev_b64 v[36:37], v2, 1
	v_bfi_b32 v1, v1, 0, 0
	v_bfi_b32 v0, v0, 0, v52
	v_cmp_eq_u64_e64 s[40:41], v[0:1], v[36:37]
	v_lshrrev_b64 v[0:1], v9, v[52:53]
	v_mov_b32_e32 v2, v1
	v_mov_b32_e32 v1, v0
	s_and_saveexec_b64 s[52:53], s[40:41]
; %bb.13397:                            ;   in Loop: Header=BB6_10813 Depth=3
	v_bfe_u32 v1, v0, 20, 1
	v_add_co_u32_e64 v1, s[40:41], v0, v1
	v_add_co_u32_e64 v1, s[40:41], -1, v1
; %bb.13398:                            ;   in Loop: Header=BB6_10813 Depth=3
	s_or_b64 exec, exec, s[52:53]
	v_add_u32_e32 v2, 0xffffff81, v8
	v_mov_b32_e32 v8, 0xffffff82
	v_cndmask_b32_e32 v2, v2, v8, vcc
	v_lshrrev_b32_e32 v8, 23, v0
	v_add3_u32 v9, v9, v2, v8
	v_add_u32_e32 v8, 6, v9
	v_and_b32_e32 v1, 0xfffff, v1
	v_add_u32_e32 v52, v1, v0
	v_cmp_ne_u32_e32 vcc, 0, v8
                                        ; implicit-def: $vgpr0_vgpr1
                                        ; implicit-def: $vgpr2
	s_and_saveexec_b64 s[40:41], vcc
	s_xor_b64 s[40:41], exec, s[40:41]
; %bb.13399:                            ;   in Loop: Header=BB6_10813 Depth=3
	v_cmp_lt_u64_e32 vcc, s[88:89], v[52:53]
	v_add_u32_e32 v0, 7, v9
	v_cndmask_b32_e32 v2, v8, v0, vcc
	v_cndmask_b32_e64 v0, 0, 1, vcc
	v_lshrrev_b64 v[0:1], v0, v[52:53]
; %bb.13400:                            ;   in Loop: Header=BB6_10813 Depth=3
	s_andn2_saveexec_b64 s[40:41], s[40:41]
; %bb.13401:                            ;   in Loop: Header=BB6_10813 Depth=3
	v_mov_b32_e32 v0, v52
	v_bfe_u32 v2, v52, 23, 1
	v_mov_b32_e32 v1, v53
; %bb.13402:                            ;   in Loop: Header=BB6_10813 Depth=3
	s_or_b64 exec, exec, s[40:41]
	v_lshrrev_b64 v[0:1], 20, v[0:1]
	v_cmp_gt_i32_e32 vcc, 16, v2
	v_cndmask_b32_e32 v1, 0, v1, vcc
	v_cndmask_b32_e32 v0, 7, v0, vcc
	v_cmp_eq_u64_e64 s[40:41], 0, v[0:1]
	v_min_i32_e32 v1, 15, v2
	v_lshlrev_b32_e32 v1, 3, v1
	v_cmp_eq_u32_e32 vcc, 0, v2
	v_and_b32_e32 v1, 0xf8, v1
	v_and_or_b32 v0, v0, 7, v1
	s_and_b64 s[40:41], vcc, s[40:41]
	v_cndmask_b32_e64 v0, v0, 0, s[40:41]
	v_or_b32_e32 v38, v0, v3
.LBB6_13403:                            ;   in Loop: Header=BB6_10813 Depth=3
	s_or_b64 exec, exec, s[50:51]
                                        ; implicit-def: $vgpr3
.LBB6_13404:                            ;   in Loop: Header=BB6_10813 Depth=3
	s_andn2_saveexec_b64 s[40:41], s[48:49]
; %bb.13405:                            ;   in Loop: Header=BB6_10813 Depth=3
	v_or_b32_e32 v38, 0x7e, v3
; %bb.13406:                            ;   in Loop: Header=BB6_10813 Depth=3
	s_or_b64 exec, exec, s[40:41]
                                        ; implicit-def: $vgpr1
.LBB6_13407:                            ;   in Loop: Header=BB6_10813 Depth=3
	s_andn2_saveexec_b64 s[40:41], s[38:39]
; %bb.13408:                            ;   in Loop: Header=BB6_10813 Depth=3
	v_or_b32_sdwa v38, v1, s83 dst_sel:DWORD dst_unused:UNUSED_PAD src0_sel:BYTE_3 src1_sel:DWORD
; %bb.13409:                            ;   in Loop: Header=BB6_10813 Depth=3
	s_or_b64 exec, exec, s[40:41]
	v_lshrrev_b32_e32 v2, 24, v14
	v_lshrrev_b32_e32 v0, 24, v10
	v_cmp_lt_u32_e64 s[40:41], s63, v14
	s_and_b64 vcc, exec, s[28:29]
	s_mov_b64 s[38:39], -1
                                        ; implicit-def: $vgpr1
	s_cbranch_vccnz .LBB6_13423
; %bb.13410:                            ;   in Loop: Header=BB6_10813 Depth=3
	v_mov_b32_e32 v3, 0
	v_mov_b32_e32 v1, 0
	s_and_saveexec_b64 s[38:39], s[40:41]
	s_cbranch_execz .LBB6_13416
; %bb.13411:                            ;   in Loop: Header=BB6_10813 Depth=3
	v_cmp_ne_u32_e32 vcc, s82, v2
	v_bfrev_b32_e32 v1, 1
	s_and_saveexec_b64 s[48:49], vcc
	s_cbranch_execz .LBB6_13415
; %bb.13412:                            ;   in Loop: Header=BB6_10813 Depth=3
	v_bfe_u32 v8, v14, 24, 7
	v_cmp_ne_u32_e32 vcc, s83, v8
	v_mov_b32_e32 v1, 0x7f800001
	s_and_saveexec_b64 s[50:51], vcc
	s_cbranch_execz .LBB6_13414
; %bb.13413:                            ;   in Loop: Header=BB6_10813 Depth=3
	v_and_b32_e32 v1, 7, v2
	v_lshrrev_b32_e32 v36, 3, v8
	v_cmp_gt_u32_e32 vcc, 8, v8
	v_ffbh_u32_e32 v8, v1
	v_min_u32_e32 v37, 32, v8
	v_subrev_u32_e32 v8, 28, v37
	v_lshlrev_b64 v[8:9], v8, v[2:3]
	v_sub_u32_e32 v9, 29, v37
	v_and_b32_e32 v8, 7, v8
	v_cndmask_b32_e32 v9, v36, v9, vcc
	v_cndmask_b32_e32 v1, v1, v8, vcc
	v_lshlrev_b32_e32 v8, 24, v2
	v_bfrev_b32_e32 v36, 60
	v_lshlrev_b32_e32 v1, 20, v1
	v_and_b32_e32 v8, 0x80000000, v8
	v_lshl_add_u32 v9, v9, 23, v36
	v_or3_b32 v1, v8, v9, v1
.LBB6_13414:                            ;   in Loop: Header=BB6_10813 Depth=3
	s_or_b64 exec, exec, s[50:51]
.LBB6_13415:                            ;   in Loop: Header=BB6_10813 Depth=3
	s_or_b64 exec, exec, s[48:49]
.LBB6_13416:                            ;   in Loop: Header=BB6_10813 Depth=3
	s_or_b64 exec, exec, s[38:39]
	v_cmp_lt_u32_e32 vcc, s63, v10
	s_and_saveexec_b64 s[38:39], vcc
	s_cbranch_execz .LBB6_13422
; %bb.13417:                            ;   in Loop: Header=BB6_10813 Depth=3
	v_cmp_ne_u32_e32 vcc, s82, v0
	v_bfrev_b32_e32 v3, 1
	s_and_saveexec_b64 s[48:49], vcc
	s_cbranch_execz .LBB6_13421
; %bb.13418:                            ;   in Loop: Header=BB6_10813 Depth=3
	v_bfe_u32 v8, v10, 24, 7
	v_cmp_ne_u32_e32 vcc, s83, v8
	v_mov_b32_e32 v3, 0x7f800001
	s_and_saveexec_b64 s[50:51], vcc
	s_cbranch_execz .LBB6_13420
; %bb.13419:                            ;   in Loop: Header=BB6_10813 Depth=3
	v_and_b32_e32 v3, 7, v0
	v_lshrrev_b32_e32 v36, 3, v8
	v_cmp_gt_u32_e32 vcc, 8, v8
	v_ffbh_u32_e32 v8, v3
	v_min_u32_e32 v37, 32, v8
	v_subrev_u32_e32 v8, 28, v37
	v_lshlrev_b64 v[8:9], v8, v[0:1]
	v_sub_u32_e32 v9, 29, v37
	v_and_b32_e32 v8, 7, v8
	v_cndmask_b32_e32 v9, v36, v9, vcc
	v_cndmask_b32_e32 v3, v3, v8, vcc
	v_lshlrev_b32_e32 v8, 24, v0
	v_bfrev_b32_e32 v36, 60
	v_lshlrev_b32_e32 v3, 20, v3
	v_and_b32_e32 v8, 0x80000000, v8
	v_lshl_add_u32 v9, v9, 23, v36
	v_or3_b32 v3, v8, v9, v3
.LBB6_13420:                            ;   in Loop: Header=BB6_10813 Depth=3
	s_or_b64 exec, exec, s[50:51]
.LBB6_13421:                            ;   in Loop: Header=BB6_10813 Depth=3
	s_or_b64 exec, exec, s[48:49]
.LBB6_13422:                            ;   in Loop: Header=BB6_10813 Depth=3
	s_or_b64 exec, exec, s[38:39]
	v_max_f32_e32 v3, v3, v3
	v_max_f32_e32 v1, v1, v1
	;; [unrolled: 1-line block ×3, first 2 shown]
	s_mov_b64 s[38:39], 0
.LBB6_13423:                            ;   in Loop: Header=BB6_10813 Depth=3
	s_and_b64 vcc, exec, s[38:39]
	s_cbranch_vccz .LBB6_13437
; %bb.13424:                            ;   in Loop: Header=BB6_10813 Depth=3
	v_mov_b32_e32 v3, 0
	v_mov_b32_e32 v1, 0
	s_and_saveexec_b64 s[38:39], s[40:41]
	s_cbranch_execz .LBB6_13430
; %bb.13425:                            ;   in Loop: Header=BB6_10813 Depth=3
	v_cmp_ne_u32_e32 vcc, s82, v2
	v_bfrev_b32_e32 v1, 1
	s_and_saveexec_b64 s[40:41], vcc
	s_cbranch_execz .LBB6_13429
; %bb.13426:                            ;   in Loop: Header=BB6_10813 Depth=3
	v_bfe_u32 v8, v14, 24, 7
	v_cmp_ne_u32_e32 vcc, s83, v8
	v_mov_b32_e32 v1, 0x7f800001
	s_and_saveexec_b64 s[48:49], vcc
	s_cbranch_execz .LBB6_13428
; %bb.13427:                            ;   in Loop: Header=BB6_10813 Depth=3
	v_and_b32_e32 v1, 7, v2
	v_lshrrev_b32_e32 v36, 3, v8
	v_cmp_gt_u32_e32 vcc, 8, v8
	v_ffbh_u32_e32 v8, v1
	v_min_u32_e32 v37, 32, v8
	v_subrev_u32_e32 v8, 28, v37
	v_lshlrev_b64 v[8:9], v8, v[2:3]
	v_sub_u32_e32 v9, 29, v37
	v_and_b32_e32 v8, 7, v8
	v_cndmask_b32_e32 v9, v36, v9, vcc
	v_cndmask_b32_e32 v1, v1, v8, vcc
	v_lshlrev_b32_e32 v2, 24, v2
	v_bfrev_b32_e32 v8, 60
	v_lshlrev_b32_e32 v1, 20, v1
	v_and_b32_e32 v2, 0x80000000, v2
	v_lshl_add_u32 v8, v9, 23, v8
	v_or3_b32 v1, v2, v8, v1
.LBB6_13428:                            ;   in Loop: Header=BB6_10813 Depth=3
	s_or_b64 exec, exec, s[48:49]
.LBB6_13429:                            ;   in Loop: Header=BB6_10813 Depth=3
	s_or_b64 exec, exec, s[40:41]
.LBB6_13430:                            ;   in Loop: Header=BB6_10813 Depth=3
	s_or_b64 exec, exec, s[38:39]
	v_cmp_lt_u32_e32 vcc, s63, v10
	s_and_saveexec_b64 s[40:41], vcc
	s_cbranch_execz .LBB6_13436
; %bb.13431:                            ;   in Loop: Header=BB6_10813 Depth=3
	v_cmp_ne_u32_e32 vcc, s82, v0
	v_bfrev_b32_e32 v3, 1
	s_and_saveexec_b64 s[38:39], vcc
	s_cbranch_execz .LBB6_13435
; %bb.13432:                            ;   in Loop: Header=BB6_10813 Depth=3
	v_bfe_u32 v2, v10, 24, 7
	v_cmp_ne_u32_e32 vcc, s83, v2
	v_mov_b32_e32 v3, 0x7f800001
	s_and_saveexec_b64 s[48:49], vcc
	s_cbranch_execz .LBB6_13434
; %bb.13433:                            ;   in Loop: Header=BB6_10813 Depth=3
	v_and_b32_e32 v8, 7, v0
	v_lshrrev_b32_e32 v9, 3, v2
	v_cmp_gt_u32_e32 vcc, 8, v2
	v_ffbh_u32_e32 v2, v8
	v_min_u32_e32 v36, 32, v2
	v_subrev_u32_e32 v2, 28, v36
	v_lshlrev_b64 v[2:3], v2, v[0:1]
	v_sub_u32_e32 v3, 29, v36
	v_and_b32_e32 v2, 7, v2
	v_cndmask_b32_e32 v3, v9, v3, vcc
	v_cndmask_b32_e32 v2, v8, v2, vcc
	v_lshlrev_b32_e32 v0, 24, v0
	v_bfrev_b32_e32 v8, 60
	v_lshlrev_b32_e32 v2, 20, v2
	v_and_b32_e32 v0, 0x80000000, v0
	v_lshl_add_u32 v3, v3, 23, v8
	v_or3_b32 v3, v0, v3, v2
.LBB6_13434:                            ;   in Loop: Header=BB6_10813 Depth=3
	s_or_b64 exec, exec, s[48:49]
.LBB6_13435:                            ;   in Loop: Header=BB6_10813 Depth=3
	s_or_b64 exec, exec, s[38:39]
.LBB6_13436:                            ;   in Loop: Header=BB6_10813 Depth=3
	s_or_b64 exec, exec, s[40:41]
	v_max_f32_e32 v0, v3, v3
	v_max_f32_e32 v1, v1, v1
	v_min_f32_e32 v1, v1, v0
.LBB6_13437:                            ;   in Loop: Header=BB6_10813 Depth=3
	v_and_b32_e32 v52, 0x7f800000, v1
	v_cmp_ne_u64_e32 vcc, s[76:77], v[52:53]
                                        ; implicit-def: $vgpr39
	s_and_saveexec_b64 s[40:41], vcc
	s_xor_b64 s[38:39], exec, s[40:41]
	s_cbranch_execz .LBB6_13451
; %bb.13438:                            ;   in Loop: Header=BB6_10813 Depth=3
	v_and_b32_e32 v52, 0x7fffffff, v1
	v_cmp_gt_u64_e32 vcc, s[78:79], v[52:53]
	v_and_b32_sdwa v3, v1, s82 dst_sel:DWORD dst_unused:UNUSED_PAD src0_sel:BYTE_3 src1_sel:DWORD
                                        ; implicit-def: $vgpr39
	s_and_saveexec_b64 s[40:41], vcc
	s_xor_b64 s[48:49], exec, s[40:41]
	s_cbranch_execz .LBB6_13448
; %bb.13439:                            ;   in Loop: Header=BB6_10813 Depth=3
	v_mov_b32_e32 v39, 0
	v_cmp_ne_u32_e32 vcc, 0, v1
	s_and_saveexec_b64 s[50:51], vcc
	s_cbranch_execz .LBB6_13447
; %bb.13440:                            ;   in Loop: Header=BB6_10813 Depth=3
	v_bfe_u32 v8, v1, 23, 8
	v_and_b32_e32 v0, 0x7fffff, v1
	v_cmp_gt_u32_e64 s[40:41], s85, v8
	v_sub_u32_e32 v1, 0x79, v8
	v_cmp_eq_u32_e32 vcc, 0, v8
	v_cndmask_b32_e64 v1, 0, v1, s[40:41]
	v_mov_b32_e32 v9, 0x78
	v_or_b32_e32 v2, 0x800000, v0
	v_cndmask_b32_e32 v9, v1, v9, vcc
	v_cndmask_b32_e32 v52, v2, v0, vcc
	v_add_u32_e32 v0, 20, v9
	v_lshlrev_b64 v[0:1], v0, -1
	v_add_u32_e32 v2, 19, v9
	v_lshlrev_b64 v[36:37], v2, 1
	v_bfi_b32 v1, v1, 0, 0
	v_bfi_b32 v0, v0, 0, v52
	v_cmp_eq_u64_e64 s[40:41], v[0:1], v[36:37]
	v_lshrrev_b64 v[0:1], v9, v[52:53]
	v_mov_b32_e32 v2, v1
	v_mov_b32_e32 v1, v0
	s_and_saveexec_b64 s[52:53], s[40:41]
; %bb.13441:                            ;   in Loop: Header=BB6_10813 Depth=3
	v_bfe_u32 v1, v0, 20, 1
	v_add_co_u32_e64 v1, s[40:41], v0, v1
	v_add_co_u32_e64 v1, s[40:41], -1, v1
; %bb.13442:                            ;   in Loop: Header=BB6_10813 Depth=3
	s_or_b64 exec, exec, s[52:53]
	v_add_u32_e32 v2, 0xffffff81, v8
	v_mov_b32_e32 v8, 0xffffff82
	v_cndmask_b32_e32 v2, v2, v8, vcc
	v_lshrrev_b32_e32 v8, 23, v0
	v_add3_u32 v9, v9, v2, v8
	v_add_u32_e32 v8, 6, v9
	v_and_b32_e32 v1, 0xfffff, v1
	v_add_u32_e32 v52, v1, v0
	v_cmp_ne_u32_e32 vcc, 0, v8
                                        ; implicit-def: $vgpr0_vgpr1
                                        ; implicit-def: $vgpr2
	s_and_saveexec_b64 s[40:41], vcc
	s_xor_b64 s[40:41], exec, s[40:41]
; %bb.13443:                            ;   in Loop: Header=BB6_10813 Depth=3
	v_cmp_lt_u64_e32 vcc, s[88:89], v[52:53]
	v_add_u32_e32 v0, 7, v9
	v_cndmask_b32_e32 v2, v8, v0, vcc
	v_cndmask_b32_e64 v0, 0, 1, vcc
	v_lshrrev_b64 v[0:1], v0, v[52:53]
; %bb.13444:                            ;   in Loop: Header=BB6_10813 Depth=3
	s_andn2_saveexec_b64 s[40:41], s[40:41]
; %bb.13445:                            ;   in Loop: Header=BB6_10813 Depth=3
	v_mov_b32_e32 v0, v52
	v_bfe_u32 v2, v52, 23, 1
	v_mov_b32_e32 v1, v53
; %bb.13446:                            ;   in Loop: Header=BB6_10813 Depth=3
	s_or_b64 exec, exec, s[40:41]
	v_lshrrev_b64 v[0:1], 20, v[0:1]
	v_cmp_gt_i32_e32 vcc, 16, v2
	v_cndmask_b32_e32 v1, 0, v1, vcc
	v_cndmask_b32_e32 v0, 7, v0, vcc
	v_cmp_eq_u64_e64 s[40:41], 0, v[0:1]
	v_min_i32_e32 v1, 15, v2
	v_lshlrev_b32_e32 v1, 3, v1
	v_cmp_eq_u32_e32 vcc, 0, v2
	v_and_b32_e32 v1, 0xf8, v1
	v_and_or_b32 v0, v0, 7, v1
	s_and_b64 s[40:41], vcc, s[40:41]
	v_cndmask_b32_e64 v0, v0, 0, s[40:41]
	v_or_b32_e32 v39, v0, v3
.LBB6_13447:                            ;   in Loop: Header=BB6_10813 Depth=3
	s_or_b64 exec, exec, s[50:51]
                                        ; implicit-def: $vgpr3
.LBB6_13448:                            ;   in Loop: Header=BB6_10813 Depth=3
	s_andn2_saveexec_b64 s[40:41], s[48:49]
; %bb.13449:                            ;   in Loop: Header=BB6_10813 Depth=3
	v_or_b32_e32 v39, 0x7e, v3
; %bb.13450:                            ;   in Loop: Header=BB6_10813 Depth=3
	s_or_b64 exec, exec, s[40:41]
                                        ; implicit-def: $vgpr1
.LBB6_13451:                            ;   in Loop: Header=BB6_10813 Depth=3
	s_andn2_saveexec_b64 s[40:41], s[38:39]
; %bb.13452:                            ;   in Loop: Header=BB6_10813 Depth=3
	v_or_b32_sdwa v39, v1, s83 dst_sel:DWORD dst_unused:UNUSED_PAD src0_sel:BYTE_3 src1_sel:DWORD
; %bb.13453:                            ;   in Loop: Header=BB6_10813 Depth=3
	s_or_b64 exec, exec, s[40:41]
	v_mov_b32_e32 v52, v15
	v_mov_b32_e32 v2, v11
	;; [unrolled: 1-line block ×3, first 2 shown]
	v_cmp_ne_u16_sdwa s[40:41], v15, v53 src0_sel:BYTE_0 src1_sel:DWORD
	s_and_b64 vcc, exec, s[28:29]
	s_mov_b64 s[38:39], -1
                                        ; implicit-def: $vgpr0
	s_cbranch_vccnz .LBB6_13467
; %bb.13454:                            ;   in Loop: Header=BB6_10813 Depth=3
	v_mov_b32_e32 v1, 0
	v_mov_b32_e32 v0, 0
	s_and_saveexec_b64 s[38:39], s[40:41]
	s_cbranch_execz .LBB6_13460
; %bb.13455:                            ;   in Loop: Header=BB6_10813 Depth=3
	v_cmp_ne_u16_sdwa vcc, v15, s82 src0_sel:BYTE_0 src1_sel:DWORD
	v_bfrev_b32_e32 v0, 1
	s_and_saveexec_b64 s[48:49], vcc
	s_cbranch_execz .LBB6_13459
; %bb.13456:                            ;   in Loop: Header=BB6_10813 Depth=3
	v_and_b32_e32 v8, 0x7f, v15
	v_cmp_ne_u32_e32 vcc, s83, v8
	v_mov_b32_e32 v0, 0x7f800001
	s_and_saveexec_b64 s[50:51], vcc
	s_cbranch_execz .LBB6_13458
; %bb.13457:                            ;   in Loop: Header=BB6_10813 Depth=3
	v_and_b32_e32 v0, 7, v15
	v_ffbh_u32_e32 v0, v0
	v_min_u32_e32 v0, 32, v0
	v_lshrrev_b32_e32 v9, 3, v8
	v_cmp_gt_u32_e32 vcc, 8, v8
	v_subrev_u32_e32 v8, 28, v0
	v_sub_u32_e32 v0, 29, v0
	v_cndmask_b32_e32 v8, 0, v8, vcc
	v_cndmask_b32_e32 v0, v9, v0, vcc
	v_lshlrev_b64 v[8:9], v8, v[52:53]
	v_lshlrev_b32_e32 v9, 24, v52
	v_lshlrev_b32_e32 v8, 20, v8
	v_bfrev_b32_e32 v36, 60
	v_and_b32_e32 v8, 0x700000, v8
	v_and_b32_e32 v9, 0x80000000, v9
	v_lshl_add_u32 v0, v0, 23, v36
	v_or3_b32 v0, v9, v0, v8
.LBB6_13458:                            ;   in Loop: Header=BB6_10813 Depth=3
	s_or_b64 exec, exec, s[50:51]
.LBB6_13459:                            ;   in Loop: Header=BB6_10813 Depth=3
	s_or_b64 exec, exec, s[48:49]
.LBB6_13460:                            ;   in Loop: Header=BB6_10813 Depth=3
	s_or_b64 exec, exec, s[38:39]
	v_cmp_ne_u16_sdwa vcc, v11, v53 src0_sel:BYTE_0 src1_sel:DWORD
	s_and_saveexec_b64 s[38:39], vcc
	s_cbranch_execz .LBB6_13466
; %bb.13461:                            ;   in Loop: Header=BB6_10813 Depth=3
	v_cmp_ne_u16_sdwa vcc, v11, s82 src0_sel:BYTE_0 src1_sel:DWORD
	v_bfrev_b32_e32 v1, 1
	s_and_saveexec_b64 s[48:49], vcc
	s_cbranch_execz .LBB6_13465
; %bb.13462:                            ;   in Loop: Header=BB6_10813 Depth=3
	v_and_b32_e32 v8, 0x7f, v11
	v_cmp_ne_u32_e32 vcc, s83, v8
	v_mov_b32_e32 v1, 0x7f800001
	s_and_saveexec_b64 s[50:51], vcc
	s_cbranch_execz .LBB6_13464
; %bb.13463:                            ;   in Loop: Header=BB6_10813 Depth=3
	v_and_b32_e32 v1, 7, v11
	v_ffbh_u32_e32 v1, v1
	v_min_u32_e32 v1, 32, v1
	v_lshrrev_b32_e32 v9, 3, v8
	v_cmp_gt_u32_e32 vcc, 8, v8
	v_subrev_u32_e32 v8, 28, v1
	v_sub_u32_e32 v1, 29, v1
	v_cndmask_b32_e32 v8, 0, v8, vcc
	v_cndmask_b32_e32 v1, v9, v1, vcc
	v_lshlrev_b64 v[8:9], v8, v[2:3]
	v_lshlrev_b32_e32 v9, 24, v2
	v_lshlrev_b32_e32 v8, 20, v8
	v_bfrev_b32_e32 v36, 60
	v_and_b32_e32 v8, 0x700000, v8
	v_and_b32_e32 v9, 0x80000000, v9
	v_lshl_add_u32 v1, v1, 23, v36
	v_or3_b32 v1, v9, v1, v8
.LBB6_13464:                            ;   in Loop: Header=BB6_10813 Depth=3
	s_or_b64 exec, exec, s[50:51]
.LBB6_13465:                            ;   in Loop: Header=BB6_10813 Depth=3
	s_or_b64 exec, exec, s[48:49]
.LBB6_13466:                            ;   in Loop: Header=BB6_10813 Depth=3
	s_or_b64 exec, exec, s[38:39]
	v_max_f32_e32 v1, v1, v1
	v_max_f32_e32 v0, v0, v0
	;; [unrolled: 1-line block ×3, first 2 shown]
	s_mov_b64 s[38:39], 0
.LBB6_13467:                            ;   in Loop: Header=BB6_10813 Depth=3
	s_and_b64 vcc, exec, s[38:39]
	s_cbranch_vccz .LBB6_13481
; %bb.13468:                            ;   in Loop: Header=BB6_10813 Depth=3
	v_mov_b32_e32 v1, 0
	v_mov_b32_e32 v0, 0
	s_and_saveexec_b64 s[38:39], s[40:41]
	s_cbranch_execz .LBB6_13474
; %bb.13469:                            ;   in Loop: Header=BB6_10813 Depth=3
	v_cmp_ne_u16_sdwa vcc, v15, s82 src0_sel:BYTE_0 src1_sel:DWORD
	v_bfrev_b32_e32 v0, 1
	s_and_saveexec_b64 s[40:41], vcc
	s_cbranch_execz .LBB6_13473
; %bb.13470:                            ;   in Loop: Header=BB6_10813 Depth=3
	v_and_b32_e32 v8, 0x7f, v15
	v_cmp_ne_u32_e32 vcc, s83, v8
	v_mov_b32_e32 v0, 0x7f800001
	s_and_saveexec_b64 s[48:49], vcc
	s_cbranch_execz .LBB6_13472
; %bb.13471:                            ;   in Loop: Header=BB6_10813 Depth=3
	v_and_b32_e32 v0, 7, v15
	v_ffbh_u32_e32 v0, v0
	v_min_u32_e32 v0, 32, v0
	v_lshrrev_b32_e32 v9, 3, v8
	v_cmp_gt_u32_e32 vcc, 8, v8
	v_subrev_u32_e32 v8, 28, v0
	v_sub_u32_e32 v0, 29, v0
	v_cndmask_b32_e32 v8, 0, v8, vcc
	v_cndmask_b32_e32 v0, v9, v0, vcc
	v_lshlrev_b64 v[8:9], v8, v[52:53]
	v_lshlrev_b32_e32 v9, 24, v52
	v_lshlrev_b32_e32 v8, 20, v8
	v_bfrev_b32_e32 v36, 60
	v_and_b32_e32 v8, 0x700000, v8
	v_and_b32_e32 v9, 0x80000000, v9
	v_lshl_add_u32 v0, v0, 23, v36
	v_or3_b32 v0, v9, v0, v8
.LBB6_13472:                            ;   in Loop: Header=BB6_10813 Depth=3
	s_or_b64 exec, exec, s[48:49]
.LBB6_13473:                            ;   in Loop: Header=BB6_10813 Depth=3
	s_or_b64 exec, exec, s[40:41]
.LBB6_13474:                            ;   in Loop: Header=BB6_10813 Depth=3
	s_or_b64 exec, exec, s[38:39]
	v_cmp_ne_u16_sdwa vcc, v11, v53 src0_sel:BYTE_0 src1_sel:DWORD
	s_and_saveexec_b64 s[40:41], vcc
	s_cbranch_execz .LBB6_13480
; %bb.13475:                            ;   in Loop: Header=BB6_10813 Depth=3
	v_cmp_ne_u16_sdwa vcc, v11, s82 src0_sel:BYTE_0 src1_sel:DWORD
	v_bfrev_b32_e32 v1, 1
	s_and_saveexec_b64 s[38:39], vcc
	s_cbranch_execz .LBB6_13479
; %bb.13476:                            ;   in Loop: Header=BB6_10813 Depth=3
	v_and_b32_e32 v8, 0x7f, v11
	v_cmp_ne_u32_e32 vcc, s83, v8
	v_mov_b32_e32 v1, 0x7f800001
	s_and_saveexec_b64 s[48:49], vcc
	s_cbranch_execz .LBB6_13478
; %bb.13477:                            ;   in Loop: Header=BB6_10813 Depth=3
	v_and_b32_e32 v1, 7, v11
	v_ffbh_u32_e32 v1, v1
	v_min_u32_e32 v1, 32, v1
	v_lshrrev_b32_e32 v9, 3, v8
	v_cmp_gt_u32_e32 vcc, 8, v8
	v_subrev_u32_e32 v8, 28, v1
	v_sub_u32_e32 v1, 29, v1
	v_cndmask_b32_e32 v8, 0, v8, vcc
	v_cndmask_b32_e32 v1, v9, v1, vcc
	v_lshlrev_b64 v[8:9], v8, v[2:3]
	v_bfrev_b32_e32 v9, 60
	v_lshlrev_b32_e32 v3, 20, v8
	v_lshlrev_b32_e32 v8, 24, v2
	v_and_b32_e32 v3, 0x700000, v3
	v_and_b32_e32 v8, 0x80000000, v8
	v_lshl_add_u32 v1, v1, 23, v9
	v_or3_b32 v1, v8, v1, v3
.LBB6_13478:                            ;   in Loop: Header=BB6_10813 Depth=3
	s_or_b64 exec, exec, s[48:49]
.LBB6_13479:                            ;   in Loop: Header=BB6_10813 Depth=3
	s_or_b64 exec, exec, s[38:39]
.LBB6_13480:                            ;   in Loop: Header=BB6_10813 Depth=3
	s_or_b64 exec, exec, s[40:41]
	v_max_f32_e32 v1, v1, v1
	v_max_f32_e32 v0, v0, v0
	v_min_f32_e32 v0, v0, v1
.LBB6_13481:                            ;   in Loop: Header=BB6_10813 Depth=3
	v_and_b32_e32 v8, 0x7f800000, v0
	v_mov_b32_e32 v9, v53
	v_cmp_ne_u64_e32 vcc, s[76:77], v[8:9]
                                        ; implicit-def: $vgpr9
	s_and_saveexec_b64 s[40:41], vcc
	s_xor_b64 s[38:39], exec, s[40:41]
	s_cbranch_execz .LBB6_13495
; %bb.13482:                            ;   in Loop: Header=BB6_10813 Depth=3
	v_and_b32_e32 v8, 0x7fffffff, v0
	v_mov_b32_e32 v9, v53
	v_cmp_gt_u64_e32 vcc, s[78:79], v[8:9]
	v_and_b32_sdwa v3, v0, s82 dst_sel:DWORD dst_unused:UNUSED_PAD src0_sel:BYTE_3 src1_sel:DWORD
                                        ; implicit-def: $vgpr9
	s_and_saveexec_b64 s[40:41], vcc
	s_xor_b64 s[48:49], exec, s[40:41]
	s_cbranch_execz .LBB6_13492
; %bb.13483:                            ;   in Loop: Header=BB6_10813 Depth=3
	v_mov_b32_e32 v9, 0
	v_cmp_ne_u32_e32 vcc, 0, v0
	s_and_saveexec_b64 s[50:51], vcc
	s_cbranch_execz .LBB6_13491
; %bb.13484:                            ;   in Loop: Header=BB6_10813 Depth=3
	v_bfe_u32 v50, v0, 23, 8
	v_and_b32_e32 v1, 0x7fffff, v0
	v_cmp_gt_u32_e64 s[40:41], s85, v50
	v_sub_u32_e32 v0, 0x79, v50
	v_cmp_eq_u32_e32 vcc, 0, v50
	v_cndmask_b32_e64 v0, 0, v0, s[40:41]
	v_mov_b32_e32 v9, 0x78
	v_or_b32_e32 v8, 0x800000, v1
	v_cndmask_b32_e32 v51, v0, v9, vcc
	v_cndmask_b32_e32 v0, v8, v1, vcc
	v_add_u32_e32 v8, 20, v51
	v_lshlrev_b64 v[8:9], v8, -1
	v_mov_b32_e32 v1, v53
	v_add_u32_e32 v36, 19, v51
	v_bfi_b32 v8, v8, 0, v0
	v_lshlrev_b64 v[36:37], v36, 1
	v_lshrrev_b64 v[0:1], v51, v[0:1]
	v_bfi_b32 v9, v9, 0, 0
	v_cmp_eq_u64_e64 s[40:41], v[8:9], v[36:37]
	v_mov_b32_e32 v9, v1
	v_mov_b32_e32 v8, v0
	s_and_saveexec_b64 s[52:53], s[40:41]
; %bb.13485:                            ;   in Loop: Header=BB6_10813 Depth=3
	v_bfe_u32 v1, v0, 20, 1
	v_add_co_u32_e64 v1, s[40:41], v0, v1
	v_add_co_u32_e64 v8, s[40:41], -1, v1
; %bb.13486:                            ;   in Loop: Header=BB6_10813 Depth=3
	s_or_b64 exec, exec, s[52:53]
	v_add_u32_e32 v1, 0xffffff81, v50
	v_mov_b32_e32 v9, 0xffffff82
	v_cndmask_b32_e32 v1, v1, v9, vcc
	v_lshrrev_b32_e32 v9, 23, v0
	v_add3_u32 v50, v51, v1, v9
	v_add_u32_e32 v9, 6, v50
	v_and_b32_e32 v1, 0xfffff, v8
	v_add_u32_e32 v0, v1, v0
	v_mov_b32_e32 v1, v53
	v_cmp_ne_u32_e32 vcc, 0, v9
                                        ; implicit-def: $vgpr8
	s_and_saveexec_b64 s[40:41], vcc
	s_xor_b64 s[40:41], exec, s[40:41]
; %bb.13487:                            ;   in Loop: Header=BB6_10813 Depth=3
	v_cmp_lt_u64_e32 vcc, s[88:89], v[0:1]
	v_add_u32_e32 v8, 7, v50
	v_cndmask_b32_e32 v8, v9, v8, vcc
	v_cndmask_b32_e64 v9, 0, 1, vcc
	v_lshrrev_b64 v[0:1], v9, v[0:1]
; %bb.13488:                            ;   in Loop: Header=BB6_10813 Depth=3
	s_andn2_saveexec_b64 s[40:41], s[40:41]
; %bb.13489:                            ;   in Loop: Header=BB6_10813 Depth=3
	v_bfe_u32 v8, v0, 23, 1
; %bb.13490:                            ;   in Loop: Header=BB6_10813 Depth=3
	s_or_b64 exec, exec, s[40:41]
	v_lshrrev_b64 v[0:1], 20, v[0:1]
	v_cmp_gt_i32_e32 vcc, 16, v8
	v_cndmask_b32_e32 v1, 0, v1, vcc
	v_cndmask_b32_e32 v0, 7, v0, vcc
	v_cmp_eq_u64_e64 s[40:41], 0, v[0:1]
	v_min_i32_e32 v1, 15, v8
	v_lshlrev_b32_e32 v1, 3, v1
	v_cmp_eq_u32_e32 vcc, 0, v8
	v_and_b32_e32 v1, 0xf8, v1
	v_and_or_b32 v0, v0, 7, v1
	s_and_b64 s[40:41], vcc, s[40:41]
	v_cndmask_b32_e64 v0, v0, 0, s[40:41]
	v_or_b32_e32 v9, v0, v3
.LBB6_13491:                            ;   in Loop: Header=BB6_10813 Depth=3
	s_or_b64 exec, exec, s[50:51]
                                        ; implicit-def: $vgpr3
.LBB6_13492:                            ;   in Loop: Header=BB6_10813 Depth=3
	s_andn2_saveexec_b64 s[40:41], s[48:49]
; %bb.13493:                            ;   in Loop: Header=BB6_10813 Depth=3
	v_or_b32_e32 v9, 0x7e, v3
; %bb.13494:                            ;   in Loop: Header=BB6_10813 Depth=3
	s_or_b64 exec, exec, s[40:41]
                                        ; implicit-def: $vgpr0
.LBB6_13495:                            ;   in Loop: Header=BB6_10813 Depth=3
	s_andn2_saveexec_b64 s[40:41], s[38:39]
; %bb.13496:                            ;   in Loop: Header=BB6_10813 Depth=3
	v_or_b32_sdwa v9, v0, s83 dst_sel:DWORD dst_unused:UNUSED_PAD src0_sel:BYTE_3 src1_sel:DWORD
; %bb.13497:                            ;   in Loop: Header=BB6_10813 Depth=3
	s_or_b64 exec, exec, s[40:41]
	v_lshrrev_b16_e32 v8, 8, v52
	v_lshrrev_b16_e32 v3, 8, v2
	v_cmp_ne_u16_e64 s[40:41], 0, v8
	s_and_b64 vcc, exec, s[28:29]
	s_mov_b64 s[38:39], -1
                                        ; implicit-def: $vgpr0
	s_cbranch_vccnz .LBB6_13511
; %bb.13498:                            ;   in Loop: Header=BB6_10813 Depth=3
	v_mov_b32_e32 v1, 0
	v_mov_b32_e32 v0, 0
	s_and_saveexec_b64 s[38:39], s[40:41]
	s_cbranch_execz .LBB6_13504
; %bb.13499:                            ;   in Loop: Header=BB6_10813 Depth=3
	v_cmp_ne_u16_e32 vcc, s82, v8
	v_bfrev_b32_e32 v0, 1
	s_and_saveexec_b64 s[48:49], vcc
	s_cbranch_execz .LBB6_13503
; %bb.13500:                            ;   in Loop: Header=BB6_10813 Depth=3
	v_and_b32_e32 v50, 0x7f, v8
	v_cmp_ne_u32_e32 vcc, s83, v50
	v_mov_b32_e32 v0, 0x7f800001
	s_and_saveexec_b64 s[50:51], vcc
	s_cbranch_execz .LBB6_13502
; %bb.13501:                            ;   in Loop: Header=BB6_10813 Depth=3
	v_and_b32_e32 v0, 7, v8
	v_ffbh_u32_e32 v36, v0
	v_lshrrev_b32_e32 v51, 3, v50
	v_cmp_gt_u32_e32 vcc, 8, v50
	v_min_u32_e32 v50, 32, v36
	v_subrev_u32_e32 v36, 28, v50
	v_lshlrev_b64 v[36:37], v36, v[8:9]
	v_sub_u32_e32 v37, 29, v50
	v_and_b32_e32 v36, 7, v36
	v_cndmask_b32_e32 v37, v51, v37, vcc
	v_cndmask_b32_e32 v0, v0, v36, vcc
	v_lshlrev_b32_e32 v36, 16, v52
	v_bfrev_b32_e32 v50, 60
	v_lshlrev_b32_e32 v0, 20, v0
	v_and_b32_e32 v36, 0x80000000, v36
	v_lshl_add_u32 v37, v37, 23, v50
	v_or3_b32 v0, v36, v37, v0
.LBB6_13502:                            ;   in Loop: Header=BB6_10813 Depth=3
	s_or_b64 exec, exec, s[50:51]
.LBB6_13503:                            ;   in Loop: Header=BB6_10813 Depth=3
	s_or_b64 exec, exec, s[48:49]
.LBB6_13504:                            ;   in Loop: Header=BB6_10813 Depth=3
	s_or_b64 exec, exec, s[38:39]
	v_cmp_ne_u16_e32 vcc, 0, v3
	s_and_saveexec_b64 s[38:39], vcc
	s_cbranch_execz .LBB6_13510
; %bb.13505:                            ;   in Loop: Header=BB6_10813 Depth=3
	v_cmp_ne_u16_e32 vcc, s82, v3
	v_bfrev_b32_e32 v1, 1
	s_and_saveexec_b64 s[48:49], vcc
	s_cbranch_execz .LBB6_13509
; %bb.13506:                            ;   in Loop: Header=BB6_10813 Depth=3
	v_and_b32_e32 v50, 0x7f, v3
	v_cmp_ne_u32_e32 vcc, s83, v50
	v_mov_b32_e32 v1, 0x7f800001
	s_and_saveexec_b64 s[50:51], vcc
	s_cbranch_execz .LBB6_13508
; %bb.13507:                            ;   in Loop: Header=BB6_10813 Depth=3
	v_and_b32_e32 v1, 7, v3
	v_ffbh_u32_e32 v36, v1
	v_lshrrev_b32_e32 v51, 3, v50
	v_cmp_gt_u32_e32 vcc, 8, v50
	v_min_u32_e32 v50, 32, v36
	v_subrev_u32_e32 v36, 28, v50
	v_lshlrev_b64 v[36:37], v36, v[3:4]
	v_sub_u32_e32 v37, 29, v50
	v_and_b32_e32 v36, 7, v36
	v_cndmask_b32_e32 v37, v51, v37, vcc
	v_cndmask_b32_e32 v1, v1, v36, vcc
	v_lshlrev_b32_e32 v36, 16, v2
	v_bfrev_b32_e32 v50, 60
	v_lshlrev_b32_e32 v1, 20, v1
	v_and_b32_e32 v36, 0x80000000, v36
	v_lshl_add_u32 v37, v37, 23, v50
	v_or3_b32 v1, v36, v37, v1
.LBB6_13508:                            ;   in Loop: Header=BB6_10813 Depth=3
	s_or_b64 exec, exec, s[50:51]
.LBB6_13509:                            ;   in Loop: Header=BB6_10813 Depth=3
	s_or_b64 exec, exec, s[48:49]
.LBB6_13510:                            ;   in Loop: Header=BB6_10813 Depth=3
	s_or_b64 exec, exec, s[38:39]
	v_max_f32_e32 v1, v1, v1
	v_max_f32_e32 v0, v0, v0
	;; [unrolled: 1-line block ×3, first 2 shown]
	s_mov_b64 s[38:39], 0
.LBB6_13511:                            ;   in Loop: Header=BB6_10813 Depth=3
	s_and_b64 vcc, exec, s[38:39]
	s_cbranch_vccz .LBB6_13525
; %bb.13512:                            ;   in Loop: Header=BB6_10813 Depth=3
	v_mov_b32_e32 v1, 0
	v_mov_b32_e32 v0, 0
	s_and_saveexec_b64 s[38:39], s[40:41]
	s_cbranch_execz .LBB6_13518
; %bb.13513:                            ;   in Loop: Header=BB6_10813 Depth=3
	v_cmp_ne_u16_e32 vcc, s82, v8
	v_bfrev_b32_e32 v0, 1
	s_and_saveexec_b64 s[40:41], vcc
	s_cbranch_execz .LBB6_13517
; %bb.13514:                            ;   in Loop: Header=BB6_10813 Depth=3
	v_and_b32_e32 v50, 0x7f, v8
	v_cmp_ne_u32_e32 vcc, s83, v50
	v_mov_b32_e32 v0, 0x7f800001
	s_and_saveexec_b64 s[48:49], vcc
	s_cbranch_execz .LBB6_13516
; %bb.13515:                            ;   in Loop: Header=BB6_10813 Depth=3
	v_and_b32_e32 v0, 7, v8
	v_ffbh_u32_e32 v36, v0
	v_lshrrev_b32_e32 v51, 3, v50
	v_cmp_gt_u32_e32 vcc, 8, v50
	v_min_u32_e32 v50, 32, v36
	v_subrev_u32_e32 v36, 28, v50
	v_lshlrev_b64 v[36:37], v36, v[8:9]
	v_sub_u32_e32 v8, 29, v50
	v_and_b32_e32 v36, 7, v36
	v_cndmask_b32_e32 v8, v51, v8, vcc
	v_cndmask_b32_e32 v0, v0, v36, vcc
	v_lshlrev_b32_e32 v36, 16, v52
	v_bfrev_b32_e32 v37, 60
	v_lshlrev_b32_e32 v0, 20, v0
	v_and_b32_e32 v36, 0x80000000, v36
	v_lshl_add_u32 v8, v8, 23, v37
	v_or3_b32 v0, v36, v8, v0
.LBB6_13516:                            ;   in Loop: Header=BB6_10813 Depth=3
	s_or_b64 exec, exec, s[48:49]
.LBB6_13517:                            ;   in Loop: Header=BB6_10813 Depth=3
	s_or_b64 exec, exec, s[40:41]
.LBB6_13518:                            ;   in Loop: Header=BB6_10813 Depth=3
	s_or_b64 exec, exec, s[38:39]
	v_cmp_ne_u16_e32 vcc, 0, v3
	s_and_saveexec_b64 s[40:41], vcc
	s_cbranch_execz .LBB6_13524
; %bb.13519:                            ;   in Loop: Header=BB6_10813 Depth=3
	v_cmp_ne_u16_e32 vcc, s82, v3
	v_bfrev_b32_e32 v1, 1
	s_and_saveexec_b64 s[38:39], vcc
	s_cbranch_execz .LBB6_13523
; %bb.13520:                            ;   in Loop: Header=BB6_10813 Depth=3
	v_and_b32_e32 v8, 0x7f, v3
	v_cmp_ne_u32_e32 vcc, s83, v8
	v_mov_b32_e32 v1, 0x7f800001
	s_and_saveexec_b64 s[48:49], vcc
	s_cbranch_execz .LBB6_13522
; %bb.13521:                            ;   in Loop: Header=BB6_10813 Depth=3
	v_and_b32_e32 v1, 7, v3
	v_lshrrev_b32_e32 v50, 3, v8
	v_cmp_gt_u32_e32 vcc, 8, v8
	v_ffbh_u32_e32 v8, v1
	v_min_u32_e32 v8, 32, v8
	v_subrev_u32_e32 v36, 28, v8
	v_lshlrev_b64 v[36:37], v36, v[3:4]
	v_sub_u32_e32 v3, 29, v8
	v_and_b32_e32 v8, 7, v36
	v_cndmask_b32_e32 v3, v50, v3, vcc
	v_cndmask_b32_e32 v1, v1, v8, vcc
	v_lshlrev_b32_e32 v2, 16, v2
	v_bfrev_b32_e32 v8, 60
	v_lshlrev_b32_e32 v1, 20, v1
	v_and_b32_e32 v2, 0x80000000, v2
	v_lshl_add_u32 v3, v3, 23, v8
	v_or3_b32 v1, v2, v3, v1
.LBB6_13522:                            ;   in Loop: Header=BB6_10813 Depth=3
	s_or_b64 exec, exec, s[48:49]
.LBB6_13523:                            ;   in Loop: Header=BB6_10813 Depth=3
	s_or_b64 exec, exec, s[38:39]
.LBB6_13524:                            ;   in Loop: Header=BB6_10813 Depth=3
	s_or_b64 exec, exec, s[40:41]
	v_max_f32_e32 v1, v1, v1
	v_max_f32_e32 v0, v0, v0
	v_min_f32_e32 v0, v0, v1
.LBB6_13525:                            ;   in Loop: Header=BB6_10813 Depth=3
	v_and_b32_e32 v52, 0x7f800000, v0
	v_cmp_ne_u64_e32 vcc, s[76:77], v[52:53]
                                        ; implicit-def: $vgpr3
	s_and_saveexec_b64 s[40:41], vcc
	s_xor_b64 s[38:39], exec, s[40:41]
	s_cbranch_execz .LBB6_13539
; %bb.13526:                            ;   in Loop: Header=BB6_10813 Depth=3
	v_and_b32_e32 v52, 0x7fffffff, v0
	v_cmp_gt_u64_e32 vcc, s[78:79], v[52:53]
	v_and_b32_sdwa v8, v0, s82 dst_sel:DWORD dst_unused:UNUSED_PAD src0_sel:BYTE_3 src1_sel:DWORD
                                        ; implicit-def: $vgpr3
	s_and_saveexec_b64 s[40:41], vcc
	s_xor_b64 s[48:49], exec, s[40:41]
	s_cbranch_execz .LBB6_13536
; %bb.13527:                            ;   in Loop: Header=BB6_10813 Depth=3
	v_mov_b32_e32 v3, 0
	v_cmp_ne_u32_e32 vcc, 0, v0
	s_and_saveexec_b64 s[50:51], vcc
	s_cbranch_execz .LBB6_13535
; %bb.13528:                            ;   in Loop: Header=BB6_10813 Depth=3
	v_bfe_u32 v3, v0, 23, 8
	v_and_b32_e32 v1, 0x7fffff, v0
	v_cmp_gt_u32_e64 s[40:41], s85, v3
	v_sub_u32_e32 v0, 0x79, v3
	v_cmp_eq_u32_e32 vcc, 0, v3
	v_cndmask_b32_e64 v0, 0, v0, s[40:41]
	v_mov_b32_e32 v36, 0x78
	v_cndmask_b32_e32 v50, v0, v36, vcc
	v_or_b32_e32 v2, 0x800000, v1
	v_add_u32_e32 v0, 20, v50
	v_cndmask_b32_e32 v52, v2, v1, vcc
	v_lshlrev_b64 v[0:1], v0, -1
	v_add_u32_e32 v2, 19, v50
	v_lshlrev_b64 v[36:37], v2, 1
	v_bfi_b32 v1, v1, 0, 0
	v_bfi_b32 v0, v0, 0, v52
	v_cmp_eq_u64_e64 s[40:41], v[0:1], v[36:37]
	v_lshrrev_b64 v[0:1], v50, v[52:53]
	v_mov_b32_e32 v2, v1
	v_mov_b32_e32 v1, v0
	s_and_saveexec_b64 s[52:53], s[40:41]
; %bb.13529:                            ;   in Loop: Header=BB6_10813 Depth=3
	v_bfe_u32 v1, v0, 20, 1
	v_add_co_u32_e64 v1, s[40:41], v0, v1
	v_add_co_u32_e64 v1, s[40:41], -1, v1
; %bb.13530:                            ;   in Loop: Header=BB6_10813 Depth=3
	s_or_b64 exec, exec, s[52:53]
	v_add_u32_e32 v2, 0xffffff81, v3
	v_mov_b32_e32 v3, 0xffffff82
	v_cndmask_b32_e32 v2, v2, v3, vcc
	v_lshrrev_b32_e32 v3, 23, v0
	v_add3_u32 v50, v50, v2, v3
	v_add_u32_e32 v3, 6, v50
	v_and_b32_e32 v1, 0xfffff, v1
	v_add_u32_e32 v52, v1, v0
	v_cmp_ne_u32_e32 vcc, 0, v3
                                        ; implicit-def: $vgpr0_vgpr1
                                        ; implicit-def: $vgpr2
	s_and_saveexec_b64 s[40:41], vcc
	s_xor_b64 s[40:41], exec, s[40:41]
; %bb.13531:                            ;   in Loop: Header=BB6_10813 Depth=3
	v_cmp_lt_u64_e32 vcc, s[88:89], v[52:53]
	v_add_u32_e32 v0, 7, v50
	v_cndmask_b32_e32 v2, v3, v0, vcc
	v_cndmask_b32_e64 v0, 0, 1, vcc
	v_lshrrev_b64 v[0:1], v0, v[52:53]
; %bb.13532:                            ;   in Loop: Header=BB6_10813 Depth=3
	s_andn2_saveexec_b64 s[40:41], s[40:41]
; %bb.13533:                            ;   in Loop: Header=BB6_10813 Depth=3
	v_mov_b32_e32 v0, v52
	v_bfe_u32 v2, v52, 23, 1
	v_mov_b32_e32 v1, v53
; %bb.13534:                            ;   in Loop: Header=BB6_10813 Depth=3
	s_or_b64 exec, exec, s[40:41]
	v_lshrrev_b64 v[0:1], 20, v[0:1]
	v_cmp_gt_i32_e32 vcc, 16, v2
	v_cndmask_b32_e32 v1, 0, v1, vcc
	v_cndmask_b32_e32 v0, 7, v0, vcc
	v_cmp_eq_u64_e64 s[40:41], 0, v[0:1]
	v_min_i32_e32 v1, 15, v2
	v_lshlrev_b32_e32 v1, 3, v1
	v_cmp_eq_u32_e32 vcc, 0, v2
	v_and_b32_e32 v1, 0xf8, v1
	v_and_or_b32 v0, v0, 7, v1
	s_and_b64 s[40:41], vcc, s[40:41]
	v_cndmask_b32_e64 v0, v0, 0, s[40:41]
	v_or_b32_e32 v3, v0, v8
.LBB6_13535:                            ;   in Loop: Header=BB6_10813 Depth=3
	s_or_b64 exec, exec, s[50:51]
                                        ; implicit-def: $vgpr8
.LBB6_13536:                            ;   in Loop: Header=BB6_10813 Depth=3
	s_andn2_saveexec_b64 s[40:41], s[48:49]
; %bb.13537:                            ;   in Loop: Header=BB6_10813 Depth=3
	v_or_b32_e32 v3, 0x7e, v8
; %bb.13538:                            ;   in Loop: Header=BB6_10813 Depth=3
	s_or_b64 exec, exec, s[40:41]
                                        ; implicit-def: $vgpr0
.LBB6_13539:                            ;   in Loop: Header=BB6_10813 Depth=3
	s_andn2_saveexec_b64 s[40:41], s[38:39]
; %bb.13540:                            ;   in Loop: Header=BB6_10813 Depth=3
	v_or_b32_sdwa v3, v0, s83 dst_sel:DWORD dst_unused:UNUSED_PAD src0_sel:BYTE_3 src1_sel:DWORD
; %bb.13541:                            ;   in Loop: Header=BB6_10813 Depth=3
	s_or_b64 exec, exec, s[40:41]
	v_lshrrev_b32_e32 v2, 16, v15
	v_lshrrev_b32_e32 v0, 16, v11
	v_cmp_ne_u16_sdwa s[40:41], v2, v53 src0_sel:BYTE_0 src1_sel:DWORD
	s_and_b64 vcc, exec, s[28:29]
	s_mov_b64 s[38:39], -1
                                        ; implicit-def: $vgpr1
	s_cbranch_vccnz .LBB6_13555
; %bb.13542:                            ;   in Loop: Header=BB6_10813 Depth=3
	v_mov_b32_e32 v8, 0
	v_mov_b32_e32 v1, 0
	s_and_saveexec_b64 s[38:39], s[40:41]
	s_cbranch_execz .LBB6_13548
; %bb.13543:                            ;   in Loop: Header=BB6_10813 Depth=3
	v_cmp_ne_u16_sdwa vcc, v2, s82 src0_sel:BYTE_0 src1_sel:DWORD
	v_bfrev_b32_e32 v1, 1
	s_and_saveexec_b64 s[48:49], vcc
	s_cbranch_execz .LBB6_13547
; %bb.13544:                            ;   in Loop: Header=BB6_10813 Depth=3
	v_bfe_u32 v50, v15, 16, 7
	v_cmp_ne_u32_e32 vcc, s83, v50
	v_mov_b32_e32 v1, 0x7f800001
	s_and_saveexec_b64 s[50:51], vcc
	s_cbranch_execz .LBB6_13546
; %bb.13545:                            ;   in Loop: Header=BB6_10813 Depth=3
	v_and_b32_e32 v1, 7, v2
	v_ffbh_u32_e32 v36, v1
	v_lshrrev_b32_e32 v51, 3, v50
	v_cmp_gt_u32_e32 vcc, 8, v50
	v_min_u32_e32 v50, 32, v36
	v_subrev_u32_e32 v36, 28, v50
	v_lshlrev_b64 v[36:37], v36, v[2:3]
	v_sub_u32_e32 v37, 29, v50
	v_and_b32_e32 v36, 7, v36
	v_cndmask_b32_e32 v37, v51, v37, vcc
	v_cndmask_b32_e32 v1, v1, v36, vcc
	v_lshlrev_b32_e32 v36, 24, v2
	v_bfrev_b32_e32 v50, 60
	v_lshlrev_b32_e32 v1, 20, v1
	v_and_b32_e32 v36, 0x80000000, v36
	v_lshl_add_u32 v37, v37, 23, v50
	v_or3_b32 v1, v36, v37, v1
.LBB6_13546:                            ;   in Loop: Header=BB6_10813 Depth=3
	s_or_b64 exec, exec, s[50:51]
.LBB6_13547:                            ;   in Loop: Header=BB6_10813 Depth=3
	s_or_b64 exec, exec, s[48:49]
.LBB6_13548:                            ;   in Loop: Header=BB6_10813 Depth=3
	s_or_b64 exec, exec, s[38:39]
	v_cmp_ne_u16_sdwa vcc, v0, v53 src0_sel:BYTE_0 src1_sel:DWORD
	s_and_saveexec_b64 s[38:39], vcc
	s_cbranch_execz .LBB6_13554
; %bb.13549:                            ;   in Loop: Header=BB6_10813 Depth=3
	v_cmp_ne_u16_sdwa vcc, v0, s82 src0_sel:BYTE_0 src1_sel:DWORD
	v_bfrev_b32_e32 v8, 1
	s_and_saveexec_b64 s[48:49], vcc
	s_cbranch_execz .LBB6_13553
; %bb.13550:                            ;   in Loop: Header=BB6_10813 Depth=3
	v_bfe_u32 v50, v11, 16, 7
	v_cmp_ne_u32_e32 vcc, s83, v50
	v_mov_b32_e32 v8, 0x7f800001
	s_and_saveexec_b64 s[50:51], vcc
	s_cbranch_execz .LBB6_13552
; %bb.13551:                            ;   in Loop: Header=BB6_10813 Depth=3
	v_and_b32_e32 v8, 7, v0
	v_ffbh_u32_e32 v36, v8
	v_lshrrev_b32_e32 v51, 3, v50
	v_cmp_gt_u32_e32 vcc, 8, v50
	v_min_u32_e32 v50, 32, v36
	v_subrev_u32_e32 v36, 28, v50
	v_lshlrev_b64 v[36:37], v36, v[0:1]
	v_sub_u32_e32 v37, 29, v50
	v_and_b32_e32 v36, 7, v36
	v_cndmask_b32_e32 v37, v51, v37, vcc
	v_cndmask_b32_e32 v8, v8, v36, vcc
	v_lshlrev_b32_e32 v36, 24, v0
	v_bfrev_b32_e32 v50, 60
	v_lshlrev_b32_e32 v8, 20, v8
	v_and_b32_e32 v36, 0x80000000, v36
	v_lshl_add_u32 v37, v37, 23, v50
	v_or3_b32 v8, v36, v37, v8
.LBB6_13552:                            ;   in Loop: Header=BB6_10813 Depth=3
	s_or_b64 exec, exec, s[50:51]
.LBB6_13553:                            ;   in Loop: Header=BB6_10813 Depth=3
	s_or_b64 exec, exec, s[48:49]
.LBB6_13554:                            ;   in Loop: Header=BB6_10813 Depth=3
	s_or_b64 exec, exec, s[38:39]
	v_max_f32_e32 v8, v8, v8
	v_max_f32_e32 v1, v1, v1
	;; [unrolled: 1-line block ×3, first 2 shown]
	s_mov_b64 s[38:39], 0
.LBB6_13555:                            ;   in Loop: Header=BB6_10813 Depth=3
	s_and_b64 vcc, exec, s[38:39]
	s_cbranch_vccz .LBB6_13569
; %bb.13556:                            ;   in Loop: Header=BB6_10813 Depth=3
	v_mov_b32_e32 v8, 0
	v_mov_b32_e32 v1, 0
	s_and_saveexec_b64 s[38:39], s[40:41]
	s_cbranch_execz .LBB6_13562
; %bb.13557:                            ;   in Loop: Header=BB6_10813 Depth=3
	v_cmp_ne_u16_sdwa vcc, v2, s82 src0_sel:BYTE_0 src1_sel:DWORD
	v_bfrev_b32_e32 v1, 1
	s_and_saveexec_b64 s[40:41], vcc
	s_cbranch_execz .LBB6_13561
; %bb.13558:                            ;   in Loop: Header=BB6_10813 Depth=3
	v_bfe_u32 v50, v15, 16, 7
	v_cmp_ne_u32_e32 vcc, s83, v50
	v_mov_b32_e32 v1, 0x7f800001
	s_and_saveexec_b64 s[48:49], vcc
	s_cbranch_execz .LBB6_13560
; %bb.13559:                            ;   in Loop: Header=BB6_10813 Depth=3
	v_and_b32_e32 v1, 7, v2
	v_ffbh_u32_e32 v36, v1
	v_lshrrev_b32_e32 v51, 3, v50
	v_cmp_gt_u32_e32 vcc, 8, v50
	v_min_u32_e32 v50, 32, v36
	v_subrev_u32_e32 v36, 28, v50
	v_lshlrev_b64 v[36:37], v36, v[2:3]
	v_sub_u32_e32 v37, 29, v50
	v_and_b32_e32 v36, 7, v36
	v_cndmask_b32_e32 v37, v51, v37, vcc
	v_cndmask_b32_e32 v1, v1, v36, vcc
	v_lshlrev_b32_e32 v2, 24, v2
	v_bfrev_b32_e32 v36, 60
	v_lshlrev_b32_e32 v1, 20, v1
	v_and_b32_e32 v2, 0x80000000, v2
	v_lshl_add_u32 v36, v37, 23, v36
	v_or3_b32 v1, v2, v36, v1
.LBB6_13560:                            ;   in Loop: Header=BB6_10813 Depth=3
	s_or_b64 exec, exec, s[48:49]
.LBB6_13561:                            ;   in Loop: Header=BB6_10813 Depth=3
	s_or_b64 exec, exec, s[40:41]
.LBB6_13562:                            ;   in Loop: Header=BB6_10813 Depth=3
	s_or_b64 exec, exec, s[38:39]
	v_cmp_ne_u16_sdwa vcc, v0, v53 src0_sel:BYTE_0 src1_sel:DWORD
	s_and_saveexec_b64 s[40:41], vcc
	s_cbranch_execz .LBB6_13568
; %bb.13563:                            ;   in Loop: Header=BB6_10813 Depth=3
	v_cmp_ne_u16_sdwa vcc, v0, s82 src0_sel:BYTE_0 src1_sel:DWORD
	v_bfrev_b32_e32 v8, 1
	s_and_saveexec_b64 s[38:39], vcc
	s_cbranch_execz .LBB6_13567
; %bb.13564:                            ;   in Loop: Header=BB6_10813 Depth=3
	v_bfe_u32 v2, v11, 16, 7
	v_cmp_ne_u32_e32 vcc, s83, v2
	v_mov_b32_e32 v8, 0x7f800001
	s_and_saveexec_b64 s[48:49], vcc
	s_cbranch_execz .LBB6_13566
; %bb.13565:                            ;   in Loop: Header=BB6_10813 Depth=3
	v_and_b32_e32 v8, 7, v0
	v_lshrrev_b32_e32 v50, 3, v2
	v_cmp_gt_u32_e32 vcc, 8, v2
	v_ffbh_u32_e32 v2, v8
	v_min_u32_e32 v2, 32, v2
	v_subrev_u32_e32 v36, 28, v2
	v_lshlrev_b64 v[36:37], v36, v[0:1]
	v_sub_u32_e32 v2, 29, v2
	v_and_b32_e32 v36, 7, v36
	v_cndmask_b32_e32 v2, v50, v2, vcc
	v_cndmask_b32_e32 v8, v8, v36, vcc
	v_lshlrev_b32_e32 v0, 24, v0
	v_bfrev_b32_e32 v36, 60
	v_lshlrev_b32_e32 v8, 20, v8
	v_and_b32_e32 v0, 0x80000000, v0
	v_lshl_add_u32 v2, v2, 23, v36
	v_or3_b32 v8, v0, v2, v8
.LBB6_13566:                            ;   in Loop: Header=BB6_10813 Depth=3
	s_or_b64 exec, exec, s[48:49]
.LBB6_13567:                            ;   in Loop: Header=BB6_10813 Depth=3
	s_or_b64 exec, exec, s[38:39]
.LBB6_13568:                            ;   in Loop: Header=BB6_10813 Depth=3
	s_or_b64 exec, exec, s[40:41]
	v_max_f32_e32 v0, v8, v8
	v_max_f32_e32 v1, v1, v1
	v_min_f32_e32 v1, v1, v0
.LBB6_13569:                            ;   in Loop: Header=BB6_10813 Depth=3
	v_and_b32_e32 v52, 0x7f800000, v1
	v_cmp_ne_u64_e32 vcc, s[76:77], v[52:53]
                                        ; implicit-def: $vgpr8
	s_and_saveexec_b64 s[40:41], vcc
	s_xor_b64 s[38:39], exec, s[40:41]
	s_cbranch_execz .LBB6_13583
; %bb.13570:                            ;   in Loop: Header=BB6_10813 Depth=3
	v_and_b32_e32 v52, 0x7fffffff, v1
	v_cmp_gt_u64_e32 vcc, s[78:79], v[52:53]
	v_and_b32_sdwa v50, v1, s82 dst_sel:DWORD dst_unused:UNUSED_PAD src0_sel:BYTE_3 src1_sel:DWORD
                                        ; implicit-def: $vgpr8
	s_and_saveexec_b64 s[40:41], vcc
	s_xor_b64 s[48:49], exec, s[40:41]
	s_cbranch_execz .LBB6_13580
; %bb.13571:                            ;   in Loop: Header=BB6_10813 Depth=3
	v_mov_b32_e32 v8, 0
	v_cmp_ne_u32_e32 vcc, 0, v1
	s_and_saveexec_b64 s[50:51], vcc
	s_cbranch_execz .LBB6_13579
; %bb.13572:                            ;   in Loop: Header=BB6_10813 Depth=3
	v_bfe_u32 v8, v1, 23, 8
	v_and_b32_e32 v0, 0x7fffff, v1
	v_cmp_gt_u32_e64 s[40:41], s85, v8
	v_sub_u32_e32 v1, 0x79, v8
	v_cmp_eq_u32_e32 vcc, 0, v8
	v_cndmask_b32_e64 v1, 0, v1, s[40:41]
	v_mov_b32_e32 v36, 0x78
	v_or_b32_e32 v2, 0x800000, v0
	v_cndmask_b32_e32 v51, v1, v36, vcc
	v_cndmask_b32_e32 v52, v2, v0, vcc
	v_add_u32_e32 v0, 20, v51
	v_lshlrev_b64 v[0:1], v0, -1
	v_add_u32_e32 v2, 19, v51
	v_lshlrev_b64 v[36:37], v2, 1
	v_bfi_b32 v1, v1, 0, 0
	v_bfi_b32 v0, v0, 0, v52
	v_cmp_eq_u64_e64 s[40:41], v[0:1], v[36:37]
	v_lshrrev_b64 v[0:1], v51, v[52:53]
	v_mov_b32_e32 v2, v1
	v_mov_b32_e32 v1, v0
	s_and_saveexec_b64 s[52:53], s[40:41]
; %bb.13573:                            ;   in Loop: Header=BB6_10813 Depth=3
	v_bfe_u32 v1, v0, 20, 1
	v_add_co_u32_e64 v1, s[40:41], v0, v1
	v_add_co_u32_e64 v1, s[40:41], -1, v1
; %bb.13574:                            ;   in Loop: Header=BB6_10813 Depth=3
	s_or_b64 exec, exec, s[52:53]
	v_add_u32_e32 v2, 0xffffff81, v8
	v_mov_b32_e32 v8, 0xffffff82
	v_cndmask_b32_e32 v2, v2, v8, vcc
	v_lshrrev_b32_e32 v8, 23, v0
	v_add3_u32 v51, v51, v2, v8
	v_add_u32_e32 v8, 6, v51
	v_and_b32_e32 v1, 0xfffff, v1
	v_add_u32_e32 v52, v1, v0
	v_cmp_ne_u32_e32 vcc, 0, v8
                                        ; implicit-def: $vgpr0_vgpr1
                                        ; implicit-def: $vgpr2
	s_and_saveexec_b64 s[40:41], vcc
	s_xor_b64 s[40:41], exec, s[40:41]
; %bb.13575:                            ;   in Loop: Header=BB6_10813 Depth=3
	v_cmp_lt_u64_e32 vcc, s[88:89], v[52:53]
	v_add_u32_e32 v0, 7, v51
	v_cndmask_b32_e32 v2, v8, v0, vcc
	v_cndmask_b32_e64 v0, 0, 1, vcc
	v_lshrrev_b64 v[0:1], v0, v[52:53]
; %bb.13576:                            ;   in Loop: Header=BB6_10813 Depth=3
	s_andn2_saveexec_b64 s[40:41], s[40:41]
; %bb.13577:                            ;   in Loop: Header=BB6_10813 Depth=3
	v_mov_b32_e32 v0, v52
	v_bfe_u32 v2, v52, 23, 1
	v_mov_b32_e32 v1, v53
; %bb.13578:                            ;   in Loop: Header=BB6_10813 Depth=3
	s_or_b64 exec, exec, s[40:41]
	v_lshrrev_b64 v[0:1], 20, v[0:1]
	v_cmp_gt_i32_e32 vcc, 16, v2
	v_cndmask_b32_e32 v1, 0, v1, vcc
	v_cndmask_b32_e32 v0, 7, v0, vcc
	v_cmp_eq_u64_e64 s[40:41], 0, v[0:1]
	v_min_i32_e32 v1, 15, v2
	v_lshlrev_b32_e32 v1, 3, v1
	v_cmp_eq_u32_e32 vcc, 0, v2
	v_and_b32_e32 v1, 0xf8, v1
	v_and_or_b32 v0, v0, 7, v1
	s_and_b64 s[40:41], vcc, s[40:41]
	v_cndmask_b32_e64 v0, v0, 0, s[40:41]
	v_or_b32_e32 v8, v0, v50
.LBB6_13579:                            ;   in Loop: Header=BB6_10813 Depth=3
	s_or_b64 exec, exec, s[50:51]
                                        ; implicit-def: $vgpr50
.LBB6_13580:                            ;   in Loop: Header=BB6_10813 Depth=3
	s_andn2_saveexec_b64 s[40:41], s[48:49]
; %bb.13581:                            ;   in Loop: Header=BB6_10813 Depth=3
	v_or_b32_e32 v8, 0x7e, v50
; %bb.13582:                            ;   in Loop: Header=BB6_10813 Depth=3
	s_or_b64 exec, exec, s[40:41]
                                        ; implicit-def: $vgpr1
.LBB6_13583:                            ;   in Loop: Header=BB6_10813 Depth=3
	s_andn2_saveexec_b64 s[40:41], s[38:39]
; %bb.13584:                            ;   in Loop: Header=BB6_10813 Depth=3
	v_or_b32_sdwa v8, v1, s83 dst_sel:DWORD dst_unused:UNUSED_PAD src0_sel:BYTE_3 src1_sel:DWORD
; %bb.13585:                            ;   in Loop: Header=BB6_10813 Depth=3
	s_or_b64 exec, exec, s[40:41]
	v_cmp_lt_u64_e64 s[40:41], s[62:63], v[14:15]
	v_lshrrev_b32_e32 v2, 24, v15
	v_lshrrev_b32_e32 v0, 24, v11
	s_and_b64 vcc, exec, s[28:29]
	s_mov_b64 s[28:29], -1
                                        ; implicit-def: $vgpr1
	s_cbranch_vccnz .LBB6_13599
; %bb.13586:                            ;   in Loop: Header=BB6_10813 Depth=3
	v_mov_b32_e32 v14, 0
	v_mov_b32_e32 v1, 0
	s_and_saveexec_b64 s[28:29], s[40:41]
	s_cbranch_execz .LBB6_13592
; %bb.13587:                            ;   in Loop: Header=BB6_10813 Depth=3
	v_cmp_ne_u32_e32 vcc, s82, v2
	v_bfrev_b32_e32 v1, 1
	s_and_saveexec_b64 s[38:39], vcc
	s_cbranch_execz .LBB6_13591
; %bb.13588:                            ;   in Loop: Header=BB6_10813 Depth=3
	v_bfe_u32 v50, v15, 24, 7
	v_cmp_ne_u32_e32 vcc, s83, v50
	v_mov_b32_e32 v1, 0x7f800001
	s_and_saveexec_b64 s[48:49], vcc
	s_cbranch_execz .LBB6_13590
; %bb.13589:                            ;   in Loop: Header=BB6_10813 Depth=3
	v_and_b32_e32 v1, 7, v2
	v_ffbh_u32_e32 v36, v1
	v_lshrrev_b32_e32 v51, 3, v50
	v_cmp_gt_u32_e32 vcc, 8, v50
	v_min_u32_e32 v50, 32, v36
	v_subrev_u32_e32 v36, 28, v50
	v_lshlrev_b64 v[36:37], v36, v[2:3]
	v_sub_u32_e32 v37, 29, v50
	v_and_b32_e32 v36, 7, v36
	v_cndmask_b32_e32 v37, v51, v37, vcc
	v_cndmask_b32_e32 v1, v1, v36, vcc
	v_lshlrev_b32_e32 v36, 24, v2
	v_bfrev_b32_e32 v50, 60
	v_lshlrev_b32_e32 v1, 20, v1
	v_and_b32_e32 v36, 0x80000000, v36
	v_lshl_add_u32 v37, v37, 23, v50
	v_or3_b32 v1, v36, v37, v1
.LBB6_13590:                            ;   in Loop: Header=BB6_10813 Depth=3
	s_or_b64 exec, exec, s[48:49]
.LBB6_13591:                            ;   in Loop: Header=BB6_10813 Depth=3
	s_or_b64 exec, exec, s[38:39]
.LBB6_13592:                            ;   in Loop: Header=BB6_10813 Depth=3
	s_or_b64 exec, exec, s[28:29]
	v_cmp_lt_u64_e32 vcc, s[62:63], v[10:11]
	s_and_saveexec_b64 s[28:29], vcc
	s_cbranch_execz .LBB6_13598
; %bb.13593:                            ;   in Loop: Header=BB6_10813 Depth=3
	v_cmp_ne_u32_e32 vcc, s82, v0
	v_bfrev_b32_e32 v14, 1
	s_and_saveexec_b64 s[38:39], vcc
	s_cbranch_execz .LBB6_13597
; %bb.13594:                            ;   in Loop: Header=BB6_10813 Depth=3
	v_bfe_u32 v50, v11, 24, 7
	v_cmp_ne_u32_e32 vcc, s83, v50
	v_mov_b32_e32 v14, 0x7f800001
	s_and_saveexec_b64 s[48:49], vcc
	s_cbranch_execz .LBB6_13596
; %bb.13595:                            ;   in Loop: Header=BB6_10813 Depth=3
	v_and_b32_e32 v14, 7, v0
	v_ffbh_u32_e32 v36, v14
	v_lshrrev_b32_e32 v51, 3, v50
	v_cmp_gt_u32_e32 vcc, 8, v50
	v_min_u32_e32 v50, 32, v36
	v_subrev_u32_e32 v36, 28, v50
	v_lshlrev_b64 v[36:37], v36, v[0:1]
	v_sub_u32_e32 v37, 29, v50
	v_and_b32_e32 v36, 7, v36
	v_cndmask_b32_e32 v37, v51, v37, vcc
	v_cndmask_b32_e32 v14, v14, v36, vcc
	v_lshlrev_b32_e32 v36, 24, v0
	v_bfrev_b32_e32 v50, 60
	v_lshlrev_b32_e32 v14, 20, v14
	v_and_b32_e32 v36, 0x80000000, v36
	v_lshl_add_u32 v37, v37, 23, v50
	v_or3_b32 v14, v36, v37, v14
.LBB6_13596:                            ;   in Loop: Header=BB6_10813 Depth=3
	s_or_b64 exec, exec, s[48:49]
.LBB6_13597:                            ;   in Loop: Header=BB6_10813 Depth=3
	s_or_b64 exec, exec, s[38:39]
.LBB6_13598:                            ;   in Loop: Header=BB6_10813 Depth=3
	s_or_b64 exec, exec, s[28:29]
	v_max_f32_e32 v14, v14, v14
	v_max_f32_e32 v1, v1, v1
	;; [unrolled: 1-line block ×3, first 2 shown]
	s_mov_b64 s[28:29], 0
.LBB6_13599:                            ;   in Loop: Header=BB6_10813 Depth=3
	s_and_b64 vcc, exec, s[28:29]
	s_cbranch_vccz .LBB6_13613
; %bb.13600:                            ;   in Loop: Header=BB6_10813 Depth=3
	v_mov_b32_e32 v14, 0
	v_mov_b32_e32 v1, 0
	s_and_saveexec_b64 s[28:29], s[40:41]
	s_cbranch_execz .LBB6_13606
; %bb.13601:                            ;   in Loop: Header=BB6_10813 Depth=3
	v_cmp_ne_u32_e32 vcc, s82, v2
	v_bfrev_b32_e32 v1, 1
	s_and_saveexec_b64 s[40:41], vcc
	s_cbranch_execz .LBB6_13605
; %bb.13602:                            ;   in Loop: Header=BB6_10813 Depth=3
	v_bfe_u32 v15, v15, 24, 7
	v_cmp_ne_u32_e32 vcc, s83, v15
	v_mov_b32_e32 v1, 0x7f800001
	s_and_saveexec_b64 s[38:39], vcc
	s_cbranch_execz .LBB6_13604
; %bb.13603:                            ;   in Loop: Header=BB6_10813 Depth=3
	v_and_b32_e32 v1, 7, v2
	v_lshrrev_b32_e32 v50, 3, v15
	v_cmp_gt_u32_e32 vcc, 8, v15
	v_ffbh_u32_e32 v15, v1
	v_min_u32_e32 v15, 32, v15
	v_subrev_u32_e32 v36, 28, v15
	v_lshlrev_b64 v[36:37], v36, v[2:3]
	v_sub_u32_e32 v15, 29, v15
	v_and_b32_e32 v36, 7, v36
	v_cndmask_b32_e32 v15, v50, v15, vcc
	v_cndmask_b32_e32 v1, v1, v36, vcc
	v_lshlrev_b32_e32 v2, 24, v2
	v_bfrev_b32_e32 v36, 60
	v_lshlrev_b32_e32 v1, 20, v1
	v_and_b32_e32 v2, 0x80000000, v2
	v_lshl_add_u32 v15, v15, 23, v36
	v_or3_b32 v1, v2, v15, v1
.LBB6_13604:                            ;   in Loop: Header=BB6_10813 Depth=3
	s_or_b64 exec, exec, s[38:39]
.LBB6_13605:                            ;   in Loop: Header=BB6_10813 Depth=3
	s_or_b64 exec, exec, s[40:41]
.LBB6_13606:                            ;   in Loop: Header=BB6_10813 Depth=3
	s_or_b64 exec, exec, s[28:29]
	v_cmp_lt_u64_e32 vcc, s[62:63], v[10:11]
	s_and_saveexec_b64 s[28:29], vcc
	s_cbranch_execz .LBB6_13612
; %bb.13607:                            ;   in Loop: Header=BB6_10813 Depth=3
	v_cmp_ne_u32_e32 vcc, s82, v0
	v_bfrev_b32_e32 v14, 1
	s_and_saveexec_b64 s[40:41], vcc
	s_cbranch_execz .LBB6_13611
; %bb.13608:                            ;   in Loop: Header=BB6_10813 Depth=3
	v_bfe_u32 v2, v11, 24, 7
	v_cmp_ne_u32_e32 vcc, s83, v2
	v_mov_b32_e32 v14, 0x7f800001
	s_and_saveexec_b64 s[38:39], vcc
	s_cbranch_execz .LBB6_13610
; %bb.13609:                            ;   in Loop: Header=BB6_10813 Depth=3
	v_and_b32_e32 v14, 7, v0
	v_lshrrev_b32_e32 v15, 3, v2
	v_cmp_gt_u32_e32 vcc, 8, v2
	v_ffbh_u32_e32 v2, v14
	v_min_u32_e32 v2, 32, v2
	v_subrev_u32_e32 v10, 28, v2
	v_lshlrev_b64 v[10:11], v10, v[0:1]
	v_sub_u32_e32 v2, 29, v2
	v_and_b32_e32 v10, 7, v10
	v_cndmask_b32_e32 v2, v15, v2, vcc
	v_cndmask_b32_e32 v10, v14, v10, vcc
	v_lshlrev_b32_e32 v0, 24, v0
	v_bfrev_b32_e32 v11, 60
	v_lshlrev_b32_e32 v10, 20, v10
	v_and_b32_e32 v0, 0x80000000, v0
	v_lshl_add_u32 v2, v2, 23, v11
	v_or3_b32 v14, v0, v2, v10
.LBB6_13610:                            ;   in Loop: Header=BB6_10813 Depth=3
	s_or_b64 exec, exec, s[38:39]
.LBB6_13611:                            ;   in Loop: Header=BB6_10813 Depth=3
	s_or_b64 exec, exec, s[40:41]
.LBB6_13612:                            ;   in Loop: Header=BB6_10813 Depth=3
	s_or_b64 exec, exec, s[28:29]
	v_max_f32_e32 v0, v14, v14
	v_max_f32_e32 v1, v1, v1
	v_min_f32_e32 v1, v1, v0
.LBB6_13613:                            ;   in Loop: Header=BB6_10813 Depth=3
	v_and_b32_e32 v52, 0x7f800000, v1
	v_cmp_ne_u64_e32 vcc, s[76:77], v[52:53]
                                        ; implicit-def: $vgpr0
	s_and_saveexec_b64 s[28:29], vcc
	s_xor_b64 s[40:41], exec, s[28:29]
	s_cbranch_execz .LBB6_13627
; %bb.13614:                            ;   in Loop: Header=BB6_10813 Depth=3
	v_and_b32_e32 v52, 0x7fffffff, v1
	v_cmp_gt_u64_e32 vcc, s[78:79], v[52:53]
	v_and_b32_sdwa v10, v1, s82 dst_sel:DWORD dst_unused:UNUSED_PAD src0_sel:BYTE_3 src1_sel:DWORD
                                        ; implicit-def: $vgpr0
	s_and_saveexec_b64 s[28:29], vcc
	s_xor_b64 s[38:39], exec, s[28:29]
	s_cbranch_execz .LBB6_13624
; %bb.13615:                            ;   in Loop: Header=BB6_10813 Depth=3
	v_mov_b32_e32 v0, 0
	v_cmp_ne_u32_e32 vcc, 0, v1
	s_and_saveexec_b64 s[48:49], vcc
	s_cbranch_execz .LBB6_13623
; %bb.13616:                            ;   in Loop: Header=BB6_10813 Depth=3
	v_bfe_u32 v11, v1, 23, 8
	v_and_b32_e32 v0, 0x7fffff, v1
	v_cmp_gt_u32_e64 s[28:29], s85, v11
	v_sub_u32_e32 v1, 0x79, v11
	v_cmp_eq_u32_e32 vcc, 0, v11
	v_cndmask_b32_e64 v1, 0, v1, s[28:29]
	v_mov_b32_e32 v14, 0x78
	v_or_b32_e32 v2, 0x800000, v0
	v_cndmask_b32_e32 v14, v1, v14, vcc
	v_cndmask_b32_e32 v52, v2, v0, vcc
	v_add_u32_e32 v0, 20, v14
	v_lshlrev_b64 v[0:1], v0, -1
	v_add_u32_e32 v2, 19, v14
	v_lshlrev_b64 v[36:37], v2, 1
	v_bfi_b32 v1, v1, 0, 0
	v_bfi_b32 v0, v0, 0, v52
	v_cmp_eq_u64_e64 s[28:29], v[0:1], v[36:37]
	v_lshrrev_b64 v[0:1], v14, v[52:53]
	v_mov_b32_e32 v2, v1
	v_mov_b32_e32 v1, v0
	s_and_saveexec_b64 s[50:51], s[28:29]
; %bb.13617:                            ;   in Loop: Header=BB6_10813 Depth=3
	v_bfe_u32 v1, v0, 20, 1
	v_add_co_u32_e64 v1, s[28:29], v0, v1
	v_add_co_u32_e64 v1, s[28:29], -1, v1
; %bb.13618:                            ;   in Loop: Header=BB6_10813 Depth=3
	s_or_b64 exec, exec, s[50:51]
	v_add_u32_e32 v2, 0xffffff81, v11
	v_mov_b32_e32 v11, 0xffffff82
	v_cndmask_b32_e32 v2, v2, v11, vcc
	v_lshrrev_b32_e32 v11, 23, v0
	v_add3_u32 v14, v14, v2, v11
	v_add_u32_e32 v11, 6, v14
	v_and_b32_e32 v1, 0xfffff, v1
	v_add_u32_e32 v52, v1, v0
	v_cmp_ne_u32_e32 vcc, 0, v11
                                        ; implicit-def: $vgpr0_vgpr1
                                        ; implicit-def: $vgpr2
	s_and_saveexec_b64 s[28:29], vcc
	s_xor_b64 s[28:29], exec, s[28:29]
; %bb.13619:                            ;   in Loop: Header=BB6_10813 Depth=3
	v_cmp_lt_u64_e32 vcc, s[88:89], v[52:53]
	v_add_u32_e32 v0, 7, v14
	v_cndmask_b32_e32 v2, v11, v0, vcc
	v_cndmask_b32_e64 v0, 0, 1, vcc
	v_lshrrev_b64 v[0:1], v0, v[52:53]
; %bb.13620:                            ;   in Loop: Header=BB6_10813 Depth=3
	s_andn2_saveexec_b64 s[28:29], s[28:29]
; %bb.13621:                            ;   in Loop: Header=BB6_10813 Depth=3
	v_mov_b32_e32 v0, v52
	v_bfe_u32 v2, v52, 23, 1
	v_mov_b32_e32 v1, v53
; %bb.13622:                            ;   in Loop: Header=BB6_10813 Depth=3
	s_or_b64 exec, exec, s[28:29]
	v_lshrrev_b64 v[0:1], 20, v[0:1]
	v_cmp_gt_i32_e32 vcc, 16, v2
	v_cndmask_b32_e32 v1, 0, v1, vcc
	v_cndmask_b32_e32 v0, 7, v0, vcc
	v_cmp_eq_u64_e64 s[28:29], 0, v[0:1]
	v_min_i32_e32 v1, 15, v2
	v_lshlrev_b32_e32 v1, 3, v1
	v_cmp_eq_u32_e32 vcc, 0, v2
	v_and_b32_e32 v1, 0xf8, v1
	v_and_or_b32 v0, v0, 7, v1
	s_and_b64 s[28:29], vcc, s[28:29]
	v_cndmask_b32_e64 v0, v0, 0, s[28:29]
	v_or_b32_e32 v0, v0, v10
.LBB6_13623:                            ;   in Loop: Header=BB6_10813 Depth=3
	s_or_b64 exec, exec, s[48:49]
                                        ; implicit-def: $vgpr10
.LBB6_13624:                            ;   in Loop: Header=BB6_10813 Depth=3
	s_andn2_saveexec_b64 s[28:29], s[38:39]
; %bb.13625:                            ;   in Loop: Header=BB6_10813 Depth=3
	v_or_b32_e32 v0, 0x7e, v10
; %bb.13626:                            ;   in Loop: Header=BB6_10813 Depth=3
	s_or_b64 exec, exec, s[28:29]
                                        ; implicit-def: $vgpr1
.LBB6_13627:                            ;   in Loop: Header=BB6_10813 Depth=3
	s_or_saveexec_b64 s[28:29], s[40:41]
	buffer_load_dword v50, off, s[0:3], s33 offset:108 ; 4-byte Folded Reload
	buffer_load_dword v51, off, s[0:3], s33 offset:112 ; 4-byte Folded Reload
	buffer_load_dword v52, off, s[0:3], s33 offset:116 ; 4-byte Folded Reload
	s_xor_b64 exec, exec, s[28:29]
	s_cbranch_execz .LBB6_10812
; %bb.13628:                            ;   in Loop: Header=BB6_10813 Depth=3
	v_or_b32_sdwa v0, v1, s83 dst_sel:DWORD dst_unused:UNUSED_PAD src0_sel:BYTE_3 src1_sel:DWORD
	s_branch .LBB6_10812
.LBB6_13629:                            ;   in Loop: Header=BB6_5595 Depth=2
	s_or_b64 exec, exec, s[44:45]
	buffer_load_dword v5, off, s[0:3], s33 offset:340 ; 4-byte Folded Reload
	buffer_load_dword v6, off, s[0:3], s33 offset:344 ; 4-byte Folded Reload
	;; [unrolled: 1-line block ×3, first 2 shown]
.LBB6_13630:                            ;   in Loop: Header=BB6_5595 Depth=2
	s_or_b64 exec, exec, s[42:43]
	buffer_load_dword v0, off, s[0:3], s33 offset:320 ; 4-byte Folded Reload
	s_waitcnt vmcnt(0)
	v_lshlrev_b32_e32 v22, 12, v1
	s_mov_b64 s[28:29], 0
	v_mov_b32_e32 v3, 0
                                        ; implicit-def: $vgpr4
                                        ; implicit-def: $vgpr2
	v_cmp_ne_u32_e32 vcc, v0, v22
	s_and_saveexec_b64 s[38:39], vcc
	s_cbranch_execz .LBB6_14340
; %bb.13631:                            ;   in Loop: Header=BB6_5595 Depth=2
	buffer_load_dword v0, off, s[0:3], s33 offset:320 ; 4-byte Folded Reload
	buffer_load_dword v2, off, s[0:3], s33 offset:328 ; 4-byte Folded Reload
	s_waitcnt vmcnt(0)
	v_sub_u32_e32 v1, v0, v22
	v_lshlrev_b32_e32 v0, 6, v28
	v_sub_u32_e32 v0, v2, v0
	v_ashrrev_i32_e32 v2, 31, v0
	v_lshrrev_b32_e32 v2, 26, v2
	v_add_u32_e32 v2, v0, v2
	v_ashrrev_i32_e32 v3, 6, v2
	v_and_b32_e32 v2, 0xffffffc0, v2
	v_sub_u32_e32 v23, v0, v2
	v_ashrrev_i32_e32 v2, 31, v1
	v_lshrrev_b32_e32 v2, 22, v2
	v_add_u32_e32 v2, v1, v2
	v_and_b32_e32 v24, 0xfffffc00, v2
	v_lshlrev_b32_e32 v0, 4, v23
	v_sub_u32_e32 v25, v1, v24
	v_lshl_add_u32 v0, v3, 10, v0
	v_ashrrev_i32_e32 v4, 10, v2
	v_cmp_lt_i32_e64 s[28:29], 15, v25
	v_sub_u32_e32 v27, v1, v0
	v_addc_co_u32_e64 v1, vcc, 0, v4, s[28:29]
	v_sub_u32_e32 v26, v1, v3
	v_cmp_lt_i32_e32 vcc, 15, v27
	s_and_saveexec_b64 s[48:49], vcc
	s_cbranch_execz .LBB6_14339
; %bb.13632:                            ;   in Loop: Header=BB6_5595 Depth=2
	v_add_u32_e32 v2, v0, v22
	s_trap 2
	ds_read_b64 v[0:1], v0
	v_ashrrev_i32_e32 v3, 31, v2
	v_add_co_u32_e32 v4, vcc, v2, v5
	v_addc_co_u32_e32 v5, vcc, v3, v6, vcc
	s_waitcnt lgkmcnt(0)
	v_add_co_u32_e32 v16, vcc, v0, v2
	v_addc_co_u32_e32 v17, vcc, v1, v3, vcc
	buffer_load_dword v0, off, s[0:3], s33 offset:332 ; 4-byte Folded Reload
	buffer_load_dword v1, off, s[0:3], s33 offset:336 ; 4-byte Folded Reload
	s_bitcmp1_b32 s8, 0
	s_mov_b64 s[50:51], 0
	s_cselect_b64 s[52:53], -1, 0
	s_waitcnt vmcnt(1)
	v_add_co_u32_e32 v18, vcc, v2, v0
	s_waitcnt vmcnt(0)
	v_addc_co_u32_e32 v19, vcc, v3, v1, vcc
	s_branch .LBB6_13634
.LBB6_13633:                            ;   in Loop: Header=BB6_13634 Depth=3
	s_or_b64 exec, exec, s[40:41]
	v_lshl_or_b32 v1, v21, 8, v20
	v_lshlrev_b32_e32 v2, 16, v32
	v_lshlrev_b32_e32 v8, 24, v12
	v_or3_b32 v9, v1, v2, v8
	v_lshl_or_b32 v1, v29, 8, v28
	v_lshlrev_b32_e32 v2, 16, v30
	v_lshlrev_b32_e32 v8, 24, v31
	v_or3_b32 v8, v1, v2, v8
	v_lshl_or_b32 v1, v33, 8, v13
	v_lshlrev_b32_e32 v2, 16, v34
	v_lshlrev_b32_e32 v10, 24, v35
	v_or3_b32 v10, v1, v2, v10
	v_lshlrev_b32_e32 v0, 24, v0
	v_lshlrev_b32_e32 v1, 16, v7
	v_lshl_or_b32 v2, v3, 8, v6
	v_or3_b32 v11, v2, v1, v0
	buffer_load_dword v0, off, s[0:3], s33 offset:228 ; 4-byte Folded Reload
	v_sub_u32_e32 v26, v26, v48
	global_store_dwordx4 v[18:19], v[8:11], off glc slc
	s_waitcnt vmcnt(1)
	v_add_co_u32_e32 v4, vcc, v4, v0
	v_addc_co_u32_e32 v5, vcc, 0, v5, vcc
	v_add_co_u32_e32 v16, vcc, v16, v0
	v_addc_co_u32_e32 v17, vcc, 0, v17, vcc
	;; [unrolled: 2-line block ×3, first 2 shown]
	v_sub_u32_e32 v27, v27, v0
	v_cmp_gt_i32_e32 vcc, 16, v27
	s_or_b64 s[50:51], vcc, s[50:51]
	s_andn2_b64 exec, exec, s[50:51]
	s_cbranch_execz .LBB6_14338
.LBB6_13634:                            ;   Parent Loop BB6_47 Depth=1
                                        ;     Parent Loop BB6_5595 Depth=2
                                        ; =>    This Inner Loop Header: Depth=3
	global_load_dwordx4 v[8:11], v[4:5], off glc slc
	global_load_dwordx4 v[12:15], v[16:17], off glc slc
	v_bfrev_b32_e32 v3, 60
	s_mov_b64 s[44:45], -1
	s_waitcnt vmcnt(1)
	v_cmp_ne_u16_sdwa s[42:43], v8, v53 src0_sel:BYTE_0 src1_sel:DWORD
	s_waitcnt vmcnt(0)
	v_and_b32_e32 v0, 7, v12
	v_ffbh_u32_e32 v0, v0
	v_and_b32_e32 v1, 0x7f, v12
	v_min_u32_e32 v0, 32, v0
	v_bfe_u32 v2, v12, 3, 4
	v_cmp_eq_u32_e64 s[40:41], s83, v1
	v_cmp_gt_u32_e32 vcc, 8, v1
	v_subrev_u32_e32 v1, 28, v0
	v_sub_u32_e32 v0, 29, v0
	v_cndmask_b32_e32 v2, v2, v0, vcc
	v_cndmask_b32_e32 v0, 0, v1, vcc
	v_lshlrev_b64 v[0:1], v0, v[12:13]
	v_lshlrev_b32_e32 v1, 24, v12
	v_lshlrev_b32_e32 v0, 20, v0
	v_and_b32_e32 v0, 0x700000, v0
	v_and_b32_e32 v1, 0x80000000, v1
	v_lshl_add_u32 v2, v2, 23, v3
	v_or3_b32 v0, v1, v2, v0
	s_and_b64 vcc, exec, s[52:53]
                                        ; implicit-def: $vgpr1
	s_cbranch_vccz .LBB6_13648
; %bb.13635:                            ;   in Loop: Header=BB6_13634 Depth=3
	v_mov_b32_e32 v1, 0
	s_and_saveexec_b64 s[44:45], s[42:43]
	s_cbranch_execz .LBB6_13641
; %bb.13636:                            ;   in Loop: Header=BB6_13634 Depth=3
	v_cmp_ne_u16_sdwa vcc, v8, s82 src0_sel:BYTE_0 src1_sel:DWORD
	v_bfrev_b32_e32 v1, 1
	s_and_saveexec_b64 s[46:47], vcc
	s_cbranch_execz .LBB6_13640
; %bb.13637:                            ;   in Loop: Header=BB6_13634 Depth=3
	v_and_b32_e32 v2, 0x7f, v8
	v_cmp_ne_u32_e32 vcc, s83, v2
	v_mov_b32_e32 v1, 0x7f800001
	s_and_saveexec_b64 s[54:55], vcc
	s_cbranch_execz .LBB6_13639
; %bb.13638:                            ;   in Loop: Header=BB6_13634 Depth=3
	v_and_b32_e32 v1, 7, v8
	v_ffbh_u32_e32 v1, v1
	v_min_u32_e32 v1, 32, v1
	v_lshrrev_b32_e32 v3, 3, v2
	v_cmp_gt_u32_e32 vcc, 8, v2
	v_subrev_u32_e32 v2, 28, v1
	v_sub_u32_e32 v1, 29, v1
	v_cndmask_b32_e32 v3, v3, v1, vcc
	v_cndmask_b32_e32 v1, 0, v2, vcc
	v_lshlrev_b64 v[1:2], v1, v[8:9]
	v_lshlrev_b32_e32 v2, 24, v8
	v_lshlrev_b32_e32 v1, 20, v1
	v_bfrev_b32_e32 v6, 60
	v_and_b32_e32 v1, 0x700000, v1
	v_and_b32_e32 v2, 0x80000000, v2
	v_lshl_add_u32 v3, v3, 23, v6
	v_or3_b32 v1, v2, v3, v1
.LBB6_13639:                            ;   in Loop: Header=BB6_13634 Depth=3
	s_or_b64 exec, exec, s[54:55]
.LBB6_13640:                            ;   in Loop: Header=BB6_13634 Depth=3
	s_or_b64 exec, exec, s[46:47]
.LBB6_13641:                            ;   in Loop: Header=BB6_13634 Depth=3
	s_or_b64 exec, exec, s[44:45]
	v_cmp_gt_i16_sdwa s[46:47], v12, s83 src0_sel:BYTE_0 src1_sel:DWORD
	s_mov_b64 s[44:45], 0
	s_and_saveexec_b64 vcc, s[46:47]
	s_xor_b64 s[46:47], exec, vcc
	s_cbranch_execz .LBB6_14290
; %bb.13642:                            ;   in Loop: Header=BB6_13634 Depth=3
	v_cmp_eq_u16_sdwa s[54:55], v12, s82 src0_sel:BYTE_0 src1_sel:DWORD
	s_mov_b64 s[44:45], -1
	s_and_saveexec_b64 vcc, s[54:55]
; %bb.13643:                            ;   in Loop: Header=BB6_13634 Depth=3
	s_xor_b64 s[44:45], exec, -1
; %bb.13644:                            ;   in Loop: Header=BB6_13634 Depth=3
	s_or_b64 exec, exec, vcc
	s_and_b64 s[44:45], s[44:45], exec
	s_or_saveexec_b64 s[46:47], s[46:47]
	v_bfrev_b32_e32 v2, 1
	s_xor_b64 exec, exec, s[46:47]
	s_cbranch_execnz .LBB6_14291
.LBB6_13645:                            ;   in Loop: Header=BB6_13634 Depth=3
	s_or_b64 exec, exec, s[46:47]
	s_and_saveexec_b64 s[46:47], s[44:45]
.LBB6_13646:                            ;   in Loop: Header=BB6_13634 Depth=3
	v_mov_b32_e32 v2, 0x7f800001
	v_cndmask_b32_e64 v2, v0, v2, s[40:41]
.LBB6_13647:                            ;   in Loop: Header=BB6_13634 Depth=3
	s_or_b64 exec, exec, s[46:47]
	v_max_f32_e32 v2, v2, v2
	v_max_f32_e32 v1, v1, v1
	;; [unrolled: 1-line block ×3, first 2 shown]
	s_mov_b64 s[44:45], 0
.LBB6_13648:                            ;   in Loop: Header=BB6_13634 Depth=3
	s_and_b64 vcc, exec, s[44:45]
	s_cbranch_vccz .LBB6_13662
; %bb.13649:                            ;   in Loop: Header=BB6_13634 Depth=3
	v_mov_b32_e32 v1, 0
	s_and_saveexec_b64 s[44:45], s[42:43]
	s_cbranch_execz .LBB6_13655
; %bb.13650:                            ;   in Loop: Header=BB6_13634 Depth=3
	v_cmp_ne_u16_sdwa s[46:47], v8, s82 src0_sel:BYTE_0 src1_sel:DWORD
	v_bfrev_b32_e32 v1, 1
	s_and_saveexec_b64 s[42:43], s[46:47]
	s_cbranch_execz .LBB6_13654
; %bb.13651:                            ;   in Loop: Header=BB6_13634 Depth=3
	v_and_b32_e32 v2, 0x7f, v8
	v_cmp_ne_u32_e32 vcc, s83, v2
	v_mov_b32_e32 v1, 0x7f800001
	s_and_saveexec_b64 s[46:47], vcc
	s_cbranch_execz .LBB6_13653
; %bb.13652:                            ;   in Loop: Header=BB6_13634 Depth=3
	v_and_b32_e32 v1, 7, v8
	v_ffbh_u32_e32 v1, v1
	v_min_u32_e32 v1, 32, v1
	v_lshrrev_b32_e32 v3, 3, v2
	v_cmp_gt_u32_e32 vcc, 8, v2
	v_subrev_u32_e32 v2, 28, v1
	v_sub_u32_e32 v1, 29, v1
	v_cndmask_b32_e32 v3, v3, v1, vcc
	v_cndmask_b32_e32 v1, 0, v2, vcc
	v_lshlrev_b64 v[1:2], v1, v[8:9]
	v_lshlrev_b32_e32 v2, 24, v8
	v_lshlrev_b32_e32 v1, 20, v1
	v_bfrev_b32_e32 v6, 60
	v_and_b32_e32 v1, 0x700000, v1
	v_and_b32_e32 v2, 0x80000000, v2
	v_lshl_add_u32 v3, v3, 23, v6
	v_or3_b32 v1, v2, v3, v1
.LBB6_13653:                            ;   in Loop: Header=BB6_13634 Depth=3
	s_or_b64 exec, exec, s[46:47]
.LBB6_13654:                            ;   in Loop: Header=BB6_13634 Depth=3
	s_or_b64 exec, exec, s[42:43]
.LBB6_13655:                            ;   in Loop: Header=BB6_13634 Depth=3
	s_or_b64 exec, exec, s[44:45]
	v_cmp_gt_i16_sdwa s[44:45], v12, s83 src0_sel:BYTE_0 src1_sel:DWORD
	s_mov_b64 s[42:43], 0
	s_and_saveexec_b64 s[46:47], s[44:45]
	s_xor_b64 s[44:45], exec, s[46:47]
	s_cbranch_execz .LBB6_14292
; %bb.13656:                            ;   in Loop: Header=BB6_13634 Depth=3
	v_cmp_eq_u16_sdwa vcc, v12, s82 src0_sel:BYTE_0 src1_sel:DWORD
	s_mov_b64 s[42:43], -1
	s_and_saveexec_b64 s[46:47], vcc
; %bb.13657:                            ;   in Loop: Header=BB6_13634 Depth=3
	s_xor_b64 s[42:43], exec, -1
; %bb.13658:                            ;   in Loop: Header=BB6_13634 Depth=3
	s_or_b64 exec, exec, s[46:47]
	s_and_b64 s[42:43], s[42:43], exec
	s_or_saveexec_b64 s[44:45], s[44:45]
	v_bfrev_b32_e32 v2, 1
	s_xor_b64 exec, exec, s[44:45]
	s_cbranch_execnz .LBB6_14293
.LBB6_13659:                            ;   in Loop: Header=BB6_13634 Depth=3
	s_or_b64 exec, exec, s[44:45]
	s_and_saveexec_b64 s[44:45], s[42:43]
.LBB6_13660:                            ;   in Loop: Header=BB6_13634 Depth=3
	v_mov_b32_e32 v2, 0x7f800001
	v_cndmask_b32_e64 v2, v0, v2, s[40:41]
.LBB6_13661:                            ;   in Loop: Header=BB6_13634 Depth=3
	s_or_b64 exec, exec, s[44:45]
	v_max_f32_e32 v0, v2, v2
	v_max_f32_e32 v1, v1, v1
	v_min_f32_e32 v1, v1, v0
.LBB6_13662:                            ;   in Loop: Header=BB6_13634 Depth=3
	v_and_b32_e32 v52, 0x7f800000, v1
	v_cmp_ne_u64_e32 vcc, s[76:77], v[52:53]
                                        ; implicit-def: $vgpr28
	s_and_saveexec_b64 s[40:41], vcc
	s_xor_b64 s[42:43], exec, s[40:41]
	s_cbranch_execz .LBB6_13676
; %bb.13663:                            ;   in Loop: Header=BB6_13634 Depth=3
	v_and_b32_e32 v52, 0x7fffffff, v1
	v_cmp_gt_u64_e32 vcc, s[78:79], v[52:53]
	v_and_b32_sdwa v3, v1, s82 dst_sel:DWORD dst_unused:UNUSED_PAD src0_sel:BYTE_3 src1_sel:DWORD
                                        ; implicit-def: $vgpr28
	s_and_saveexec_b64 s[40:41], vcc
	s_xor_b64 s[44:45], exec, s[40:41]
	s_cbranch_execz .LBB6_13673
; %bb.13664:                            ;   in Loop: Header=BB6_13634 Depth=3
	v_mov_b32_e32 v28, 0
	v_cmp_ne_u32_e32 vcc, 0, v1
	s_and_saveexec_b64 s[46:47], vcc
	s_cbranch_execz .LBB6_13672
; %bb.13665:                            ;   in Loop: Header=BB6_13634 Depth=3
	v_bfe_u32 v6, v1, 23, 8
	v_and_b32_e32 v0, 0x7fffff, v1
	v_cmp_gt_u32_e64 s[40:41], s85, v6
	v_sub_u32_e32 v1, 0x79, v6
	v_cmp_eq_u32_e32 vcc, 0, v6
	v_cndmask_b32_e64 v1, 0, v1, s[40:41]
	v_mov_b32_e32 v7, 0x78
	v_or_b32_e32 v2, 0x800000, v0
	v_cndmask_b32_e32 v7, v1, v7, vcc
	v_cndmask_b32_e32 v52, v2, v0, vcc
	v_add_u32_e32 v0, 20, v7
	v_lshlrev_b64 v[0:1], v0, -1
	v_add_u32_e32 v2, 19, v7
	v_lshlrev_b64 v[20:21], v2, 1
	v_bfi_b32 v1, v1, 0, 0
	v_bfi_b32 v0, v0, 0, v52
	v_cmp_eq_u64_e64 s[40:41], v[0:1], v[20:21]
	v_lshrrev_b64 v[0:1], v7, v[52:53]
	v_mov_b32_e32 v2, v1
	v_mov_b32_e32 v1, v0
	s_and_saveexec_b64 s[54:55], s[40:41]
; %bb.13666:                            ;   in Loop: Header=BB6_13634 Depth=3
	v_bfe_u32 v1, v0, 20, 1
	v_add_co_u32_e64 v1, s[40:41], v0, v1
	v_add_co_u32_e64 v1, s[40:41], -1, v1
; %bb.13667:                            ;   in Loop: Header=BB6_13634 Depth=3
	s_or_b64 exec, exec, s[54:55]
	v_add_u32_e32 v2, 0xffffff81, v6
	v_mov_b32_e32 v6, 0xffffff82
	v_cndmask_b32_e32 v2, v2, v6, vcc
	v_lshrrev_b32_e32 v6, 23, v0
	v_add3_u32 v7, v7, v2, v6
	v_add_u32_e32 v6, 6, v7
	v_and_b32_e32 v1, 0xfffff, v1
	v_add_u32_e32 v52, v1, v0
	v_cmp_ne_u32_e32 vcc, 0, v6
                                        ; implicit-def: $vgpr0_vgpr1
                                        ; implicit-def: $vgpr2
	s_and_saveexec_b64 s[40:41], vcc
	s_xor_b64 s[40:41], exec, s[40:41]
; %bb.13668:                            ;   in Loop: Header=BB6_13634 Depth=3
	v_cmp_lt_u64_e32 vcc, s[88:89], v[52:53]
	v_add_u32_e32 v0, 7, v7
	v_cndmask_b32_e32 v2, v6, v0, vcc
	v_cndmask_b32_e64 v0, 0, 1, vcc
	v_lshrrev_b64 v[0:1], v0, v[52:53]
; %bb.13669:                            ;   in Loop: Header=BB6_13634 Depth=3
	s_andn2_saveexec_b64 s[40:41], s[40:41]
; %bb.13670:                            ;   in Loop: Header=BB6_13634 Depth=3
	v_mov_b32_e32 v0, v52
	v_bfe_u32 v2, v52, 23, 1
	v_mov_b32_e32 v1, v53
; %bb.13671:                            ;   in Loop: Header=BB6_13634 Depth=3
	s_or_b64 exec, exec, s[40:41]
	v_lshrrev_b64 v[0:1], 20, v[0:1]
	v_cmp_gt_i32_e32 vcc, 16, v2
	v_cndmask_b32_e32 v1, 0, v1, vcc
	v_cndmask_b32_e32 v0, 7, v0, vcc
	v_cmp_eq_u64_e64 s[40:41], 0, v[0:1]
	v_min_i32_e32 v1, 15, v2
	v_lshlrev_b32_e32 v1, 3, v1
	v_cmp_eq_u32_e32 vcc, 0, v2
	v_and_b32_e32 v1, 0xf8, v1
	v_and_or_b32 v0, v0, 7, v1
	s_and_b64 s[40:41], vcc, s[40:41]
	v_cndmask_b32_e64 v0, v0, 0, s[40:41]
	v_or_b32_e32 v28, v0, v3
.LBB6_13672:                            ;   in Loop: Header=BB6_13634 Depth=3
	s_or_b64 exec, exec, s[46:47]
                                        ; implicit-def: $vgpr3
.LBB6_13673:                            ;   in Loop: Header=BB6_13634 Depth=3
	s_andn2_saveexec_b64 s[40:41], s[44:45]
; %bb.13674:                            ;   in Loop: Header=BB6_13634 Depth=3
	v_or_b32_e32 v28, 0x7e, v3
; %bb.13675:                            ;   in Loop: Header=BB6_13634 Depth=3
	s_or_b64 exec, exec, s[40:41]
                                        ; implicit-def: $vgpr1
.LBB6_13676:                            ;   in Loop: Header=BB6_13634 Depth=3
	s_andn2_saveexec_b64 s[40:41], s[42:43]
; %bb.13677:                            ;   in Loop: Header=BB6_13634 Depth=3
	v_or_b32_sdwa v28, v1, s83 dst_sel:DWORD dst_unused:UNUSED_PAD src0_sel:BYTE_3 src1_sel:DWORD
; %bb.13678:                            ;   in Loop: Header=BB6_13634 Depth=3
	s_or_b64 exec, exec, s[40:41]
	v_lshrrev_b16_e32 v52, 8, v12
	v_and_b32_e32 v2, 7, v52
	v_and_b32_e32 v0, 0x7f, v52
	v_cmp_eq_u32_e64 s[40:41], s83, v0
	v_cmp_gt_u32_e32 vcc, 8, v0
	v_ffbh_u32_e32 v0, v2
	v_min_u32_e32 v6, 32, v0
	v_subrev_u32_e32 v0, 28, v6
	v_lshlrev_b64 v[0:1], v0, v[52:53]
	v_bfe_u32 v3, v52, 3, 4
	v_sub_u32_e32 v1, 29, v6
	v_and_b32_e32 v0, 7, v0
	v_cndmask_b32_e32 v1, v3, v1, vcc
	v_cndmask_b32_e32 v0, v2, v0, vcc
	v_lshlrev_b32_e32 v2, 24, v52
	v_bfrev_b32_e32 v3, 60
	v_lshlrev_b32_e32 v0, 20, v0
	v_and_b32_e32 v2, 0x80000000, v2
	v_lshl_add_u32 v1, v1, 23, v3
	v_or3_b32 v0, v2, v1, v0
	v_lshrrev_b16_e32 v2, 8, v8
	v_cmp_ne_u16_e64 s[42:43], 0, v2
	s_mov_b64 s[44:45], -1
	s_and_b64 vcc, exec, s[52:53]
                                        ; implicit-def: $vgpr1
	s_cbranch_vccz .LBB6_13692
; %bb.13679:                            ;   in Loop: Header=BB6_13634 Depth=3
	v_mov_b32_e32 v1, 0
	s_and_saveexec_b64 s[44:45], s[42:43]
	s_cbranch_execz .LBB6_13685
; %bb.13680:                            ;   in Loop: Header=BB6_13634 Depth=3
	v_cmp_ne_u16_e32 vcc, s82, v2
	v_bfrev_b32_e32 v1, 1
	s_and_saveexec_b64 s[46:47], vcc
	s_cbranch_execz .LBB6_13684
; %bb.13681:                            ;   in Loop: Header=BB6_13634 Depth=3
	v_and_b32_e32 v3, 0x7f, v2
	v_cmp_ne_u32_e32 vcc, s83, v3
	v_mov_b32_e32 v1, 0x7f800001
	s_and_saveexec_b64 s[54:55], vcc
	s_cbranch_execz .LBB6_13683
; %bb.13682:                            ;   in Loop: Header=BB6_13634 Depth=3
	v_and_b32_e32 v1, 7, v2
	v_lshrrev_b32_e32 v20, 3, v3
	v_cmp_gt_u32_e32 vcc, 8, v3
	v_ffbh_u32_e32 v3, v1
	v_min_u32_e32 v3, 32, v3
	v_subrev_u32_e32 v6, 28, v3
	v_lshlrev_b64 v[6:7], v6, v[2:3]
	v_sub_u32_e32 v3, 29, v3
	v_and_b32_e32 v6, 7, v6
	v_cndmask_b32_e32 v3, v20, v3, vcc
	v_cndmask_b32_e32 v1, v1, v6, vcc
	v_lshlrev_b32_e32 v6, 16, v8
	v_bfrev_b32_e32 v7, 60
	v_lshlrev_b32_e32 v1, 20, v1
	v_and_b32_e32 v6, 0x80000000, v6
	v_lshl_add_u32 v3, v3, 23, v7
	v_or3_b32 v1, v6, v3, v1
.LBB6_13683:                            ;   in Loop: Header=BB6_13634 Depth=3
	s_or_b64 exec, exec, s[54:55]
.LBB6_13684:                            ;   in Loop: Header=BB6_13634 Depth=3
	s_or_b64 exec, exec, s[46:47]
.LBB6_13685:                            ;   in Loop: Header=BB6_13634 Depth=3
	s_or_b64 exec, exec, s[44:45]
	v_cmp_lt_i16_e32 vcc, s83, v52
	s_mov_b64 s[44:45], 0
	s_and_saveexec_b64 s[46:47], vcc
	s_xor_b64 s[46:47], exec, s[46:47]
	s_cbranch_execz .LBB6_14294
; %bb.13686:                            ;   in Loop: Header=BB6_13634 Depth=3
	v_cmp_eq_u16_e32 vcc, s82, v52
	s_mov_b64 s[44:45], -1
	s_and_saveexec_b64 s[54:55], vcc
; %bb.13687:                            ;   in Loop: Header=BB6_13634 Depth=3
	s_xor_b64 s[44:45], exec, -1
; %bb.13688:                            ;   in Loop: Header=BB6_13634 Depth=3
	s_or_b64 exec, exec, s[54:55]
	s_and_b64 s[44:45], s[44:45], exec
	s_or_saveexec_b64 s[46:47], s[46:47]
	v_bfrev_b32_e32 v3, 1
	s_xor_b64 exec, exec, s[46:47]
	s_cbranch_execnz .LBB6_14295
.LBB6_13689:                            ;   in Loop: Header=BB6_13634 Depth=3
	s_or_b64 exec, exec, s[46:47]
	s_and_saveexec_b64 s[46:47], s[44:45]
.LBB6_13690:                            ;   in Loop: Header=BB6_13634 Depth=3
	v_mov_b32_e32 v3, 0x7f800001
	v_cndmask_b32_e64 v3, v0, v3, s[40:41]
.LBB6_13691:                            ;   in Loop: Header=BB6_13634 Depth=3
	s_or_b64 exec, exec, s[46:47]
	v_max_f32_e32 v3, v3, v3
	v_max_f32_e32 v1, v1, v1
	;; [unrolled: 1-line block ×3, first 2 shown]
	s_mov_b64 s[44:45], 0
.LBB6_13692:                            ;   in Loop: Header=BB6_13634 Depth=3
	s_and_b64 vcc, exec, s[44:45]
	s_cbranch_vccz .LBB6_13706
; %bb.13693:                            ;   in Loop: Header=BB6_13634 Depth=3
	v_mov_b32_e32 v1, 0
	s_and_saveexec_b64 s[44:45], s[42:43]
	s_cbranch_execz .LBB6_13699
; %bb.13694:                            ;   in Loop: Header=BB6_13634 Depth=3
	v_cmp_ne_u16_e32 vcc, s82, v2
	v_bfrev_b32_e32 v1, 1
	s_and_saveexec_b64 s[42:43], vcc
	s_cbranch_execz .LBB6_13698
; %bb.13695:                            ;   in Loop: Header=BB6_13634 Depth=3
	v_and_b32_e32 v3, 0x7f, v2
	v_cmp_ne_u32_e32 vcc, s83, v3
	v_mov_b32_e32 v1, 0x7f800001
	s_and_saveexec_b64 s[46:47], vcc
	s_cbranch_execz .LBB6_13697
; %bb.13696:                            ;   in Loop: Header=BB6_13634 Depth=3
	v_and_b32_e32 v6, 7, v2
	v_ffbh_u32_e32 v1, v6
	v_lshrrev_b32_e32 v7, 3, v3
	v_cmp_gt_u32_e32 vcc, 8, v3
	v_min_u32_e32 v3, 32, v1
	v_subrev_u32_e32 v1, 28, v3
	v_lshlrev_b64 v[1:2], v1, v[2:3]
	v_sub_u32_e32 v2, 29, v3
	v_and_b32_e32 v1, 7, v1
	v_cndmask_b32_e32 v2, v7, v2, vcc
	v_cndmask_b32_e32 v1, v6, v1, vcc
	v_lshlrev_b32_e32 v3, 16, v8
	v_bfrev_b32_e32 v6, 60
	v_lshlrev_b32_e32 v1, 20, v1
	v_and_b32_e32 v3, 0x80000000, v3
	v_lshl_add_u32 v2, v2, 23, v6
	v_or3_b32 v1, v3, v2, v1
.LBB6_13697:                            ;   in Loop: Header=BB6_13634 Depth=3
	s_or_b64 exec, exec, s[46:47]
.LBB6_13698:                            ;   in Loop: Header=BB6_13634 Depth=3
	s_or_b64 exec, exec, s[42:43]
.LBB6_13699:                            ;   in Loop: Header=BB6_13634 Depth=3
	s_or_b64 exec, exec, s[44:45]
	v_cmp_lt_i16_e32 vcc, s83, v52
	s_mov_b64 s[42:43], 0
	s_and_saveexec_b64 s[44:45], vcc
	s_xor_b64 s[44:45], exec, s[44:45]
	s_cbranch_execz .LBB6_14296
; %bb.13700:                            ;   in Loop: Header=BB6_13634 Depth=3
	v_cmp_eq_u16_e32 vcc, s82, v52
	s_mov_b64 s[42:43], -1
	s_and_saveexec_b64 s[46:47], vcc
; %bb.13701:                            ;   in Loop: Header=BB6_13634 Depth=3
	s_xor_b64 s[42:43], exec, -1
; %bb.13702:                            ;   in Loop: Header=BB6_13634 Depth=3
	s_or_b64 exec, exec, s[46:47]
	s_and_b64 s[42:43], s[42:43], exec
	s_or_saveexec_b64 s[44:45], s[44:45]
	v_bfrev_b32_e32 v2, 1
	s_xor_b64 exec, exec, s[44:45]
	s_cbranch_execnz .LBB6_14297
.LBB6_13703:                            ;   in Loop: Header=BB6_13634 Depth=3
	s_or_b64 exec, exec, s[44:45]
	s_and_saveexec_b64 s[44:45], s[42:43]
.LBB6_13704:                            ;   in Loop: Header=BB6_13634 Depth=3
	v_mov_b32_e32 v2, 0x7f800001
	v_cndmask_b32_e64 v2, v0, v2, s[40:41]
.LBB6_13705:                            ;   in Loop: Header=BB6_13634 Depth=3
	s_or_b64 exec, exec, s[44:45]
	v_max_f32_e32 v0, v2, v2
	v_max_f32_e32 v1, v1, v1
	v_min_f32_e32 v1, v1, v0
.LBB6_13706:                            ;   in Loop: Header=BB6_13634 Depth=3
	v_and_b32_e32 v52, 0x7f800000, v1
	v_cmp_ne_u64_e32 vcc, s[76:77], v[52:53]
                                        ; implicit-def: $vgpr29
	s_and_saveexec_b64 s[40:41], vcc
	s_xor_b64 s[42:43], exec, s[40:41]
	s_cbranch_execz .LBB6_13720
; %bb.13707:                            ;   in Loop: Header=BB6_13634 Depth=3
	v_and_b32_e32 v52, 0x7fffffff, v1
	v_cmp_gt_u64_e32 vcc, s[78:79], v[52:53]
	v_and_b32_sdwa v3, v1, s82 dst_sel:DWORD dst_unused:UNUSED_PAD src0_sel:BYTE_3 src1_sel:DWORD
                                        ; implicit-def: $vgpr29
	s_and_saveexec_b64 s[40:41], vcc
	s_xor_b64 s[44:45], exec, s[40:41]
	s_cbranch_execz .LBB6_13717
; %bb.13708:                            ;   in Loop: Header=BB6_13634 Depth=3
	v_mov_b32_e32 v29, 0
	v_cmp_ne_u32_e32 vcc, 0, v1
	s_and_saveexec_b64 s[46:47], vcc
	s_cbranch_execz .LBB6_13716
; %bb.13709:                            ;   in Loop: Header=BB6_13634 Depth=3
	v_bfe_u32 v6, v1, 23, 8
	v_and_b32_e32 v0, 0x7fffff, v1
	v_cmp_gt_u32_e64 s[40:41], s85, v6
	v_sub_u32_e32 v1, 0x79, v6
	v_cmp_eq_u32_e32 vcc, 0, v6
	v_cndmask_b32_e64 v1, 0, v1, s[40:41]
	v_mov_b32_e32 v7, 0x78
	v_or_b32_e32 v2, 0x800000, v0
	v_cndmask_b32_e32 v7, v1, v7, vcc
	v_cndmask_b32_e32 v52, v2, v0, vcc
	v_add_u32_e32 v0, 20, v7
	v_lshlrev_b64 v[0:1], v0, -1
	v_add_u32_e32 v2, 19, v7
	v_lshlrev_b64 v[20:21], v2, 1
	v_bfi_b32 v1, v1, 0, 0
	v_bfi_b32 v0, v0, 0, v52
	v_cmp_eq_u64_e64 s[40:41], v[0:1], v[20:21]
	v_lshrrev_b64 v[0:1], v7, v[52:53]
	v_mov_b32_e32 v2, v1
	v_mov_b32_e32 v1, v0
	s_and_saveexec_b64 s[54:55], s[40:41]
; %bb.13710:                            ;   in Loop: Header=BB6_13634 Depth=3
	v_bfe_u32 v1, v0, 20, 1
	v_add_co_u32_e64 v1, s[40:41], v0, v1
	v_add_co_u32_e64 v1, s[40:41], -1, v1
; %bb.13711:                            ;   in Loop: Header=BB6_13634 Depth=3
	s_or_b64 exec, exec, s[54:55]
	v_add_u32_e32 v2, 0xffffff81, v6
	v_mov_b32_e32 v6, 0xffffff82
	v_cndmask_b32_e32 v2, v2, v6, vcc
	v_lshrrev_b32_e32 v6, 23, v0
	v_add3_u32 v7, v7, v2, v6
	v_add_u32_e32 v6, 6, v7
	v_and_b32_e32 v1, 0xfffff, v1
	v_add_u32_e32 v52, v1, v0
	v_cmp_ne_u32_e32 vcc, 0, v6
                                        ; implicit-def: $vgpr0_vgpr1
                                        ; implicit-def: $vgpr2
	s_and_saveexec_b64 s[40:41], vcc
	s_xor_b64 s[40:41], exec, s[40:41]
; %bb.13712:                            ;   in Loop: Header=BB6_13634 Depth=3
	v_cmp_lt_u64_e32 vcc, s[88:89], v[52:53]
	v_add_u32_e32 v0, 7, v7
	v_cndmask_b32_e32 v2, v6, v0, vcc
	v_cndmask_b32_e64 v0, 0, 1, vcc
	v_lshrrev_b64 v[0:1], v0, v[52:53]
; %bb.13713:                            ;   in Loop: Header=BB6_13634 Depth=3
	s_andn2_saveexec_b64 s[40:41], s[40:41]
; %bb.13714:                            ;   in Loop: Header=BB6_13634 Depth=3
	v_mov_b32_e32 v0, v52
	v_bfe_u32 v2, v52, 23, 1
	v_mov_b32_e32 v1, v53
; %bb.13715:                            ;   in Loop: Header=BB6_13634 Depth=3
	s_or_b64 exec, exec, s[40:41]
	v_lshrrev_b64 v[0:1], 20, v[0:1]
	v_cmp_gt_i32_e32 vcc, 16, v2
	v_cndmask_b32_e32 v1, 0, v1, vcc
	v_cndmask_b32_e32 v0, 7, v0, vcc
	v_cmp_eq_u64_e64 s[40:41], 0, v[0:1]
	v_min_i32_e32 v1, 15, v2
	v_lshlrev_b32_e32 v1, 3, v1
	v_cmp_eq_u32_e32 vcc, 0, v2
	v_and_b32_e32 v1, 0xf8, v1
	v_and_or_b32 v0, v0, 7, v1
	s_and_b64 s[40:41], vcc, s[40:41]
	v_cndmask_b32_e64 v0, v0, 0, s[40:41]
	v_or_b32_e32 v29, v0, v3
.LBB6_13716:                            ;   in Loop: Header=BB6_13634 Depth=3
	s_or_b64 exec, exec, s[46:47]
                                        ; implicit-def: $vgpr3
.LBB6_13717:                            ;   in Loop: Header=BB6_13634 Depth=3
	s_andn2_saveexec_b64 s[40:41], s[44:45]
; %bb.13718:                            ;   in Loop: Header=BB6_13634 Depth=3
	v_or_b32_e32 v29, 0x7e, v3
; %bb.13719:                            ;   in Loop: Header=BB6_13634 Depth=3
	s_or_b64 exec, exec, s[40:41]
                                        ; implicit-def: $vgpr1
.LBB6_13720:                            ;   in Loop: Header=BB6_13634 Depth=3
	s_andn2_saveexec_b64 s[40:41], s[42:43]
; %bb.13721:                            ;   in Loop: Header=BB6_13634 Depth=3
	v_or_b32_sdwa v29, v1, s83 dst_sel:DWORD dst_unused:UNUSED_PAD src0_sel:BYTE_3 src1_sel:DWORD
; %bb.13722:                            ;   in Loop: Header=BB6_13634 Depth=3
	s_or_b64 exec, exec, s[40:41]
	v_bfe_u32 v3, v12, 16, 3
	v_bfe_u32 v1, v12, 16, 7
	v_cmp_eq_u32_e64 s[40:41], s83, v1
	v_cmp_gt_u32_e32 vcc, 8, v1
	v_ffbh_u32_e32 v1, v3
	v_min_u32_e32 v7, 32, v1
	v_lshrrev_b32_e32 v0, 16, v12
	v_subrev_u32_e32 v1, 28, v7
	v_lshlrev_b64 v[1:2], v1, v[0:1]
	v_bfe_u32 v6, v0, 3, 4
	v_sub_u32_e32 v2, 29, v7
	v_and_b32_e32 v1, 7, v1
	v_cndmask_b32_e32 v2, v6, v2, vcc
	v_cndmask_b32_e32 v1, v3, v1, vcc
	v_lshlrev_b32_e32 v3, 8, v12
	v_bfrev_b32_e32 v6, 60
	v_lshlrev_b32_e32 v1, 20, v1
	v_and_b32_e32 v3, 0x80000000, v3
	v_lshl_add_u32 v2, v2, 23, v6
	v_or3_b32 v1, v3, v2, v1
	v_lshrrev_b32_e32 v2, 16, v8
	v_cmp_ne_u16_sdwa s[42:43], v2, v53 src0_sel:BYTE_0 src1_sel:DWORD
	s_mov_b64 s[44:45], -1
	s_and_b64 vcc, exec, s[52:53]
                                        ; implicit-def: $vgpr6
	s_cbranch_vccz .LBB6_13736
; %bb.13723:                            ;   in Loop: Header=BB6_13634 Depth=3
	v_mov_b32_e32 v3, 0
	s_and_saveexec_b64 s[44:45], s[42:43]
	s_cbranch_execz .LBB6_13729
; %bb.13724:                            ;   in Loop: Header=BB6_13634 Depth=3
	v_cmp_ne_u16_sdwa vcc, v2, s82 src0_sel:BYTE_0 src1_sel:DWORD
	v_bfrev_b32_e32 v3, 1
	s_and_saveexec_b64 s[46:47], vcc
	s_cbranch_execz .LBB6_13728
; %bb.13725:                            ;   in Loop: Header=BB6_13634 Depth=3
	v_bfe_u32 v6, v8, 16, 7
	v_cmp_ne_u32_e32 vcc, s83, v6
	v_mov_b32_e32 v3, 0x7f800001
	s_and_saveexec_b64 s[54:55], vcc
	s_cbranch_execz .LBB6_13727
; %bb.13726:                            ;   in Loop: Header=BB6_13634 Depth=3
	v_and_b32_e32 v3, 7, v2
	v_lshrrev_b32_e32 v20, 3, v6
	v_cmp_gt_u32_e32 vcc, 8, v6
	v_ffbh_u32_e32 v6, v3
	v_min_u32_e32 v21, 32, v6
	v_subrev_u32_e32 v6, 28, v21
	v_lshlrev_b64 v[6:7], v6, v[2:3]
	v_sub_u32_e32 v7, 29, v21
	v_and_b32_e32 v6, 7, v6
	v_cndmask_b32_e32 v7, v20, v7, vcc
	v_cndmask_b32_e32 v3, v3, v6, vcc
	v_lshlrev_b32_e32 v6, 24, v2
	v_bfrev_b32_e32 v20, 60
	v_lshlrev_b32_e32 v3, 20, v3
	v_and_b32_e32 v6, 0x80000000, v6
	v_lshl_add_u32 v7, v7, 23, v20
	v_or3_b32 v3, v6, v7, v3
.LBB6_13727:                            ;   in Loop: Header=BB6_13634 Depth=3
	s_or_b64 exec, exec, s[54:55]
.LBB6_13728:                            ;   in Loop: Header=BB6_13634 Depth=3
	s_or_b64 exec, exec, s[46:47]
.LBB6_13729:                            ;   in Loop: Header=BB6_13634 Depth=3
	s_or_b64 exec, exec, s[44:45]
	v_cmp_gt_i16_sdwa s[46:47], v0, s83 src0_sel:BYTE_0 src1_sel:DWORD
	s_mov_b64 s[44:45], 0
	s_and_saveexec_b64 vcc, s[46:47]
	s_xor_b64 s[46:47], exec, vcc
	s_cbranch_execz .LBB6_14298
; %bb.13730:                            ;   in Loop: Header=BB6_13634 Depth=3
	v_cmp_eq_u16_sdwa s[54:55], v0, s82 src0_sel:BYTE_0 src1_sel:DWORD
	s_mov_b64 s[44:45], -1
	s_and_saveexec_b64 vcc, s[54:55]
; %bb.13731:                            ;   in Loop: Header=BB6_13634 Depth=3
	s_xor_b64 s[44:45], exec, -1
; %bb.13732:                            ;   in Loop: Header=BB6_13634 Depth=3
	s_or_b64 exec, exec, vcc
	s_and_b64 s[44:45], s[44:45], exec
	s_or_saveexec_b64 s[46:47], s[46:47]
	v_bfrev_b32_e32 v6, 1
	s_xor_b64 exec, exec, s[46:47]
	s_cbranch_execnz .LBB6_14299
.LBB6_13733:                            ;   in Loop: Header=BB6_13634 Depth=3
	s_or_b64 exec, exec, s[46:47]
	s_and_saveexec_b64 s[46:47], s[44:45]
.LBB6_13734:                            ;   in Loop: Header=BB6_13634 Depth=3
	v_mov_b32_e32 v6, 0x7f800001
	v_cndmask_b32_e64 v6, v1, v6, s[40:41]
.LBB6_13735:                            ;   in Loop: Header=BB6_13634 Depth=3
	s_or_b64 exec, exec, s[46:47]
	v_max_f32_e32 v6, v6, v6
	v_max_f32_e32 v3, v3, v3
	;; [unrolled: 1-line block ×3, first 2 shown]
	s_mov_b64 s[44:45], 0
.LBB6_13736:                            ;   in Loop: Header=BB6_13634 Depth=3
	s_and_b64 vcc, exec, s[44:45]
	s_cbranch_vccz .LBB6_13750
; %bb.13737:                            ;   in Loop: Header=BB6_13634 Depth=3
	v_mov_b32_e32 v3, 0
	s_and_saveexec_b64 s[44:45], s[42:43]
	s_cbranch_execz .LBB6_13743
; %bb.13738:                            ;   in Loop: Header=BB6_13634 Depth=3
	v_cmp_ne_u16_sdwa s[46:47], v2, s82 src0_sel:BYTE_0 src1_sel:DWORD
	v_bfrev_b32_e32 v3, 1
	s_and_saveexec_b64 s[42:43], s[46:47]
	s_cbranch_execz .LBB6_13742
; %bb.13739:                            ;   in Loop: Header=BB6_13634 Depth=3
	v_bfe_u32 v6, v8, 16, 7
	v_cmp_ne_u32_e32 vcc, s83, v6
	v_mov_b32_e32 v3, 0x7f800001
	s_and_saveexec_b64 s[46:47], vcc
	s_cbranch_execz .LBB6_13741
; %bb.13740:                            ;   in Loop: Header=BB6_13634 Depth=3
	v_and_b32_e32 v3, 7, v2
	v_lshrrev_b32_e32 v20, 3, v6
	v_cmp_gt_u32_e32 vcc, 8, v6
	v_ffbh_u32_e32 v6, v3
	v_min_u32_e32 v21, 32, v6
	v_subrev_u32_e32 v6, 28, v21
	v_lshlrev_b64 v[6:7], v6, v[2:3]
	v_sub_u32_e32 v7, 29, v21
	v_and_b32_e32 v6, 7, v6
	v_cndmask_b32_e32 v7, v20, v7, vcc
	v_cndmask_b32_e32 v3, v3, v6, vcc
	v_lshlrev_b32_e32 v2, 24, v2
	v_bfrev_b32_e32 v6, 60
	v_lshlrev_b32_e32 v3, 20, v3
	v_and_b32_e32 v2, 0x80000000, v2
	v_lshl_add_u32 v6, v7, 23, v6
	v_or3_b32 v3, v2, v6, v3
.LBB6_13741:                            ;   in Loop: Header=BB6_13634 Depth=3
	s_or_b64 exec, exec, s[46:47]
.LBB6_13742:                            ;   in Loop: Header=BB6_13634 Depth=3
	s_or_b64 exec, exec, s[42:43]
.LBB6_13743:                            ;   in Loop: Header=BB6_13634 Depth=3
	s_or_b64 exec, exec, s[44:45]
	v_cmp_gt_i16_sdwa s[44:45], v0, s83 src0_sel:BYTE_0 src1_sel:DWORD
	s_mov_b64 s[42:43], 0
	s_and_saveexec_b64 s[46:47], s[44:45]
	s_xor_b64 s[44:45], exec, s[46:47]
	s_cbranch_execz .LBB6_14300
; %bb.13744:                            ;   in Loop: Header=BB6_13634 Depth=3
	v_cmp_eq_u16_sdwa vcc, v0, s82 src0_sel:BYTE_0 src1_sel:DWORD
	s_mov_b64 s[42:43], -1
	s_and_saveexec_b64 s[46:47], vcc
; %bb.13745:                            ;   in Loop: Header=BB6_13634 Depth=3
	s_xor_b64 s[42:43], exec, -1
; %bb.13746:                            ;   in Loop: Header=BB6_13634 Depth=3
	s_or_b64 exec, exec, s[46:47]
	s_and_b64 s[42:43], s[42:43], exec
                                        ; implicit-def: $vgpr0
	s_or_saveexec_b64 s[44:45], s[44:45]
	v_bfrev_b32_e32 v2, 1
	s_xor_b64 exec, exec, s[44:45]
	s_cbranch_execnz .LBB6_14301
.LBB6_13747:                            ;   in Loop: Header=BB6_13634 Depth=3
	s_or_b64 exec, exec, s[44:45]
	s_and_saveexec_b64 s[44:45], s[42:43]
.LBB6_13748:                            ;   in Loop: Header=BB6_13634 Depth=3
	v_mov_b32_e32 v0, 0x7f800001
	v_cndmask_b32_e64 v2, v1, v0, s[40:41]
.LBB6_13749:                            ;   in Loop: Header=BB6_13634 Depth=3
	s_or_b64 exec, exec, s[44:45]
	v_max_f32_e32 v0, v2, v2
	v_max_f32_e32 v1, v3, v3
	v_min_f32_e32 v6, v1, v0
.LBB6_13750:                            ;   in Loop: Header=BB6_13634 Depth=3
	v_and_b32_e32 v52, 0x7f800000, v6
	v_cmp_ne_u64_e32 vcc, s[76:77], v[52:53]
                                        ; implicit-def: $vgpr30
	s_and_saveexec_b64 s[40:41], vcc
	s_xor_b64 s[42:43], exec, s[40:41]
	s_cbranch_execz .LBB6_13764
; %bb.13751:                            ;   in Loop: Header=BB6_13634 Depth=3
	v_and_b32_e32 v52, 0x7fffffff, v6
	v_cmp_gt_u64_e32 vcc, s[78:79], v[52:53]
	v_and_b32_sdwa v3, v6, s82 dst_sel:DWORD dst_unused:UNUSED_PAD src0_sel:BYTE_3 src1_sel:DWORD
                                        ; implicit-def: $vgpr30
	s_and_saveexec_b64 s[40:41], vcc
	s_xor_b64 s[44:45], exec, s[40:41]
	s_cbranch_execz .LBB6_13761
; %bb.13752:                            ;   in Loop: Header=BB6_13634 Depth=3
	v_mov_b32_e32 v30, 0
	v_cmp_ne_u32_e32 vcc, 0, v6
	s_and_saveexec_b64 s[46:47], vcc
	s_cbranch_execz .LBB6_13760
; %bb.13753:                            ;   in Loop: Header=BB6_13634 Depth=3
	v_and_b32_e32 v0, 0x7fffff, v6
	v_bfe_u32 v6, v6, 23, 8
	v_cmp_gt_u32_e64 s[40:41], s85, v6
	v_sub_u32_e32 v1, 0x79, v6
	v_cmp_eq_u32_e32 vcc, 0, v6
	v_cndmask_b32_e64 v1, 0, v1, s[40:41]
	v_mov_b32_e32 v7, 0x78
	v_or_b32_e32 v2, 0x800000, v0
	v_cndmask_b32_e32 v7, v1, v7, vcc
	v_cndmask_b32_e32 v52, v2, v0, vcc
	v_add_u32_e32 v0, 20, v7
	v_lshlrev_b64 v[0:1], v0, -1
	v_add_u32_e32 v2, 19, v7
	v_lshlrev_b64 v[20:21], v2, 1
	v_bfi_b32 v1, v1, 0, 0
	v_bfi_b32 v0, v0, 0, v52
	v_cmp_eq_u64_e64 s[40:41], v[0:1], v[20:21]
	v_lshrrev_b64 v[0:1], v7, v[52:53]
	v_mov_b32_e32 v2, v1
	v_mov_b32_e32 v1, v0
	s_and_saveexec_b64 s[54:55], s[40:41]
; %bb.13754:                            ;   in Loop: Header=BB6_13634 Depth=3
	v_bfe_u32 v1, v0, 20, 1
	v_add_co_u32_e64 v1, s[40:41], v0, v1
	v_add_co_u32_e64 v1, s[40:41], -1, v1
; %bb.13755:                            ;   in Loop: Header=BB6_13634 Depth=3
	s_or_b64 exec, exec, s[54:55]
	v_add_u32_e32 v2, 0xffffff81, v6
	v_mov_b32_e32 v6, 0xffffff82
	v_cndmask_b32_e32 v2, v2, v6, vcc
	v_lshrrev_b32_e32 v6, 23, v0
	v_add3_u32 v7, v7, v2, v6
	v_add_u32_e32 v6, 6, v7
	v_and_b32_e32 v1, 0xfffff, v1
	v_add_u32_e32 v52, v1, v0
	v_cmp_ne_u32_e32 vcc, 0, v6
                                        ; implicit-def: $vgpr0_vgpr1
                                        ; implicit-def: $vgpr2
	s_and_saveexec_b64 s[40:41], vcc
	s_xor_b64 s[40:41], exec, s[40:41]
; %bb.13756:                            ;   in Loop: Header=BB6_13634 Depth=3
	v_cmp_lt_u64_e32 vcc, s[88:89], v[52:53]
	v_add_u32_e32 v0, 7, v7
	v_cndmask_b32_e32 v2, v6, v0, vcc
	v_cndmask_b32_e64 v0, 0, 1, vcc
	v_lshrrev_b64 v[0:1], v0, v[52:53]
; %bb.13757:                            ;   in Loop: Header=BB6_13634 Depth=3
	s_andn2_saveexec_b64 s[40:41], s[40:41]
; %bb.13758:                            ;   in Loop: Header=BB6_13634 Depth=3
	v_mov_b32_e32 v0, v52
	v_bfe_u32 v2, v52, 23, 1
	v_mov_b32_e32 v1, v53
; %bb.13759:                            ;   in Loop: Header=BB6_13634 Depth=3
	s_or_b64 exec, exec, s[40:41]
	v_lshrrev_b64 v[0:1], 20, v[0:1]
	v_cmp_gt_i32_e32 vcc, 16, v2
	v_cndmask_b32_e32 v1, 0, v1, vcc
	v_cndmask_b32_e32 v0, 7, v0, vcc
	v_cmp_eq_u64_e64 s[40:41], 0, v[0:1]
	v_min_i32_e32 v1, 15, v2
	v_lshlrev_b32_e32 v1, 3, v1
	v_cmp_eq_u32_e32 vcc, 0, v2
	v_and_b32_e32 v1, 0xf8, v1
	v_and_or_b32 v0, v0, 7, v1
	s_and_b64 s[40:41], vcc, s[40:41]
	v_cndmask_b32_e64 v0, v0, 0, s[40:41]
	v_or_b32_e32 v30, v0, v3
.LBB6_13760:                            ;   in Loop: Header=BB6_13634 Depth=3
	s_or_b64 exec, exec, s[46:47]
                                        ; implicit-def: $vgpr3
.LBB6_13761:                            ;   in Loop: Header=BB6_13634 Depth=3
	s_andn2_saveexec_b64 s[40:41], s[44:45]
; %bb.13762:                            ;   in Loop: Header=BB6_13634 Depth=3
	v_or_b32_e32 v30, 0x7e, v3
; %bb.13763:                            ;   in Loop: Header=BB6_13634 Depth=3
	s_or_b64 exec, exec, s[40:41]
                                        ; implicit-def: $vgpr6
.LBB6_13764:                            ;   in Loop: Header=BB6_13634 Depth=3
	s_andn2_saveexec_b64 s[40:41], s[42:43]
; %bb.13765:                            ;   in Loop: Header=BB6_13634 Depth=3
	v_or_b32_sdwa v30, v6, s83 dst_sel:DWORD dst_unused:UNUSED_PAD src0_sel:BYTE_3 src1_sel:DWORD
; %bb.13766:                            ;   in Loop: Header=BB6_13634 Depth=3
	s_or_b64 exec, exec, s[40:41]
	v_bfe_u32 v3, v12, 24, 3
	v_bfe_u32 v2, v12, 24, 7
	v_cmp_eq_u32_e64 s[44:45], s83, v2
	v_cmp_gt_u32_e32 vcc, 8, v2
	v_ffbh_u32_e32 v2, v3
	v_min_u32_e32 v7, 32, v2
	v_lshrrev_b32_e32 v1, 24, v12
	v_subrev_u32_e32 v2, 28, v7
	v_bfe_u32 v6, v1, 3, 4
	v_cmp_eq_u32_e64 s[42:43], s82, v1
	v_lshlrev_b64 v[1:2], v2, v[1:2]
	v_sub_u32_e32 v2, 29, v7
	v_and_b32_e32 v1, 7, v1
	v_cndmask_b32_e32 v2, v6, v2, vcc
	v_cndmask_b32_e32 v1, v3, v1, vcc
	v_bfrev_b32_e32 v6, 60
	v_lshlrev_b32_e32 v1, 20, v1
	v_and_b32_e32 v3, 0x80000000, v12
	v_lshl_add_u32 v2, v2, 23, v6
	v_lshrrev_b32_e32 v0, 24, v8
	v_cmp_gt_u32_e64 s[40:41], s61, v12
	v_or3_b32 v1, v3, v2, v1
	v_cmp_lt_u32_e64 s[46:47], s63, v8
	s_mov_b64 s[54:55], -1
	s_and_b64 vcc, exec, s[52:53]
                                        ; implicit-def: $vgpr2
	s_cbranch_vccz .LBB6_13774
; %bb.13767:                            ;   in Loop: Header=BB6_13634 Depth=3
	v_mov_b32_e32 v2, 0
	s_and_saveexec_b64 s[54:55], s[46:47]
	s_cbranch_execz .LBB6_13773
; %bb.13768:                            ;   in Loop: Header=BB6_13634 Depth=3
	v_cmp_ne_u32_e32 vcc, s82, v0
	v_bfrev_b32_e32 v2, 1
	s_and_saveexec_b64 s[64:65], vcc
	s_cbranch_execz .LBB6_13772
; %bb.13769:                            ;   in Loop: Header=BB6_13634 Depth=3
	v_bfe_u32 v3, v8, 24, 7
	v_cmp_ne_u32_e32 vcc, s83, v3
	v_mov_b32_e32 v2, 0x7f800001
	s_and_saveexec_b64 s[66:67], vcc
	s_cbranch_execz .LBB6_13771
; %bb.13770:                            ;   in Loop: Header=BB6_13634 Depth=3
	v_and_b32_e32 v6, 7, v0
	v_ffbh_u32_e32 v2, v6
	v_min_u32_e32 v20, 32, v2
	v_subrev_u32_e32 v2, 28, v20
	v_lshrrev_b32_e32 v7, 3, v3
	v_cmp_gt_u32_e32 vcc, 8, v3
	v_lshlrev_b64 v[2:3], v2, v[0:1]
	v_sub_u32_e32 v3, 29, v20
	v_and_b32_e32 v2, 7, v2
	v_cndmask_b32_e32 v3, v7, v3, vcc
	v_cndmask_b32_e32 v2, v6, v2, vcc
	v_lshlrev_b32_e32 v6, 24, v0
	v_bfrev_b32_e32 v7, 60
	v_lshlrev_b32_e32 v2, 20, v2
	v_and_b32_e32 v6, 0x80000000, v6
	v_lshl_add_u32 v3, v3, 23, v7
	v_or3_b32 v2, v6, v3, v2
.LBB6_13771:                            ;   in Loop: Header=BB6_13634 Depth=3
	s_or_b64 exec, exec, s[66:67]
.LBB6_13772:                            ;   in Loop: Header=BB6_13634 Depth=3
	s_or_b64 exec, exec, s[64:65]
.LBB6_13773:                            ;   in Loop: Header=BB6_13634 Depth=3
	s_or_b64 exec, exec, s[54:55]
	v_mov_b32_e32 v3, 0x7f800001
	v_cndmask_b32_e64 v3, v1, v3, s[44:45]
	v_bfrev_b32_e32 v6, 1
	v_cndmask_b32_e64 v3, v3, v6, s[42:43]
	v_cndmask_b32_e64 v3, v3, 0, s[40:41]
	v_max_f32_e32 v3, v3, v3
	v_max_f32_e32 v2, v2, v2
	;; [unrolled: 1-line block ×3, first 2 shown]
	s_mov_b64 s[54:55], 0
.LBB6_13774:                            ;   in Loop: Header=BB6_13634 Depth=3
	s_and_b64 vcc, exec, s[54:55]
	s_cbranch_vccz .LBB6_13782
; %bb.13775:                            ;   in Loop: Header=BB6_13634 Depth=3
	v_mov_b32_e32 v2, 0
	s_and_saveexec_b64 s[54:55], s[46:47]
	s_cbranch_execz .LBB6_13781
; %bb.13776:                            ;   in Loop: Header=BB6_13634 Depth=3
	v_cmp_ne_u32_e32 vcc, s82, v0
	v_bfrev_b32_e32 v2, 1
	s_and_saveexec_b64 s[46:47], vcc
	s_cbranch_execz .LBB6_13780
; %bb.13777:                            ;   in Loop: Header=BB6_13634 Depth=3
	v_bfe_u32 v3, v8, 24, 7
	v_cmp_ne_u32_e32 vcc, s83, v3
	v_mov_b32_e32 v2, 0x7f800001
	s_and_saveexec_b64 s[64:65], vcc
	s_cbranch_execz .LBB6_13779
; %bb.13778:                            ;   in Loop: Header=BB6_13634 Depth=3
	v_and_b32_e32 v6, 7, v0
	v_ffbh_u32_e32 v2, v6
	v_min_u32_e32 v20, 32, v2
	v_subrev_u32_e32 v2, 28, v20
	v_lshrrev_b32_e32 v7, 3, v3
	v_cmp_gt_u32_e32 vcc, 8, v3
	v_lshlrev_b64 v[2:3], v2, v[0:1]
	v_sub_u32_e32 v3, 29, v20
	v_and_b32_e32 v2, 7, v2
	v_cndmask_b32_e32 v3, v7, v3, vcc
	v_cndmask_b32_e32 v2, v6, v2, vcc
	v_lshlrev_b32_e32 v0, 24, v0
	v_bfrev_b32_e32 v6, 60
	v_lshlrev_b32_e32 v2, 20, v2
	v_and_b32_e32 v0, 0x80000000, v0
	v_lshl_add_u32 v3, v3, 23, v6
	v_or3_b32 v2, v0, v3, v2
.LBB6_13779:                            ;   in Loop: Header=BB6_13634 Depth=3
	s_or_b64 exec, exec, s[64:65]
.LBB6_13780:                            ;   in Loop: Header=BB6_13634 Depth=3
	s_or_b64 exec, exec, s[46:47]
.LBB6_13781:                            ;   in Loop: Header=BB6_13634 Depth=3
	s_or_b64 exec, exec, s[54:55]
	v_mov_b32_e32 v0, 0x7f800001
	v_cndmask_b32_e64 v0, v1, v0, s[44:45]
	v_bfrev_b32_e32 v1, 1
	v_cndmask_b32_e64 v0, v0, v1, s[42:43]
	v_cndmask_b32_e64 v0, v0, 0, s[40:41]
	v_max_f32_e32 v0, v0, v0
	v_max_f32_e32 v1, v2, v2
	v_min_f32_e32 v2, v1, v0
.LBB6_13782:                            ;   in Loop: Header=BB6_13634 Depth=3
	v_and_b32_e32 v52, 0x7f800000, v2
	v_cmp_ne_u64_e32 vcc, s[76:77], v[52:53]
                                        ; implicit-def: $vgpr31
	s_and_saveexec_b64 s[40:41], vcc
	s_xor_b64 s[42:43], exec, s[40:41]
	s_cbranch_execz .LBB6_13796
; %bb.13783:                            ;   in Loop: Header=BB6_13634 Depth=3
	v_and_b32_e32 v52, 0x7fffffff, v2
	v_cmp_gt_u64_e32 vcc, s[78:79], v[52:53]
	v_and_b32_sdwa v3, v2, s82 dst_sel:DWORD dst_unused:UNUSED_PAD src0_sel:BYTE_3 src1_sel:DWORD
                                        ; implicit-def: $vgpr31
	s_and_saveexec_b64 s[40:41], vcc
	s_xor_b64 s[44:45], exec, s[40:41]
	s_cbranch_execz .LBB6_13793
; %bb.13784:                            ;   in Loop: Header=BB6_13634 Depth=3
	v_mov_b32_e32 v31, 0
	v_cmp_ne_u32_e32 vcc, 0, v2
	s_and_saveexec_b64 s[46:47], vcc
	s_cbranch_execz .LBB6_13792
; %bb.13785:                            ;   in Loop: Header=BB6_13634 Depth=3
	v_bfe_u32 v6, v2, 23, 8
	v_cmp_gt_u32_e64 s[40:41], s85, v6
	v_sub_u32_e32 v1, 0x79, v6
	v_and_b32_e32 v0, 0x7fffff, v2
	v_cmp_eq_u32_e32 vcc, 0, v6
	v_cndmask_b32_e64 v1, 0, v1, s[40:41]
	v_mov_b32_e32 v7, 0x78
	v_or_b32_e32 v2, 0x800000, v0
	v_cndmask_b32_e32 v7, v1, v7, vcc
	v_cndmask_b32_e32 v52, v2, v0, vcc
	v_add_u32_e32 v0, 20, v7
	v_lshlrev_b64 v[0:1], v0, -1
	v_add_u32_e32 v2, 19, v7
	v_lshlrev_b64 v[20:21], v2, 1
	v_bfi_b32 v1, v1, 0, 0
	v_bfi_b32 v0, v0, 0, v52
	v_cmp_eq_u64_e64 s[40:41], v[0:1], v[20:21]
	v_lshrrev_b64 v[0:1], v7, v[52:53]
	v_mov_b32_e32 v2, v1
	v_mov_b32_e32 v1, v0
	s_and_saveexec_b64 s[54:55], s[40:41]
; %bb.13786:                            ;   in Loop: Header=BB6_13634 Depth=3
	v_bfe_u32 v1, v0, 20, 1
	v_add_co_u32_e64 v1, s[40:41], v0, v1
	v_add_co_u32_e64 v1, s[40:41], -1, v1
; %bb.13787:                            ;   in Loop: Header=BB6_13634 Depth=3
	s_or_b64 exec, exec, s[54:55]
	v_add_u32_e32 v2, 0xffffff81, v6
	v_mov_b32_e32 v6, 0xffffff82
	v_cndmask_b32_e32 v2, v2, v6, vcc
	v_lshrrev_b32_e32 v6, 23, v0
	v_add3_u32 v7, v7, v2, v6
	v_add_u32_e32 v6, 6, v7
	v_and_b32_e32 v1, 0xfffff, v1
	v_add_u32_e32 v52, v1, v0
	v_cmp_ne_u32_e32 vcc, 0, v6
                                        ; implicit-def: $vgpr0_vgpr1
                                        ; implicit-def: $vgpr2
	s_and_saveexec_b64 s[40:41], vcc
	s_xor_b64 s[40:41], exec, s[40:41]
; %bb.13788:                            ;   in Loop: Header=BB6_13634 Depth=3
	v_cmp_lt_u64_e32 vcc, s[88:89], v[52:53]
	v_add_u32_e32 v0, 7, v7
	v_cndmask_b32_e32 v2, v6, v0, vcc
	v_cndmask_b32_e64 v0, 0, 1, vcc
	v_lshrrev_b64 v[0:1], v0, v[52:53]
; %bb.13789:                            ;   in Loop: Header=BB6_13634 Depth=3
	s_andn2_saveexec_b64 s[40:41], s[40:41]
; %bb.13790:                            ;   in Loop: Header=BB6_13634 Depth=3
	v_mov_b32_e32 v0, v52
	v_bfe_u32 v2, v52, 23, 1
	v_mov_b32_e32 v1, v53
; %bb.13791:                            ;   in Loop: Header=BB6_13634 Depth=3
	s_or_b64 exec, exec, s[40:41]
	v_lshrrev_b64 v[0:1], 20, v[0:1]
	v_cmp_gt_i32_e32 vcc, 16, v2
	v_cndmask_b32_e32 v1, 0, v1, vcc
	v_cndmask_b32_e32 v0, 7, v0, vcc
	v_cmp_eq_u64_e64 s[40:41], 0, v[0:1]
	v_min_i32_e32 v1, 15, v2
	v_lshlrev_b32_e32 v1, 3, v1
	v_cmp_eq_u32_e32 vcc, 0, v2
	v_and_b32_e32 v1, 0xf8, v1
	v_and_or_b32 v0, v0, 7, v1
	s_and_b64 s[40:41], vcc, s[40:41]
	v_cndmask_b32_e64 v0, v0, 0, s[40:41]
	v_or_b32_e32 v31, v0, v3
.LBB6_13792:                            ;   in Loop: Header=BB6_13634 Depth=3
	s_or_b64 exec, exec, s[46:47]
                                        ; implicit-def: $vgpr3
.LBB6_13793:                            ;   in Loop: Header=BB6_13634 Depth=3
	s_andn2_saveexec_b64 s[40:41], s[44:45]
; %bb.13794:                            ;   in Loop: Header=BB6_13634 Depth=3
	v_or_b32_e32 v31, 0x7e, v3
; %bb.13795:                            ;   in Loop: Header=BB6_13634 Depth=3
	s_or_b64 exec, exec, s[40:41]
                                        ; implicit-def: $vgpr2
.LBB6_13796:                            ;   in Loop: Header=BB6_13634 Depth=3
	s_andn2_saveexec_b64 s[40:41], s[42:43]
; %bb.13797:                            ;   in Loop: Header=BB6_13634 Depth=3
	v_or_b32_sdwa v31, v2, s83 dst_sel:DWORD dst_unused:UNUSED_PAD src0_sel:BYTE_3 src1_sel:DWORD
; %bb.13798:                            ;   in Loop: Header=BB6_13634 Depth=3
	s_or_b64 exec, exec, s[40:41]
	v_and_b32_e32 v0, 7, v13
	v_ffbh_u32_e32 v0, v0
	v_and_b32_e32 v1, 0x7f, v13
	v_min_u32_e32 v0, 32, v0
	v_bfe_u32 v2, v13, 3, 4
	v_cmp_eq_u32_e64 s[40:41], s83, v1
	v_cmp_gt_u32_e32 vcc, 8, v1
	v_subrev_u32_e32 v1, 28, v0
	v_sub_u32_e32 v0, 29, v0
	v_mov_b32_e32 v52, v13
	v_cndmask_b32_e32 v2, v2, v0, vcc
	v_cndmask_b32_e32 v0, 0, v1, vcc
	v_lshlrev_b64 v[0:1], v0, v[52:53]
	v_lshlrev_b32_e32 v1, 24, v13
	v_lshlrev_b32_e32 v0, 20, v0
	v_bfrev_b32_e32 v3, 60
	v_and_b32_e32 v0, 0x700000, v0
	v_and_b32_e32 v1, 0x80000000, v1
	v_lshl_add_u32 v2, v2, 23, v3
	v_or3_b32 v0, v1, v2, v0
	v_mov_b32_e32 v2, v9
	v_mov_b32_e32 v3, v53
	v_cmp_ne_u16_sdwa s[42:43], v9, v53 src0_sel:BYTE_0 src1_sel:DWORD
	s_mov_b64 s[44:45], -1
	s_and_b64 vcc, exec, s[52:53]
                                        ; implicit-def: $vgpr1
	s_cbranch_vccz .LBB6_13812
; %bb.13799:                            ;   in Loop: Header=BB6_13634 Depth=3
	v_mov_b32_e32 v1, 0
	s_and_saveexec_b64 s[44:45], s[42:43]
	s_cbranch_execz .LBB6_13805
; %bb.13800:                            ;   in Loop: Header=BB6_13634 Depth=3
	v_cmp_ne_u16_sdwa vcc, v9, s82 src0_sel:BYTE_0 src1_sel:DWORD
	v_bfrev_b32_e32 v1, 1
	s_and_saveexec_b64 s[46:47], vcc
	s_cbranch_execz .LBB6_13804
; %bb.13801:                            ;   in Loop: Header=BB6_13634 Depth=3
	v_and_b32_e32 v6, 0x7f, v9
	v_cmp_ne_u32_e32 vcc, s83, v6
	v_mov_b32_e32 v1, 0x7f800001
	s_and_saveexec_b64 s[54:55], vcc
	s_cbranch_execz .LBB6_13803
; %bb.13802:                            ;   in Loop: Header=BB6_13634 Depth=3
	v_and_b32_e32 v1, 7, v9
	v_ffbh_u32_e32 v1, v1
	v_min_u32_e32 v1, 32, v1
	v_lshrrev_b32_e32 v7, 3, v6
	v_cmp_gt_u32_e32 vcc, 8, v6
	v_subrev_u32_e32 v6, 28, v1
	v_sub_u32_e32 v1, 29, v1
	v_cndmask_b32_e32 v6, 0, v6, vcc
	v_cndmask_b32_e32 v1, v7, v1, vcc
	v_lshlrev_b64 v[6:7], v6, v[2:3]
	v_lshlrev_b32_e32 v7, 24, v2
	v_lshlrev_b32_e32 v6, 20, v6
	v_bfrev_b32_e32 v20, 60
	v_and_b32_e32 v6, 0x700000, v6
	v_and_b32_e32 v7, 0x80000000, v7
	v_lshl_add_u32 v1, v1, 23, v20
	v_or3_b32 v1, v7, v1, v6
.LBB6_13803:                            ;   in Loop: Header=BB6_13634 Depth=3
	s_or_b64 exec, exec, s[54:55]
.LBB6_13804:                            ;   in Loop: Header=BB6_13634 Depth=3
	s_or_b64 exec, exec, s[46:47]
.LBB6_13805:                            ;   in Loop: Header=BB6_13634 Depth=3
	s_or_b64 exec, exec, s[44:45]
	v_cmp_gt_i16_sdwa s[46:47], v13, s83 src0_sel:BYTE_0 src1_sel:DWORD
	s_mov_b64 s[44:45], 0
	s_and_saveexec_b64 vcc, s[46:47]
	s_xor_b64 s[46:47], exec, vcc
	s_cbranch_execz .LBB6_14302
; %bb.13806:                            ;   in Loop: Header=BB6_13634 Depth=3
	v_cmp_eq_u16_sdwa s[54:55], v13, s82 src0_sel:BYTE_0 src1_sel:DWORD
	s_mov_b64 s[44:45], -1
	s_and_saveexec_b64 vcc, s[54:55]
; %bb.13807:                            ;   in Loop: Header=BB6_13634 Depth=3
	s_xor_b64 s[44:45], exec, -1
; %bb.13808:                            ;   in Loop: Header=BB6_13634 Depth=3
	s_or_b64 exec, exec, vcc
	s_and_b64 s[44:45], s[44:45], exec
	s_or_saveexec_b64 s[46:47], s[46:47]
	v_bfrev_b32_e32 v6, 1
	s_xor_b64 exec, exec, s[46:47]
	s_cbranch_execnz .LBB6_14303
.LBB6_13809:                            ;   in Loop: Header=BB6_13634 Depth=3
	s_or_b64 exec, exec, s[46:47]
	s_and_saveexec_b64 s[46:47], s[44:45]
.LBB6_13810:                            ;   in Loop: Header=BB6_13634 Depth=3
	v_mov_b32_e32 v6, 0x7f800001
	v_cndmask_b32_e64 v6, v0, v6, s[40:41]
.LBB6_13811:                            ;   in Loop: Header=BB6_13634 Depth=3
	s_or_b64 exec, exec, s[46:47]
	v_max_f32_e32 v6, v6, v6
	v_max_f32_e32 v1, v1, v1
	v_max_f32_e32 v1, v1, v6
	s_mov_b64 s[44:45], 0
.LBB6_13812:                            ;   in Loop: Header=BB6_13634 Depth=3
	s_and_b64 vcc, exec, s[44:45]
	s_cbranch_vccz .LBB6_13826
; %bb.13813:                            ;   in Loop: Header=BB6_13634 Depth=3
	v_mov_b32_e32 v1, 0
	s_and_saveexec_b64 s[44:45], s[42:43]
	s_cbranch_execz .LBB6_13819
; %bb.13814:                            ;   in Loop: Header=BB6_13634 Depth=3
	v_cmp_ne_u16_sdwa s[46:47], v9, s82 src0_sel:BYTE_0 src1_sel:DWORD
	v_bfrev_b32_e32 v1, 1
	s_and_saveexec_b64 s[42:43], s[46:47]
	s_cbranch_execz .LBB6_13818
; %bb.13815:                            ;   in Loop: Header=BB6_13634 Depth=3
	v_and_b32_e32 v6, 0x7f, v9
	v_cmp_ne_u32_e32 vcc, s83, v6
	v_mov_b32_e32 v1, 0x7f800001
	s_and_saveexec_b64 s[46:47], vcc
	s_cbranch_execz .LBB6_13817
; %bb.13816:                            ;   in Loop: Header=BB6_13634 Depth=3
	v_and_b32_e32 v1, 7, v9
	v_ffbh_u32_e32 v1, v1
	v_min_u32_e32 v1, 32, v1
	v_lshrrev_b32_e32 v7, 3, v6
	v_cmp_gt_u32_e32 vcc, 8, v6
	v_subrev_u32_e32 v6, 28, v1
	v_sub_u32_e32 v1, 29, v1
	v_cndmask_b32_e32 v6, 0, v6, vcc
	v_cndmask_b32_e32 v1, v7, v1, vcc
	v_lshlrev_b64 v[6:7], v6, v[2:3]
	v_bfrev_b32_e32 v7, 60
	v_lshlrev_b32_e32 v3, 20, v6
	v_lshlrev_b32_e32 v6, 24, v2
	v_and_b32_e32 v3, 0x700000, v3
	v_and_b32_e32 v6, 0x80000000, v6
	v_lshl_add_u32 v1, v1, 23, v7
	v_or3_b32 v1, v6, v1, v3
.LBB6_13817:                            ;   in Loop: Header=BB6_13634 Depth=3
	s_or_b64 exec, exec, s[46:47]
.LBB6_13818:                            ;   in Loop: Header=BB6_13634 Depth=3
	s_or_b64 exec, exec, s[42:43]
.LBB6_13819:                            ;   in Loop: Header=BB6_13634 Depth=3
	s_or_b64 exec, exec, s[44:45]
	v_cmp_gt_i16_sdwa s[44:45], v13, s83 src0_sel:BYTE_0 src1_sel:DWORD
	s_mov_b64 s[42:43], 0
	s_and_saveexec_b64 s[46:47], s[44:45]
	s_xor_b64 s[44:45], exec, s[46:47]
	s_cbranch_execz .LBB6_14304
; %bb.13820:                            ;   in Loop: Header=BB6_13634 Depth=3
	v_cmp_eq_u16_sdwa vcc, v13, s82 src0_sel:BYTE_0 src1_sel:DWORD
	s_mov_b64 s[42:43], -1
	s_and_saveexec_b64 s[46:47], vcc
; %bb.13821:                            ;   in Loop: Header=BB6_13634 Depth=3
	s_xor_b64 s[42:43], exec, -1
; %bb.13822:                            ;   in Loop: Header=BB6_13634 Depth=3
	s_or_b64 exec, exec, s[46:47]
	s_and_b64 s[42:43], s[42:43], exec
	s_or_saveexec_b64 s[44:45], s[44:45]
	v_bfrev_b32_e32 v3, 1
	s_xor_b64 exec, exec, s[44:45]
	s_cbranch_execnz .LBB6_14305
.LBB6_13823:                            ;   in Loop: Header=BB6_13634 Depth=3
	s_or_b64 exec, exec, s[44:45]
	s_and_saveexec_b64 s[44:45], s[42:43]
.LBB6_13824:                            ;   in Loop: Header=BB6_13634 Depth=3
	v_mov_b32_e32 v3, 0x7f800001
	v_cndmask_b32_e64 v3, v0, v3, s[40:41]
.LBB6_13825:                            ;   in Loop: Header=BB6_13634 Depth=3
	s_or_b64 exec, exec, s[44:45]
	v_max_f32_e32 v0, v3, v3
	v_max_f32_e32 v1, v1, v1
	v_min_f32_e32 v1, v1, v0
.LBB6_13826:                            ;   in Loop: Header=BB6_13634 Depth=3
	v_and_b32_e32 v6, 0x7f800000, v1
	v_mov_b32_e32 v7, v53
	v_cmp_ne_u64_e32 vcc, s[76:77], v[6:7]
                                        ; implicit-def: $vgpr20
	s_and_saveexec_b64 s[40:41], vcc
	s_xor_b64 s[42:43], exec, s[40:41]
	s_cbranch_execz .LBB6_13840
; %bb.13827:                            ;   in Loop: Header=BB6_13634 Depth=3
	v_and_b32_e32 v6, 0x7fffffff, v1
	v_mov_b32_e32 v7, v53
	v_cmp_gt_u64_e32 vcc, s[78:79], v[6:7]
	v_and_b32_sdwa v3, v1, s82 dst_sel:DWORD dst_unused:UNUSED_PAD src0_sel:BYTE_3 src1_sel:DWORD
                                        ; implicit-def: $vgpr20
	s_and_saveexec_b64 s[40:41], vcc
	s_xor_b64 s[44:45], exec, s[40:41]
	s_cbranch_execz .LBB6_13837
; %bb.13828:                            ;   in Loop: Header=BB6_13634 Depth=3
	v_mov_b32_e32 v20, 0
	v_cmp_ne_u32_e32 vcc, 0, v1
	s_and_saveexec_b64 s[46:47], vcc
	s_cbranch_execz .LBB6_13836
; %bb.13829:                            ;   in Loop: Header=BB6_13634 Depth=3
	v_bfe_u32 v20, v1, 23, 8
	v_and_b32_e32 v0, 0x7fffff, v1
	v_cmp_gt_u32_e64 s[40:41], s85, v20
	v_sub_u32_e32 v1, 0x79, v20
	v_cmp_eq_u32_e32 vcc, 0, v20
	v_cndmask_b32_e64 v1, 0, v1, s[40:41]
	v_mov_b32_e32 v7, 0x78
	v_or_b32_e32 v6, 0x800000, v0
	v_cndmask_b32_e32 v21, v1, v7, vcc
	v_cndmask_b32_e32 v0, v6, v0, vcc
	v_add_u32_e32 v6, 20, v21
	v_lshlrev_b64 v[6:7], v6, -1
	v_mov_b32_e32 v1, v53
	v_add_u32_e32 v32, 19, v21
	v_bfi_b32 v6, v6, 0, v0
	v_lshlrev_b64 v[32:33], v32, 1
	v_lshrrev_b64 v[0:1], v21, v[0:1]
	v_bfi_b32 v7, v7, 0, 0
	v_cmp_eq_u64_e64 s[40:41], v[6:7], v[32:33]
	v_mov_b32_e32 v7, v1
	v_mov_b32_e32 v6, v0
	s_and_saveexec_b64 s[54:55], s[40:41]
; %bb.13830:                            ;   in Loop: Header=BB6_13634 Depth=3
	v_bfe_u32 v1, v0, 20, 1
	v_add_co_u32_e64 v1, s[40:41], v0, v1
	v_add_co_u32_e64 v6, s[40:41], -1, v1
; %bb.13831:                            ;   in Loop: Header=BB6_13634 Depth=3
	s_or_b64 exec, exec, s[54:55]
	v_add_u32_e32 v1, 0xffffff81, v20
	v_mov_b32_e32 v7, 0xffffff82
	v_cndmask_b32_e32 v1, v1, v7, vcc
	v_lshrrev_b32_e32 v7, 23, v0
	v_add3_u32 v7, v21, v1, v7
	v_add_u32_e32 v1, 6, v7
	v_and_b32_e32 v6, 0xfffff, v6
	v_add_u32_e32 v20, v6, v0
	v_mov_b32_e32 v21, v53
	v_cmp_ne_u32_e32 vcc, 0, v1
                                        ; implicit-def: $vgpr0
	s_and_saveexec_b64 s[40:41], vcc
	s_xor_b64 s[40:41], exec, s[40:41]
; %bb.13832:                            ;   in Loop: Header=BB6_13634 Depth=3
	v_cmp_lt_u64_e32 vcc, s[88:89], v[20:21]
	v_add_u32_e32 v0, 7, v7
	v_cndmask_b32_e32 v0, v1, v0, vcc
	v_cndmask_b32_e64 v1, 0, 1, vcc
	v_lshrrev_b64 v[20:21], v1, v[20:21]
; %bb.13833:                            ;   in Loop: Header=BB6_13634 Depth=3
	s_andn2_saveexec_b64 s[40:41], s[40:41]
; %bb.13834:                            ;   in Loop: Header=BB6_13634 Depth=3
	v_bfe_u32 v0, v20, 23, 1
; %bb.13835:                            ;   in Loop: Header=BB6_13634 Depth=3
	s_or_b64 exec, exec, s[40:41]
	v_lshrrev_b64 v[6:7], 20, v[20:21]
	v_cmp_gt_i32_e32 vcc, 16, v0
	v_cndmask_b32_e32 v7, 0, v7, vcc
	v_cndmask_b32_e32 v6, 7, v6, vcc
	v_cmp_eq_u32_e32 vcc, 0, v0
	v_min_i32_e32 v0, 15, v0
	v_cmp_eq_u64_e64 s[40:41], 0, v[6:7]
	v_lshlrev_b32_e32 v0, 3, v0
	v_and_b32_e32 v0, 0xf8, v0
	v_and_or_b32 v0, v6, 7, v0
	s_and_b64 s[40:41], vcc, s[40:41]
	v_cndmask_b32_e64 v0, v0, 0, s[40:41]
	v_or_b32_e32 v20, v0, v3
.LBB6_13836:                            ;   in Loop: Header=BB6_13634 Depth=3
	s_or_b64 exec, exec, s[46:47]
                                        ; implicit-def: $vgpr3
.LBB6_13837:                            ;   in Loop: Header=BB6_13634 Depth=3
	s_andn2_saveexec_b64 s[40:41], s[44:45]
; %bb.13838:                            ;   in Loop: Header=BB6_13634 Depth=3
	v_or_b32_e32 v20, 0x7e, v3
; %bb.13839:                            ;   in Loop: Header=BB6_13634 Depth=3
	s_or_b64 exec, exec, s[40:41]
                                        ; implicit-def: $vgpr1
.LBB6_13840:                            ;   in Loop: Header=BB6_13634 Depth=3
	s_andn2_saveexec_b64 s[40:41], s[42:43]
; %bb.13841:                            ;   in Loop: Header=BB6_13634 Depth=3
	v_or_b32_sdwa v20, v1, s83 dst_sel:DWORD dst_unused:UNUSED_PAD src0_sel:BYTE_3 src1_sel:DWORD
; %bb.13842:                            ;   in Loop: Header=BB6_13634 Depth=3
	s_or_b64 exec, exec, s[40:41]
	v_lshrrev_b16_e32 v52, 8, v52
	v_and_b32_e32 v6, 7, v52
	v_and_b32_e32 v0, 0x7f, v52
	v_cmp_eq_u32_e64 s[40:41], s83, v0
	v_cmp_gt_u32_e32 vcc, 8, v0
	v_ffbh_u32_e32 v0, v6
	v_min_u32_e32 v21, 32, v0
	v_subrev_u32_e32 v0, 28, v21
	v_lshlrev_b64 v[0:1], v0, v[52:53]
	v_bfe_u32 v7, v52, 3, 4
	v_sub_u32_e32 v1, 29, v21
	v_and_b32_e32 v0, 7, v0
	v_cndmask_b32_e32 v1, v7, v1, vcc
	v_cndmask_b32_e32 v0, v6, v0, vcc
	v_lshlrev_b32_e32 v6, 24, v52
	v_bfrev_b32_e32 v7, 60
	v_lshrrev_b16_e32 v3, 8, v2
	v_lshlrev_b32_e32 v0, 20, v0
	v_and_b32_e32 v6, 0x80000000, v6
	v_lshl_add_u32 v1, v1, 23, v7
	v_or3_b32 v0, v6, v1, v0
	v_cmp_ne_u16_e64 s[42:43], 0, v3
	s_mov_b64 s[44:45], -1
	s_and_b64 vcc, exec, s[52:53]
                                        ; implicit-def: $vgpr1
	s_cbranch_vccz .LBB6_13856
; %bb.13843:                            ;   in Loop: Header=BB6_13634 Depth=3
	v_mov_b32_e32 v1, 0
	s_and_saveexec_b64 s[44:45], s[42:43]
	s_cbranch_execz .LBB6_13849
; %bb.13844:                            ;   in Loop: Header=BB6_13634 Depth=3
	v_cmp_ne_u16_e32 vcc, s82, v3
	v_bfrev_b32_e32 v1, 1
	s_and_saveexec_b64 s[46:47], vcc
	s_cbranch_execz .LBB6_13848
; %bb.13845:                            ;   in Loop: Header=BB6_13634 Depth=3
	v_and_b32_e32 v6, 0x7f, v3
	v_cmp_ne_u32_e32 vcc, s83, v6
	v_mov_b32_e32 v1, 0x7f800001
	s_and_saveexec_b64 s[54:55], vcc
	s_cbranch_execz .LBB6_13847
; %bb.13846:                            ;   in Loop: Header=BB6_13634 Depth=3
	v_and_b32_e32 v1, 7, v3
	v_lshrrev_b32_e32 v21, 3, v6
	v_cmp_gt_u32_e32 vcc, 8, v6
	v_ffbh_u32_e32 v6, v1
	v_min_u32_e32 v32, 32, v6
	v_subrev_u32_e32 v6, 28, v32
	v_lshlrev_b64 v[6:7], v6, v[3:4]
	v_sub_u32_e32 v7, 29, v32
	v_and_b32_e32 v6, 7, v6
	v_cndmask_b32_e32 v7, v21, v7, vcc
	v_cndmask_b32_e32 v1, v1, v6, vcc
	v_lshlrev_b32_e32 v6, 16, v2
	v_bfrev_b32_e32 v21, 60
	v_lshlrev_b32_e32 v1, 20, v1
	v_and_b32_e32 v6, 0x80000000, v6
	v_lshl_add_u32 v7, v7, 23, v21
	v_or3_b32 v1, v6, v7, v1
.LBB6_13847:                            ;   in Loop: Header=BB6_13634 Depth=3
	s_or_b64 exec, exec, s[54:55]
.LBB6_13848:                            ;   in Loop: Header=BB6_13634 Depth=3
	s_or_b64 exec, exec, s[46:47]
.LBB6_13849:                            ;   in Loop: Header=BB6_13634 Depth=3
	s_or_b64 exec, exec, s[44:45]
	v_cmp_lt_i16_e32 vcc, s83, v52
	s_mov_b64 s[44:45], 0
	s_and_saveexec_b64 s[46:47], vcc
	s_xor_b64 s[46:47], exec, s[46:47]
	s_cbranch_execz .LBB6_14306
; %bb.13850:                            ;   in Loop: Header=BB6_13634 Depth=3
	v_cmp_eq_u16_e32 vcc, s82, v52
	s_mov_b64 s[44:45], -1
	s_and_saveexec_b64 s[54:55], vcc
; %bb.13851:                            ;   in Loop: Header=BB6_13634 Depth=3
	s_xor_b64 s[44:45], exec, -1
; %bb.13852:                            ;   in Loop: Header=BB6_13634 Depth=3
	s_or_b64 exec, exec, s[54:55]
	s_and_b64 s[44:45], s[44:45], exec
	s_or_saveexec_b64 s[46:47], s[46:47]
	v_bfrev_b32_e32 v6, 1
	s_xor_b64 exec, exec, s[46:47]
	s_cbranch_execnz .LBB6_14307
.LBB6_13853:                            ;   in Loop: Header=BB6_13634 Depth=3
	s_or_b64 exec, exec, s[46:47]
	s_and_saveexec_b64 s[46:47], s[44:45]
.LBB6_13854:                            ;   in Loop: Header=BB6_13634 Depth=3
	v_mov_b32_e32 v6, 0x7f800001
	v_cndmask_b32_e64 v6, v0, v6, s[40:41]
.LBB6_13855:                            ;   in Loop: Header=BB6_13634 Depth=3
	s_or_b64 exec, exec, s[46:47]
	v_max_f32_e32 v6, v6, v6
	v_max_f32_e32 v1, v1, v1
	;; [unrolled: 1-line block ×3, first 2 shown]
	s_mov_b64 s[44:45], 0
.LBB6_13856:                            ;   in Loop: Header=BB6_13634 Depth=3
	s_and_b64 vcc, exec, s[44:45]
	s_cbranch_vccz .LBB6_13870
; %bb.13857:                            ;   in Loop: Header=BB6_13634 Depth=3
	v_mov_b32_e32 v1, 0
	s_and_saveexec_b64 s[44:45], s[42:43]
	s_cbranch_execz .LBB6_13863
; %bb.13858:                            ;   in Loop: Header=BB6_13634 Depth=3
	v_cmp_ne_u16_e32 vcc, s82, v3
	v_bfrev_b32_e32 v1, 1
	s_and_saveexec_b64 s[42:43], vcc
	s_cbranch_execz .LBB6_13862
; %bb.13859:                            ;   in Loop: Header=BB6_13634 Depth=3
	v_and_b32_e32 v6, 0x7f, v3
	v_cmp_ne_u32_e32 vcc, s83, v6
	v_mov_b32_e32 v1, 0x7f800001
	s_and_saveexec_b64 s[46:47], vcc
	s_cbranch_execz .LBB6_13861
; %bb.13860:                            ;   in Loop: Header=BB6_13634 Depth=3
	v_and_b32_e32 v1, 7, v3
	v_lshrrev_b32_e32 v21, 3, v6
	v_cmp_gt_u32_e32 vcc, 8, v6
	v_ffbh_u32_e32 v6, v1
	v_min_u32_e32 v32, 32, v6
	v_subrev_u32_e32 v6, 28, v32
	v_lshlrev_b64 v[6:7], v6, v[3:4]
	v_sub_u32_e32 v3, 29, v32
	v_and_b32_e32 v6, 7, v6
	v_cndmask_b32_e32 v3, v21, v3, vcc
	v_cndmask_b32_e32 v1, v1, v6, vcc
	v_lshlrev_b32_e32 v2, 16, v2
	v_bfrev_b32_e32 v6, 60
	v_lshlrev_b32_e32 v1, 20, v1
	v_and_b32_e32 v2, 0x80000000, v2
	v_lshl_add_u32 v3, v3, 23, v6
	v_or3_b32 v1, v2, v3, v1
.LBB6_13861:                            ;   in Loop: Header=BB6_13634 Depth=3
	s_or_b64 exec, exec, s[46:47]
.LBB6_13862:                            ;   in Loop: Header=BB6_13634 Depth=3
	s_or_b64 exec, exec, s[42:43]
.LBB6_13863:                            ;   in Loop: Header=BB6_13634 Depth=3
	s_or_b64 exec, exec, s[44:45]
	v_cmp_lt_i16_e32 vcc, s83, v52
	s_mov_b64 s[42:43], 0
	s_and_saveexec_b64 s[44:45], vcc
	s_xor_b64 s[44:45], exec, s[44:45]
	s_cbranch_execz .LBB6_14308
; %bb.13864:                            ;   in Loop: Header=BB6_13634 Depth=3
	v_cmp_eq_u16_e32 vcc, s82, v52
	s_mov_b64 s[42:43], -1
	s_and_saveexec_b64 s[46:47], vcc
; %bb.13865:                            ;   in Loop: Header=BB6_13634 Depth=3
	s_xor_b64 s[42:43], exec, -1
; %bb.13866:                            ;   in Loop: Header=BB6_13634 Depth=3
	s_or_b64 exec, exec, s[46:47]
	s_and_b64 s[42:43], s[42:43], exec
	s_or_saveexec_b64 s[44:45], s[44:45]
	v_bfrev_b32_e32 v2, 1
	s_xor_b64 exec, exec, s[44:45]
	s_cbranch_execnz .LBB6_14309
.LBB6_13867:                            ;   in Loop: Header=BB6_13634 Depth=3
	s_or_b64 exec, exec, s[44:45]
	s_and_saveexec_b64 s[44:45], s[42:43]
.LBB6_13868:                            ;   in Loop: Header=BB6_13634 Depth=3
	v_mov_b32_e32 v2, 0x7f800001
	v_cndmask_b32_e64 v2, v0, v2, s[40:41]
.LBB6_13869:                            ;   in Loop: Header=BB6_13634 Depth=3
	s_or_b64 exec, exec, s[44:45]
	v_max_f32_e32 v0, v2, v2
	v_max_f32_e32 v1, v1, v1
	v_min_f32_e32 v1, v1, v0
.LBB6_13870:                            ;   in Loop: Header=BB6_13634 Depth=3
	v_and_b32_e32 v52, 0x7f800000, v1
	v_cmp_ne_u64_e32 vcc, s[76:77], v[52:53]
                                        ; implicit-def: $vgpr21
	s_and_saveexec_b64 s[40:41], vcc
	s_xor_b64 s[42:43], exec, s[40:41]
	s_cbranch_execz .LBB6_13884
; %bb.13871:                            ;   in Loop: Header=BB6_13634 Depth=3
	v_and_b32_e32 v52, 0x7fffffff, v1
	v_cmp_gt_u64_e32 vcc, s[78:79], v[52:53]
	v_and_b32_sdwa v3, v1, s82 dst_sel:DWORD dst_unused:UNUSED_PAD src0_sel:BYTE_3 src1_sel:DWORD
                                        ; implicit-def: $vgpr21
	s_and_saveexec_b64 s[40:41], vcc
	s_xor_b64 s[44:45], exec, s[40:41]
	s_cbranch_execz .LBB6_13881
; %bb.13872:                            ;   in Loop: Header=BB6_13634 Depth=3
	v_mov_b32_e32 v21, 0
	v_cmp_ne_u32_e32 vcc, 0, v1
	s_and_saveexec_b64 s[46:47], vcc
	s_cbranch_execz .LBB6_13880
; %bb.13873:                            ;   in Loop: Header=BB6_13634 Depth=3
	v_bfe_u32 v6, v1, 23, 8
	v_and_b32_e32 v0, 0x7fffff, v1
	v_cmp_gt_u32_e64 s[40:41], s85, v6
	v_sub_u32_e32 v1, 0x79, v6
	v_cmp_eq_u32_e32 vcc, 0, v6
	v_cndmask_b32_e64 v1, 0, v1, s[40:41]
	v_mov_b32_e32 v7, 0x78
	v_or_b32_e32 v2, 0x800000, v0
	v_cndmask_b32_e32 v7, v1, v7, vcc
	v_cndmask_b32_e32 v52, v2, v0, vcc
	v_add_u32_e32 v0, 20, v7
	v_lshlrev_b64 v[0:1], v0, -1
	v_add_u32_e32 v2, 19, v7
	v_lshlrev_b64 v[32:33], v2, 1
	v_bfi_b32 v1, v1, 0, 0
	v_bfi_b32 v0, v0, 0, v52
	v_cmp_eq_u64_e64 s[40:41], v[0:1], v[32:33]
	v_lshrrev_b64 v[0:1], v7, v[52:53]
	v_mov_b32_e32 v2, v1
	v_mov_b32_e32 v1, v0
	s_and_saveexec_b64 s[54:55], s[40:41]
; %bb.13874:                            ;   in Loop: Header=BB6_13634 Depth=3
	v_bfe_u32 v1, v0, 20, 1
	v_add_co_u32_e64 v1, s[40:41], v0, v1
	v_add_co_u32_e64 v1, s[40:41], -1, v1
; %bb.13875:                            ;   in Loop: Header=BB6_13634 Depth=3
	s_or_b64 exec, exec, s[54:55]
	v_add_u32_e32 v2, 0xffffff81, v6
	v_mov_b32_e32 v6, 0xffffff82
	v_cndmask_b32_e32 v2, v2, v6, vcc
	v_lshrrev_b32_e32 v6, 23, v0
	v_add3_u32 v7, v7, v2, v6
	v_add_u32_e32 v6, 6, v7
	v_and_b32_e32 v1, 0xfffff, v1
	v_add_u32_e32 v52, v1, v0
	v_cmp_ne_u32_e32 vcc, 0, v6
                                        ; implicit-def: $vgpr0_vgpr1
                                        ; implicit-def: $vgpr2
	s_and_saveexec_b64 s[40:41], vcc
	s_xor_b64 s[40:41], exec, s[40:41]
; %bb.13876:                            ;   in Loop: Header=BB6_13634 Depth=3
	v_cmp_lt_u64_e32 vcc, s[88:89], v[52:53]
	v_add_u32_e32 v0, 7, v7
	v_cndmask_b32_e32 v2, v6, v0, vcc
	v_cndmask_b32_e64 v0, 0, 1, vcc
	v_lshrrev_b64 v[0:1], v0, v[52:53]
; %bb.13877:                            ;   in Loop: Header=BB6_13634 Depth=3
	s_andn2_saveexec_b64 s[40:41], s[40:41]
; %bb.13878:                            ;   in Loop: Header=BB6_13634 Depth=3
	v_mov_b32_e32 v0, v52
	v_bfe_u32 v2, v52, 23, 1
	v_mov_b32_e32 v1, v53
; %bb.13879:                            ;   in Loop: Header=BB6_13634 Depth=3
	s_or_b64 exec, exec, s[40:41]
	v_lshrrev_b64 v[0:1], 20, v[0:1]
	v_cmp_gt_i32_e32 vcc, 16, v2
	v_cndmask_b32_e32 v1, 0, v1, vcc
	v_cndmask_b32_e32 v0, 7, v0, vcc
	v_cmp_eq_u64_e64 s[40:41], 0, v[0:1]
	v_min_i32_e32 v1, 15, v2
	v_lshlrev_b32_e32 v1, 3, v1
	v_cmp_eq_u32_e32 vcc, 0, v2
	v_and_b32_e32 v1, 0xf8, v1
	v_and_or_b32 v0, v0, 7, v1
	s_and_b64 s[40:41], vcc, s[40:41]
	v_cndmask_b32_e64 v0, v0, 0, s[40:41]
	v_or_b32_e32 v21, v0, v3
.LBB6_13880:                            ;   in Loop: Header=BB6_13634 Depth=3
	s_or_b64 exec, exec, s[46:47]
                                        ; implicit-def: $vgpr3
.LBB6_13881:                            ;   in Loop: Header=BB6_13634 Depth=3
	s_andn2_saveexec_b64 s[40:41], s[44:45]
; %bb.13882:                            ;   in Loop: Header=BB6_13634 Depth=3
	v_or_b32_e32 v21, 0x7e, v3
; %bb.13883:                            ;   in Loop: Header=BB6_13634 Depth=3
	s_or_b64 exec, exec, s[40:41]
                                        ; implicit-def: $vgpr1
.LBB6_13884:                            ;   in Loop: Header=BB6_13634 Depth=3
	s_andn2_saveexec_b64 s[40:41], s[42:43]
; %bb.13885:                            ;   in Loop: Header=BB6_13634 Depth=3
	v_or_b32_sdwa v21, v1, s83 dst_sel:DWORD dst_unused:UNUSED_PAD src0_sel:BYTE_3 src1_sel:DWORD
; %bb.13886:                            ;   in Loop: Header=BB6_13634 Depth=3
	s_or_b64 exec, exec, s[40:41]
	v_bfe_u32 v3, v13, 16, 3
	v_bfe_u32 v1, v13, 16, 7
	v_cmp_eq_u32_e64 s[40:41], s83, v1
	v_cmp_gt_u32_e32 vcc, 8, v1
	v_ffbh_u32_e32 v1, v3
	v_min_u32_e32 v7, 32, v1
	v_lshrrev_b32_e32 v0, 16, v13
	v_subrev_u32_e32 v1, 28, v7
	v_lshlrev_b64 v[1:2], v1, v[0:1]
	v_bfe_u32 v6, v0, 3, 4
	v_sub_u32_e32 v2, 29, v7
	v_and_b32_e32 v1, 7, v1
	v_cndmask_b32_e32 v2, v6, v2, vcc
	v_cndmask_b32_e32 v1, v3, v1, vcc
	v_lshlrev_b32_e32 v3, 8, v13
	v_bfrev_b32_e32 v6, 60
	v_lshlrev_b32_e32 v1, 20, v1
	v_and_b32_e32 v3, 0x80000000, v3
	v_lshl_add_u32 v2, v2, 23, v6
	v_or3_b32 v1, v3, v2, v1
	v_lshrrev_b32_e32 v2, 16, v9
	v_cmp_ne_u16_sdwa s[42:43], v2, v53 src0_sel:BYTE_0 src1_sel:DWORD
	s_mov_b64 s[44:45], -1
	s_and_b64 vcc, exec, s[52:53]
                                        ; implicit-def: $vgpr6
	s_cbranch_vccz .LBB6_13900
; %bb.13887:                            ;   in Loop: Header=BB6_13634 Depth=3
	v_mov_b32_e32 v3, 0
	s_and_saveexec_b64 s[44:45], s[42:43]
	s_cbranch_execz .LBB6_13893
; %bb.13888:                            ;   in Loop: Header=BB6_13634 Depth=3
	v_cmp_ne_u16_sdwa vcc, v2, s82 src0_sel:BYTE_0 src1_sel:DWORD
	v_bfrev_b32_e32 v3, 1
	s_and_saveexec_b64 s[46:47], vcc
	s_cbranch_execz .LBB6_13892
; %bb.13889:                            ;   in Loop: Header=BB6_13634 Depth=3
	v_bfe_u32 v6, v9, 16, 7
	v_cmp_ne_u32_e32 vcc, s83, v6
	v_mov_b32_e32 v3, 0x7f800001
	s_and_saveexec_b64 s[54:55], vcc
	s_cbranch_execz .LBB6_13891
; %bb.13890:                            ;   in Loop: Header=BB6_13634 Depth=3
	v_and_b32_e32 v3, 7, v2
	v_lshrrev_b32_e32 v32, 3, v6
	v_cmp_gt_u32_e32 vcc, 8, v6
	v_ffbh_u32_e32 v6, v3
	v_min_u32_e32 v33, 32, v6
	v_subrev_u32_e32 v6, 28, v33
	v_lshlrev_b64 v[6:7], v6, v[2:3]
	v_sub_u32_e32 v7, 29, v33
	v_and_b32_e32 v6, 7, v6
	v_cndmask_b32_e32 v7, v32, v7, vcc
	v_cndmask_b32_e32 v3, v3, v6, vcc
	v_lshlrev_b32_e32 v6, 24, v2
	v_bfrev_b32_e32 v32, 60
	v_lshlrev_b32_e32 v3, 20, v3
	v_and_b32_e32 v6, 0x80000000, v6
	v_lshl_add_u32 v7, v7, 23, v32
	v_or3_b32 v3, v6, v7, v3
.LBB6_13891:                            ;   in Loop: Header=BB6_13634 Depth=3
	s_or_b64 exec, exec, s[54:55]
.LBB6_13892:                            ;   in Loop: Header=BB6_13634 Depth=3
	s_or_b64 exec, exec, s[46:47]
.LBB6_13893:                            ;   in Loop: Header=BB6_13634 Depth=3
	s_or_b64 exec, exec, s[44:45]
	v_cmp_gt_i16_sdwa s[46:47], v0, s83 src0_sel:BYTE_0 src1_sel:DWORD
	s_mov_b64 s[44:45], 0
	s_and_saveexec_b64 vcc, s[46:47]
	s_xor_b64 s[46:47], exec, vcc
	s_cbranch_execz .LBB6_14310
; %bb.13894:                            ;   in Loop: Header=BB6_13634 Depth=3
	v_cmp_eq_u16_sdwa s[54:55], v0, s82 src0_sel:BYTE_0 src1_sel:DWORD
	s_mov_b64 s[44:45], -1
	s_and_saveexec_b64 vcc, s[54:55]
; %bb.13895:                            ;   in Loop: Header=BB6_13634 Depth=3
	s_xor_b64 s[44:45], exec, -1
; %bb.13896:                            ;   in Loop: Header=BB6_13634 Depth=3
	s_or_b64 exec, exec, vcc
	s_and_b64 s[44:45], s[44:45], exec
	s_or_saveexec_b64 s[46:47], s[46:47]
	v_bfrev_b32_e32 v6, 1
	s_xor_b64 exec, exec, s[46:47]
	s_cbranch_execnz .LBB6_14311
.LBB6_13897:                            ;   in Loop: Header=BB6_13634 Depth=3
	s_or_b64 exec, exec, s[46:47]
	s_and_saveexec_b64 s[46:47], s[44:45]
.LBB6_13898:                            ;   in Loop: Header=BB6_13634 Depth=3
	v_mov_b32_e32 v6, 0x7f800001
	v_cndmask_b32_e64 v6, v1, v6, s[40:41]
.LBB6_13899:                            ;   in Loop: Header=BB6_13634 Depth=3
	s_or_b64 exec, exec, s[46:47]
	v_max_f32_e32 v6, v6, v6
	v_max_f32_e32 v3, v3, v3
	;; [unrolled: 1-line block ×3, first 2 shown]
	s_mov_b64 s[44:45], 0
.LBB6_13900:                            ;   in Loop: Header=BB6_13634 Depth=3
	s_and_b64 vcc, exec, s[44:45]
	s_cbranch_vccz .LBB6_13914
; %bb.13901:                            ;   in Loop: Header=BB6_13634 Depth=3
	v_mov_b32_e32 v3, 0
	s_and_saveexec_b64 s[44:45], s[42:43]
	s_cbranch_execz .LBB6_13907
; %bb.13902:                            ;   in Loop: Header=BB6_13634 Depth=3
	v_cmp_ne_u16_sdwa s[46:47], v2, s82 src0_sel:BYTE_0 src1_sel:DWORD
	v_bfrev_b32_e32 v3, 1
	s_and_saveexec_b64 s[42:43], s[46:47]
	s_cbranch_execz .LBB6_13906
; %bb.13903:                            ;   in Loop: Header=BB6_13634 Depth=3
	v_bfe_u32 v6, v9, 16, 7
	v_cmp_ne_u32_e32 vcc, s83, v6
	v_mov_b32_e32 v3, 0x7f800001
	s_and_saveexec_b64 s[46:47], vcc
	s_cbranch_execz .LBB6_13905
; %bb.13904:                            ;   in Loop: Header=BB6_13634 Depth=3
	v_and_b32_e32 v3, 7, v2
	v_lshrrev_b32_e32 v32, 3, v6
	v_cmp_gt_u32_e32 vcc, 8, v6
	v_ffbh_u32_e32 v6, v3
	v_min_u32_e32 v33, 32, v6
	v_subrev_u32_e32 v6, 28, v33
	v_lshlrev_b64 v[6:7], v6, v[2:3]
	v_sub_u32_e32 v7, 29, v33
	v_and_b32_e32 v6, 7, v6
	v_cndmask_b32_e32 v7, v32, v7, vcc
	v_cndmask_b32_e32 v3, v3, v6, vcc
	v_lshlrev_b32_e32 v2, 24, v2
	v_bfrev_b32_e32 v6, 60
	v_lshlrev_b32_e32 v3, 20, v3
	v_and_b32_e32 v2, 0x80000000, v2
	v_lshl_add_u32 v6, v7, 23, v6
	v_or3_b32 v3, v2, v6, v3
.LBB6_13905:                            ;   in Loop: Header=BB6_13634 Depth=3
	s_or_b64 exec, exec, s[46:47]
.LBB6_13906:                            ;   in Loop: Header=BB6_13634 Depth=3
	s_or_b64 exec, exec, s[42:43]
.LBB6_13907:                            ;   in Loop: Header=BB6_13634 Depth=3
	s_or_b64 exec, exec, s[44:45]
	v_cmp_gt_i16_sdwa s[44:45], v0, s83 src0_sel:BYTE_0 src1_sel:DWORD
	s_mov_b64 s[42:43], 0
	s_and_saveexec_b64 s[46:47], s[44:45]
	s_xor_b64 s[44:45], exec, s[46:47]
	s_cbranch_execz .LBB6_14312
; %bb.13908:                            ;   in Loop: Header=BB6_13634 Depth=3
	v_cmp_eq_u16_sdwa vcc, v0, s82 src0_sel:BYTE_0 src1_sel:DWORD
	s_mov_b64 s[42:43], -1
	s_and_saveexec_b64 s[46:47], vcc
; %bb.13909:                            ;   in Loop: Header=BB6_13634 Depth=3
	s_xor_b64 s[42:43], exec, -1
; %bb.13910:                            ;   in Loop: Header=BB6_13634 Depth=3
	s_or_b64 exec, exec, s[46:47]
	s_and_b64 s[42:43], s[42:43], exec
                                        ; implicit-def: $vgpr0
	s_or_saveexec_b64 s[44:45], s[44:45]
	v_bfrev_b32_e32 v2, 1
	s_xor_b64 exec, exec, s[44:45]
	s_cbranch_execnz .LBB6_14313
.LBB6_13911:                            ;   in Loop: Header=BB6_13634 Depth=3
	s_or_b64 exec, exec, s[44:45]
	s_and_saveexec_b64 s[44:45], s[42:43]
.LBB6_13912:                            ;   in Loop: Header=BB6_13634 Depth=3
	v_mov_b32_e32 v0, 0x7f800001
	v_cndmask_b32_e64 v2, v1, v0, s[40:41]
.LBB6_13913:                            ;   in Loop: Header=BB6_13634 Depth=3
	s_or_b64 exec, exec, s[44:45]
	v_max_f32_e32 v0, v2, v2
	v_max_f32_e32 v1, v3, v3
	v_min_f32_e32 v6, v1, v0
.LBB6_13914:                            ;   in Loop: Header=BB6_13634 Depth=3
	v_and_b32_e32 v52, 0x7f800000, v6
	v_cmp_ne_u64_e32 vcc, s[76:77], v[52:53]
                                        ; implicit-def: $vgpr32
	s_and_saveexec_b64 s[40:41], vcc
	s_xor_b64 s[42:43], exec, s[40:41]
	s_cbranch_execz .LBB6_13928
; %bb.13915:                            ;   in Loop: Header=BB6_13634 Depth=3
	v_and_b32_e32 v52, 0x7fffffff, v6
	v_cmp_gt_u64_e32 vcc, s[78:79], v[52:53]
	v_and_b32_sdwa v3, v6, s82 dst_sel:DWORD dst_unused:UNUSED_PAD src0_sel:BYTE_3 src1_sel:DWORD
                                        ; implicit-def: $vgpr32
	s_and_saveexec_b64 s[40:41], vcc
	s_xor_b64 s[44:45], exec, s[40:41]
	s_cbranch_execz .LBB6_13925
; %bb.13916:                            ;   in Loop: Header=BB6_13634 Depth=3
	v_mov_b32_e32 v32, 0
	v_cmp_ne_u32_e32 vcc, 0, v6
	s_and_saveexec_b64 s[46:47], vcc
	s_cbranch_execz .LBB6_13924
; %bb.13917:                            ;   in Loop: Header=BB6_13634 Depth=3
	v_and_b32_e32 v0, 0x7fffff, v6
	v_bfe_u32 v6, v6, 23, 8
	v_cmp_gt_u32_e64 s[40:41], s85, v6
	v_sub_u32_e32 v1, 0x79, v6
	v_cmp_eq_u32_e32 vcc, 0, v6
	v_cndmask_b32_e64 v1, 0, v1, s[40:41]
	v_mov_b32_e32 v7, 0x78
	v_or_b32_e32 v2, 0x800000, v0
	v_cndmask_b32_e32 v7, v1, v7, vcc
	v_cndmask_b32_e32 v52, v2, v0, vcc
	v_add_u32_e32 v0, 20, v7
	v_lshlrev_b64 v[0:1], v0, -1
	v_add_u32_e32 v2, 19, v7
	v_lshlrev_b64 v[32:33], v2, 1
	v_bfi_b32 v1, v1, 0, 0
	v_bfi_b32 v0, v0, 0, v52
	v_cmp_eq_u64_e64 s[40:41], v[0:1], v[32:33]
	v_lshrrev_b64 v[0:1], v7, v[52:53]
	v_mov_b32_e32 v2, v1
	v_mov_b32_e32 v1, v0
	s_and_saveexec_b64 s[54:55], s[40:41]
; %bb.13918:                            ;   in Loop: Header=BB6_13634 Depth=3
	v_bfe_u32 v1, v0, 20, 1
	v_add_co_u32_e64 v1, s[40:41], v0, v1
	v_add_co_u32_e64 v1, s[40:41], -1, v1
; %bb.13919:                            ;   in Loop: Header=BB6_13634 Depth=3
	s_or_b64 exec, exec, s[54:55]
	v_add_u32_e32 v2, 0xffffff81, v6
	v_mov_b32_e32 v6, 0xffffff82
	v_cndmask_b32_e32 v2, v2, v6, vcc
	v_lshrrev_b32_e32 v6, 23, v0
	v_add3_u32 v7, v7, v2, v6
	v_add_u32_e32 v6, 6, v7
	v_and_b32_e32 v1, 0xfffff, v1
	v_add_u32_e32 v52, v1, v0
	v_cmp_ne_u32_e32 vcc, 0, v6
                                        ; implicit-def: $vgpr0_vgpr1
                                        ; implicit-def: $vgpr2
	s_and_saveexec_b64 s[40:41], vcc
	s_xor_b64 s[40:41], exec, s[40:41]
; %bb.13920:                            ;   in Loop: Header=BB6_13634 Depth=3
	v_cmp_lt_u64_e32 vcc, s[88:89], v[52:53]
	v_add_u32_e32 v0, 7, v7
	v_cndmask_b32_e32 v2, v6, v0, vcc
	v_cndmask_b32_e64 v0, 0, 1, vcc
	v_lshrrev_b64 v[0:1], v0, v[52:53]
; %bb.13921:                            ;   in Loop: Header=BB6_13634 Depth=3
	s_andn2_saveexec_b64 s[40:41], s[40:41]
; %bb.13922:                            ;   in Loop: Header=BB6_13634 Depth=3
	v_mov_b32_e32 v0, v52
	v_bfe_u32 v2, v52, 23, 1
	v_mov_b32_e32 v1, v53
; %bb.13923:                            ;   in Loop: Header=BB6_13634 Depth=3
	s_or_b64 exec, exec, s[40:41]
	v_lshrrev_b64 v[0:1], 20, v[0:1]
	v_cmp_gt_i32_e32 vcc, 16, v2
	v_cndmask_b32_e32 v1, 0, v1, vcc
	v_cndmask_b32_e32 v0, 7, v0, vcc
	v_cmp_eq_u64_e64 s[40:41], 0, v[0:1]
	v_min_i32_e32 v1, 15, v2
	v_lshlrev_b32_e32 v1, 3, v1
	v_cmp_eq_u32_e32 vcc, 0, v2
	v_and_b32_e32 v1, 0xf8, v1
	v_and_or_b32 v0, v0, 7, v1
	s_and_b64 s[40:41], vcc, s[40:41]
	v_cndmask_b32_e64 v0, v0, 0, s[40:41]
	v_or_b32_e32 v32, v0, v3
.LBB6_13924:                            ;   in Loop: Header=BB6_13634 Depth=3
	s_or_b64 exec, exec, s[46:47]
                                        ; implicit-def: $vgpr3
.LBB6_13925:                            ;   in Loop: Header=BB6_13634 Depth=3
	s_andn2_saveexec_b64 s[40:41], s[44:45]
; %bb.13926:                            ;   in Loop: Header=BB6_13634 Depth=3
	v_or_b32_e32 v32, 0x7e, v3
; %bb.13927:                            ;   in Loop: Header=BB6_13634 Depth=3
	s_or_b64 exec, exec, s[40:41]
                                        ; implicit-def: $vgpr6
.LBB6_13928:                            ;   in Loop: Header=BB6_13634 Depth=3
	s_andn2_saveexec_b64 s[40:41], s[42:43]
; %bb.13929:                            ;   in Loop: Header=BB6_13634 Depth=3
	v_or_b32_sdwa v32, v6, s83 dst_sel:DWORD dst_unused:UNUSED_PAD src0_sel:BYTE_3 src1_sel:DWORD
; %bb.13930:                            ;   in Loop: Header=BB6_13634 Depth=3
	s_or_b64 exec, exec, s[40:41]
	v_bfe_u32 v3, v13, 24, 3
	v_bfe_u32 v2, v13, 24, 7
	v_cmp_eq_u32_e64 s[44:45], s83, v2
	v_cmp_gt_u32_e32 vcc, 8, v2
	v_ffbh_u32_e32 v2, v3
	v_min_u32_e32 v7, 32, v2
	v_lshrrev_b32_e32 v1, 24, v13
	v_subrev_u32_e32 v2, 28, v7
	v_bfe_u32 v6, v1, 3, 4
	v_cmp_eq_u32_e64 s[42:43], s82, v1
	v_lshlrev_b64 v[1:2], v2, v[1:2]
	v_sub_u32_e32 v2, 29, v7
	v_and_b32_e32 v1, 7, v1
	v_cndmask_b32_e32 v2, v6, v2, vcc
	v_cndmask_b32_e32 v1, v3, v1, vcc
	v_bfrev_b32_e32 v6, 60
	v_cmp_gt_u64_e64 s[40:41], s[60:61], v[12:13]
	v_lshlrev_b32_e32 v1, 20, v1
	v_and_b32_e32 v3, 0x80000000, v13
	v_lshl_add_u32 v2, v2, 23, v6
	v_cmp_lt_u64_e64 s[46:47], s[62:63], v[8:9]
	v_lshrrev_b32_e32 v0, 24, v9
	v_or3_b32 v1, v3, v2, v1
	s_mov_b64 s[54:55], -1
	s_and_b64 vcc, exec, s[52:53]
                                        ; implicit-def: $vgpr2
	s_cbranch_vccz .LBB6_13938
; %bb.13931:                            ;   in Loop: Header=BB6_13634 Depth=3
	v_mov_b32_e32 v2, 0
	s_and_saveexec_b64 s[54:55], s[46:47]
	s_cbranch_execz .LBB6_13937
; %bb.13932:                            ;   in Loop: Header=BB6_13634 Depth=3
	v_cmp_ne_u32_e32 vcc, s82, v0
	v_bfrev_b32_e32 v2, 1
	s_and_saveexec_b64 s[64:65], vcc
	s_cbranch_execz .LBB6_13936
; %bb.13933:                            ;   in Loop: Header=BB6_13634 Depth=3
	v_bfe_u32 v3, v9, 24, 7
	v_cmp_ne_u32_e32 vcc, s83, v3
	v_mov_b32_e32 v2, 0x7f800001
	s_and_saveexec_b64 s[66:67], vcc
	s_cbranch_execz .LBB6_13935
; %bb.13934:                            ;   in Loop: Header=BB6_13634 Depth=3
	v_and_b32_e32 v6, 7, v0
	v_ffbh_u32_e32 v2, v6
	v_min_u32_e32 v8, 32, v2
	v_subrev_u32_e32 v2, 28, v8
	v_lshrrev_b32_e32 v7, 3, v3
	v_cmp_gt_u32_e32 vcc, 8, v3
	v_lshlrev_b64 v[2:3], v2, v[0:1]
	v_sub_u32_e32 v3, 29, v8
	v_and_b32_e32 v2, 7, v2
	v_cndmask_b32_e32 v3, v7, v3, vcc
	v_cndmask_b32_e32 v2, v6, v2, vcc
	v_lshlrev_b32_e32 v6, 24, v0
	v_bfrev_b32_e32 v7, 60
	v_lshlrev_b32_e32 v2, 20, v2
	v_and_b32_e32 v6, 0x80000000, v6
	v_lshl_add_u32 v3, v3, 23, v7
	v_or3_b32 v2, v6, v3, v2
.LBB6_13935:                            ;   in Loop: Header=BB6_13634 Depth=3
	s_or_b64 exec, exec, s[66:67]
.LBB6_13936:                            ;   in Loop: Header=BB6_13634 Depth=3
	s_or_b64 exec, exec, s[64:65]
.LBB6_13937:                            ;   in Loop: Header=BB6_13634 Depth=3
	s_or_b64 exec, exec, s[54:55]
	v_mov_b32_e32 v3, 0x7f800001
	v_cndmask_b32_e64 v3, v1, v3, s[44:45]
	v_bfrev_b32_e32 v6, 1
	v_cndmask_b32_e64 v3, v3, v6, s[42:43]
	v_cndmask_b32_e64 v3, v3, 0, s[40:41]
	v_max_f32_e32 v3, v3, v3
	v_max_f32_e32 v2, v2, v2
	;; [unrolled: 1-line block ×3, first 2 shown]
	s_mov_b64 s[54:55], 0
.LBB6_13938:                            ;   in Loop: Header=BB6_13634 Depth=3
	s_and_b64 vcc, exec, s[54:55]
	s_cbranch_vccz .LBB6_13946
; %bb.13939:                            ;   in Loop: Header=BB6_13634 Depth=3
	v_mov_b32_e32 v2, 0
	s_and_saveexec_b64 s[54:55], s[46:47]
	s_cbranch_execz .LBB6_13945
; %bb.13940:                            ;   in Loop: Header=BB6_13634 Depth=3
	v_cmp_ne_u32_e32 vcc, s82, v0
	v_bfrev_b32_e32 v2, 1
	s_and_saveexec_b64 s[46:47], vcc
	s_cbranch_execz .LBB6_13944
; %bb.13941:                            ;   in Loop: Header=BB6_13634 Depth=3
	v_bfe_u32 v3, v9, 24, 7
	v_cmp_ne_u32_e32 vcc, s83, v3
	v_mov_b32_e32 v2, 0x7f800001
	s_and_saveexec_b64 s[64:65], vcc
	s_cbranch_execz .LBB6_13943
; %bb.13942:                            ;   in Loop: Header=BB6_13634 Depth=3
	v_and_b32_e32 v6, 7, v0
	v_ffbh_u32_e32 v2, v6
	v_min_u32_e32 v8, 32, v2
	v_subrev_u32_e32 v2, 28, v8
	v_lshrrev_b32_e32 v7, 3, v3
	v_cmp_gt_u32_e32 vcc, 8, v3
	v_lshlrev_b64 v[2:3], v2, v[0:1]
	v_sub_u32_e32 v3, 29, v8
	v_and_b32_e32 v2, 7, v2
	v_cndmask_b32_e32 v3, v7, v3, vcc
	v_cndmask_b32_e32 v2, v6, v2, vcc
	v_lshlrev_b32_e32 v0, 24, v0
	v_bfrev_b32_e32 v6, 60
	v_lshlrev_b32_e32 v2, 20, v2
	v_and_b32_e32 v0, 0x80000000, v0
	v_lshl_add_u32 v3, v3, 23, v6
	v_or3_b32 v2, v0, v3, v2
.LBB6_13943:                            ;   in Loop: Header=BB6_13634 Depth=3
	s_or_b64 exec, exec, s[64:65]
.LBB6_13944:                            ;   in Loop: Header=BB6_13634 Depth=3
	s_or_b64 exec, exec, s[46:47]
.LBB6_13945:                            ;   in Loop: Header=BB6_13634 Depth=3
	s_or_b64 exec, exec, s[54:55]
	v_mov_b32_e32 v0, 0x7f800001
	v_cndmask_b32_e64 v0, v1, v0, s[44:45]
	v_bfrev_b32_e32 v1, 1
	v_cndmask_b32_e64 v0, v0, v1, s[42:43]
	v_cndmask_b32_e64 v0, v0, 0, s[40:41]
	v_max_f32_e32 v0, v0, v0
	v_max_f32_e32 v1, v2, v2
	v_min_f32_e32 v2, v1, v0
.LBB6_13946:                            ;   in Loop: Header=BB6_13634 Depth=3
	v_and_b32_e32 v52, 0x7f800000, v2
	v_cmp_ne_u64_e32 vcc, s[76:77], v[52:53]
                                        ; implicit-def: $vgpr12
	s_and_saveexec_b64 s[40:41], vcc
	s_xor_b64 s[42:43], exec, s[40:41]
	s_cbranch_execz .LBB6_13960
; %bb.13947:                            ;   in Loop: Header=BB6_13634 Depth=3
	v_and_b32_e32 v52, 0x7fffffff, v2
	v_cmp_gt_u64_e32 vcc, s[78:79], v[52:53]
	v_and_b32_sdwa v3, v2, s82 dst_sel:DWORD dst_unused:UNUSED_PAD src0_sel:BYTE_3 src1_sel:DWORD
                                        ; implicit-def: $vgpr12
	s_and_saveexec_b64 s[40:41], vcc
	s_xor_b64 s[44:45], exec, s[40:41]
	s_cbranch_execz .LBB6_13957
; %bb.13948:                            ;   in Loop: Header=BB6_13634 Depth=3
	v_mov_b32_e32 v12, 0
	v_cmp_ne_u32_e32 vcc, 0, v2
	s_and_saveexec_b64 s[46:47], vcc
	s_cbranch_execz .LBB6_13956
; %bb.13949:                            ;   in Loop: Header=BB6_13634 Depth=3
	v_bfe_u32 v6, v2, 23, 8
	v_cmp_gt_u32_e64 s[40:41], s85, v6
	v_sub_u32_e32 v1, 0x79, v6
	v_and_b32_e32 v0, 0x7fffff, v2
	v_cmp_eq_u32_e32 vcc, 0, v6
	v_cndmask_b32_e64 v1, 0, v1, s[40:41]
	v_mov_b32_e32 v7, 0x78
	v_or_b32_e32 v2, 0x800000, v0
	v_cndmask_b32_e32 v7, v1, v7, vcc
	v_cndmask_b32_e32 v52, v2, v0, vcc
	v_add_u32_e32 v0, 20, v7
	v_lshlrev_b64 v[0:1], v0, -1
	v_add_u32_e32 v2, 19, v7
	v_lshlrev_b64 v[8:9], v2, 1
	v_bfi_b32 v1, v1, 0, 0
	v_bfi_b32 v0, v0, 0, v52
	v_cmp_eq_u64_e64 s[40:41], v[0:1], v[8:9]
	v_lshrrev_b64 v[0:1], v7, v[52:53]
	v_mov_b32_e32 v2, v1
	v_mov_b32_e32 v1, v0
	s_and_saveexec_b64 s[54:55], s[40:41]
; %bb.13950:                            ;   in Loop: Header=BB6_13634 Depth=3
	v_bfe_u32 v1, v0, 20, 1
	v_add_co_u32_e64 v1, s[40:41], v0, v1
	v_add_co_u32_e64 v1, s[40:41], -1, v1
; %bb.13951:                            ;   in Loop: Header=BB6_13634 Depth=3
	s_or_b64 exec, exec, s[54:55]
	v_add_u32_e32 v2, 0xffffff81, v6
	v_mov_b32_e32 v6, 0xffffff82
	v_cndmask_b32_e32 v2, v2, v6, vcc
	v_lshrrev_b32_e32 v6, 23, v0
	v_add3_u32 v7, v7, v2, v6
	v_add_u32_e32 v6, 6, v7
	v_and_b32_e32 v1, 0xfffff, v1
	v_add_u32_e32 v52, v1, v0
	v_cmp_ne_u32_e32 vcc, 0, v6
                                        ; implicit-def: $vgpr0_vgpr1
                                        ; implicit-def: $vgpr2
	s_and_saveexec_b64 s[40:41], vcc
	s_xor_b64 s[40:41], exec, s[40:41]
; %bb.13952:                            ;   in Loop: Header=BB6_13634 Depth=3
	v_cmp_lt_u64_e32 vcc, s[88:89], v[52:53]
	v_add_u32_e32 v0, 7, v7
	v_cndmask_b32_e32 v2, v6, v0, vcc
	v_cndmask_b32_e64 v0, 0, 1, vcc
	v_lshrrev_b64 v[0:1], v0, v[52:53]
; %bb.13953:                            ;   in Loop: Header=BB6_13634 Depth=3
	s_andn2_saveexec_b64 s[40:41], s[40:41]
; %bb.13954:                            ;   in Loop: Header=BB6_13634 Depth=3
	v_mov_b32_e32 v0, v52
	v_bfe_u32 v2, v52, 23, 1
	v_mov_b32_e32 v1, v53
; %bb.13955:                            ;   in Loop: Header=BB6_13634 Depth=3
	s_or_b64 exec, exec, s[40:41]
	v_lshrrev_b64 v[0:1], 20, v[0:1]
	v_cmp_gt_i32_e32 vcc, 16, v2
	v_cndmask_b32_e32 v1, 0, v1, vcc
	v_cndmask_b32_e32 v0, 7, v0, vcc
	v_cmp_eq_u64_e64 s[40:41], 0, v[0:1]
	v_min_i32_e32 v1, 15, v2
	v_lshlrev_b32_e32 v1, 3, v1
	v_cmp_eq_u32_e32 vcc, 0, v2
	v_and_b32_e32 v1, 0xf8, v1
	v_and_or_b32 v0, v0, 7, v1
	s_and_b64 s[40:41], vcc, s[40:41]
	v_cndmask_b32_e64 v0, v0, 0, s[40:41]
	v_or_b32_e32 v12, v0, v3
.LBB6_13956:                            ;   in Loop: Header=BB6_13634 Depth=3
	s_or_b64 exec, exec, s[46:47]
                                        ; implicit-def: $vgpr3
.LBB6_13957:                            ;   in Loop: Header=BB6_13634 Depth=3
	s_andn2_saveexec_b64 s[40:41], s[44:45]
; %bb.13958:                            ;   in Loop: Header=BB6_13634 Depth=3
	v_or_b32_e32 v12, 0x7e, v3
; %bb.13959:                            ;   in Loop: Header=BB6_13634 Depth=3
	s_or_b64 exec, exec, s[40:41]
                                        ; implicit-def: $vgpr2
.LBB6_13960:                            ;   in Loop: Header=BB6_13634 Depth=3
	s_andn2_saveexec_b64 s[40:41], s[42:43]
; %bb.13961:                            ;   in Loop: Header=BB6_13634 Depth=3
	v_or_b32_sdwa v12, v2, s83 dst_sel:DWORD dst_unused:UNUSED_PAD src0_sel:BYTE_3 src1_sel:DWORD
; %bb.13962:                            ;   in Loop: Header=BB6_13634 Depth=3
	s_or_b64 exec, exec, s[40:41]
	v_and_b32_e32 v0, 7, v14
	v_ffbh_u32_e32 v0, v0
	v_and_b32_e32 v1, 0x7f, v14
	v_min_u32_e32 v0, 32, v0
	v_bfe_u32 v2, v14, 3, 4
	v_cmp_eq_u32_e64 s[40:41], s83, v1
	v_cmp_gt_u32_e32 vcc, 8, v1
	v_subrev_u32_e32 v1, 28, v0
	v_sub_u32_e32 v0, 29, v0
	v_cndmask_b32_e32 v2, v2, v0, vcc
	v_cndmask_b32_e32 v0, 0, v1, vcc
	v_lshlrev_b64 v[0:1], v0, v[14:15]
	v_lshlrev_b32_e32 v1, 24, v14
	v_lshlrev_b32_e32 v0, 20, v0
	v_bfrev_b32_e32 v3, 60
	v_and_b32_e32 v0, 0x700000, v0
	v_and_b32_e32 v1, 0x80000000, v1
	v_lshl_add_u32 v2, v2, 23, v3
	v_or3_b32 v0, v1, v2, v0
	v_cmp_ne_u16_sdwa s[42:43], v10, v53 src0_sel:BYTE_0 src1_sel:DWORD
	s_mov_b64 s[44:45], -1
	s_and_b64 vcc, exec, s[52:53]
                                        ; implicit-def: $vgpr1
	s_cbranch_vccz .LBB6_13976
; %bb.13963:                            ;   in Loop: Header=BB6_13634 Depth=3
	v_mov_b32_e32 v1, 0
	s_and_saveexec_b64 s[44:45], s[42:43]
	s_cbranch_execz .LBB6_13969
; %bb.13964:                            ;   in Loop: Header=BB6_13634 Depth=3
	v_cmp_ne_u16_sdwa vcc, v10, s82 src0_sel:BYTE_0 src1_sel:DWORD
	v_bfrev_b32_e32 v1, 1
	s_and_saveexec_b64 s[46:47], vcc
	s_cbranch_execz .LBB6_13968
; %bb.13965:                            ;   in Loop: Header=BB6_13634 Depth=3
	v_and_b32_e32 v2, 0x7f, v10
	v_cmp_ne_u32_e32 vcc, s83, v2
	v_mov_b32_e32 v1, 0x7f800001
	s_and_saveexec_b64 s[54:55], vcc
	s_cbranch_execz .LBB6_13967
; %bb.13966:                            ;   in Loop: Header=BB6_13634 Depth=3
	v_and_b32_e32 v1, 7, v10
	v_ffbh_u32_e32 v1, v1
	v_min_u32_e32 v1, 32, v1
	v_lshrrev_b32_e32 v3, 3, v2
	v_cmp_gt_u32_e32 vcc, 8, v2
	v_subrev_u32_e32 v2, 28, v1
	v_sub_u32_e32 v1, 29, v1
	v_cndmask_b32_e32 v3, v3, v1, vcc
	v_cndmask_b32_e32 v1, 0, v2, vcc
	v_lshlrev_b64 v[1:2], v1, v[10:11]
	v_lshlrev_b32_e32 v2, 24, v10
	v_lshlrev_b32_e32 v1, 20, v1
	v_bfrev_b32_e32 v6, 60
	v_and_b32_e32 v1, 0x700000, v1
	v_and_b32_e32 v2, 0x80000000, v2
	v_lshl_add_u32 v3, v3, 23, v6
	v_or3_b32 v1, v2, v3, v1
.LBB6_13967:                            ;   in Loop: Header=BB6_13634 Depth=3
	s_or_b64 exec, exec, s[54:55]
.LBB6_13968:                            ;   in Loop: Header=BB6_13634 Depth=3
	s_or_b64 exec, exec, s[46:47]
.LBB6_13969:                            ;   in Loop: Header=BB6_13634 Depth=3
	s_or_b64 exec, exec, s[44:45]
	v_cmp_gt_i16_sdwa s[46:47], v14, s83 src0_sel:BYTE_0 src1_sel:DWORD
	s_mov_b64 s[44:45], 0
	s_and_saveexec_b64 vcc, s[46:47]
	s_xor_b64 s[46:47], exec, vcc
	s_cbranch_execz .LBB6_14314
; %bb.13970:                            ;   in Loop: Header=BB6_13634 Depth=3
	v_cmp_eq_u16_sdwa s[54:55], v14, s82 src0_sel:BYTE_0 src1_sel:DWORD
	s_mov_b64 s[44:45], -1
	s_and_saveexec_b64 vcc, s[54:55]
; %bb.13971:                            ;   in Loop: Header=BB6_13634 Depth=3
	s_xor_b64 s[44:45], exec, -1
; %bb.13972:                            ;   in Loop: Header=BB6_13634 Depth=3
	s_or_b64 exec, exec, vcc
	s_and_b64 s[44:45], s[44:45], exec
	s_or_saveexec_b64 s[46:47], s[46:47]
	v_bfrev_b32_e32 v2, 1
	s_xor_b64 exec, exec, s[46:47]
	s_cbranch_execnz .LBB6_14315
.LBB6_13973:                            ;   in Loop: Header=BB6_13634 Depth=3
	s_or_b64 exec, exec, s[46:47]
	s_and_saveexec_b64 s[46:47], s[44:45]
.LBB6_13974:                            ;   in Loop: Header=BB6_13634 Depth=3
	v_mov_b32_e32 v2, 0x7f800001
	v_cndmask_b32_e64 v2, v0, v2, s[40:41]
.LBB6_13975:                            ;   in Loop: Header=BB6_13634 Depth=3
	s_or_b64 exec, exec, s[46:47]
	v_max_f32_e32 v2, v2, v2
	v_max_f32_e32 v1, v1, v1
	;; [unrolled: 1-line block ×3, first 2 shown]
	s_mov_b64 s[44:45], 0
.LBB6_13976:                            ;   in Loop: Header=BB6_13634 Depth=3
	s_and_b64 vcc, exec, s[44:45]
	s_cbranch_vccz .LBB6_13990
; %bb.13977:                            ;   in Loop: Header=BB6_13634 Depth=3
	v_mov_b32_e32 v1, 0
	s_and_saveexec_b64 s[44:45], s[42:43]
	s_cbranch_execz .LBB6_13983
; %bb.13978:                            ;   in Loop: Header=BB6_13634 Depth=3
	v_cmp_ne_u16_sdwa s[46:47], v10, s82 src0_sel:BYTE_0 src1_sel:DWORD
	v_bfrev_b32_e32 v1, 1
	s_and_saveexec_b64 s[42:43], s[46:47]
	s_cbranch_execz .LBB6_13982
; %bb.13979:                            ;   in Loop: Header=BB6_13634 Depth=3
	v_and_b32_e32 v2, 0x7f, v10
	v_cmp_ne_u32_e32 vcc, s83, v2
	v_mov_b32_e32 v1, 0x7f800001
	s_and_saveexec_b64 s[46:47], vcc
	s_cbranch_execz .LBB6_13981
; %bb.13980:                            ;   in Loop: Header=BB6_13634 Depth=3
	v_and_b32_e32 v1, 7, v10
	v_ffbh_u32_e32 v1, v1
	v_min_u32_e32 v1, 32, v1
	v_lshrrev_b32_e32 v3, 3, v2
	v_cmp_gt_u32_e32 vcc, 8, v2
	v_subrev_u32_e32 v2, 28, v1
	v_sub_u32_e32 v1, 29, v1
	v_cndmask_b32_e32 v3, v3, v1, vcc
	v_cndmask_b32_e32 v1, 0, v2, vcc
	v_lshlrev_b64 v[1:2], v1, v[10:11]
	v_lshlrev_b32_e32 v2, 24, v10
	v_lshlrev_b32_e32 v1, 20, v1
	v_bfrev_b32_e32 v6, 60
	v_and_b32_e32 v1, 0x700000, v1
	v_and_b32_e32 v2, 0x80000000, v2
	v_lshl_add_u32 v3, v3, 23, v6
	v_or3_b32 v1, v2, v3, v1
.LBB6_13981:                            ;   in Loop: Header=BB6_13634 Depth=3
	s_or_b64 exec, exec, s[46:47]
.LBB6_13982:                            ;   in Loop: Header=BB6_13634 Depth=3
	s_or_b64 exec, exec, s[42:43]
.LBB6_13983:                            ;   in Loop: Header=BB6_13634 Depth=3
	s_or_b64 exec, exec, s[44:45]
	v_cmp_gt_i16_sdwa s[44:45], v14, s83 src0_sel:BYTE_0 src1_sel:DWORD
	s_mov_b64 s[42:43], 0
	s_and_saveexec_b64 s[46:47], s[44:45]
	s_xor_b64 s[44:45], exec, s[46:47]
	s_cbranch_execz .LBB6_14316
; %bb.13984:                            ;   in Loop: Header=BB6_13634 Depth=3
	v_cmp_eq_u16_sdwa vcc, v14, s82 src0_sel:BYTE_0 src1_sel:DWORD
	s_mov_b64 s[42:43], -1
	s_and_saveexec_b64 s[46:47], vcc
; %bb.13985:                            ;   in Loop: Header=BB6_13634 Depth=3
	s_xor_b64 s[42:43], exec, -1
; %bb.13986:                            ;   in Loop: Header=BB6_13634 Depth=3
	s_or_b64 exec, exec, s[46:47]
	s_and_b64 s[42:43], s[42:43], exec
	s_or_saveexec_b64 s[44:45], s[44:45]
	v_bfrev_b32_e32 v2, 1
	s_xor_b64 exec, exec, s[44:45]
	s_cbranch_execnz .LBB6_14317
.LBB6_13987:                            ;   in Loop: Header=BB6_13634 Depth=3
	s_or_b64 exec, exec, s[44:45]
	s_and_saveexec_b64 s[44:45], s[42:43]
.LBB6_13988:                            ;   in Loop: Header=BB6_13634 Depth=3
	v_mov_b32_e32 v2, 0x7f800001
	v_cndmask_b32_e64 v2, v0, v2, s[40:41]
.LBB6_13989:                            ;   in Loop: Header=BB6_13634 Depth=3
	s_or_b64 exec, exec, s[44:45]
	v_max_f32_e32 v0, v2, v2
	v_max_f32_e32 v1, v1, v1
	v_min_f32_e32 v1, v1, v0
.LBB6_13990:                            ;   in Loop: Header=BB6_13634 Depth=3
	v_and_b32_e32 v52, 0x7f800000, v1
	v_cmp_ne_u64_e32 vcc, s[76:77], v[52:53]
                                        ; implicit-def: $vgpr13
	s_and_saveexec_b64 s[40:41], vcc
	s_xor_b64 s[42:43], exec, s[40:41]
	s_cbranch_execz .LBB6_14004
; %bb.13991:                            ;   in Loop: Header=BB6_13634 Depth=3
	v_and_b32_e32 v52, 0x7fffffff, v1
	v_cmp_gt_u64_e32 vcc, s[78:79], v[52:53]
	v_and_b32_sdwa v3, v1, s82 dst_sel:DWORD dst_unused:UNUSED_PAD src0_sel:BYTE_3 src1_sel:DWORD
                                        ; implicit-def: $vgpr13
	s_and_saveexec_b64 s[40:41], vcc
	s_xor_b64 s[44:45], exec, s[40:41]
	s_cbranch_execz .LBB6_14001
; %bb.13992:                            ;   in Loop: Header=BB6_13634 Depth=3
	v_mov_b32_e32 v13, 0
	v_cmp_ne_u32_e32 vcc, 0, v1
	s_and_saveexec_b64 s[46:47], vcc
	s_cbranch_execz .LBB6_14000
; %bb.13993:                            ;   in Loop: Header=BB6_13634 Depth=3
	v_bfe_u32 v6, v1, 23, 8
	v_and_b32_e32 v0, 0x7fffff, v1
	v_cmp_gt_u32_e64 s[40:41], s85, v6
	v_sub_u32_e32 v1, 0x79, v6
	v_cmp_eq_u32_e32 vcc, 0, v6
	v_cndmask_b32_e64 v1, 0, v1, s[40:41]
	v_mov_b32_e32 v7, 0x78
	v_or_b32_e32 v2, 0x800000, v0
	v_cndmask_b32_e32 v7, v1, v7, vcc
	v_cndmask_b32_e32 v52, v2, v0, vcc
	v_add_u32_e32 v0, 20, v7
	v_lshlrev_b64 v[0:1], v0, -1
	v_add_u32_e32 v2, 19, v7
	v_lshlrev_b64 v[8:9], v2, 1
	v_bfi_b32 v1, v1, 0, 0
	v_bfi_b32 v0, v0, 0, v52
	v_cmp_eq_u64_e64 s[40:41], v[0:1], v[8:9]
	v_lshrrev_b64 v[0:1], v7, v[52:53]
	v_mov_b32_e32 v2, v1
	v_mov_b32_e32 v1, v0
	s_and_saveexec_b64 s[54:55], s[40:41]
; %bb.13994:                            ;   in Loop: Header=BB6_13634 Depth=3
	v_bfe_u32 v1, v0, 20, 1
	v_add_co_u32_e64 v1, s[40:41], v0, v1
	v_add_co_u32_e64 v1, s[40:41], -1, v1
; %bb.13995:                            ;   in Loop: Header=BB6_13634 Depth=3
	s_or_b64 exec, exec, s[54:55]
	v_add_u32_e32 v2, 0xffffff81, v6
	v_mov_b32_e32 v6, 0xffffff82
	v_cndmask_b32_e32 v2, v2, v6, vcc
	v_lshrrev_b32_e32 v6, 23, v0
	v_add3_u32 v7, v7, v2, v6
	v_add_u32_e32 v6, 6, v7
	v_and_b32_e32 v1, 0xfffff, v1
	v_add_u32_e32 v52, v1, v0
	v_cmp_ne_u32_e32 vcc, 0, v6
                                        ; implicit-def: $vgpr0_vgpr1
                                        ; implicit-def: $vgpr2
	s_and_saveexec_b64 s[40:41], vcc
	s_xor_b64 s[40:41], exec, s[40:41]
; %bb.13996:                            ;   in Loop: Header=BB6_13634 Depth=3
	v_cmp_lt_u64_e32 vcc, s[88:89], v[52:53]
	v_add_u32_e32 v0, 7, v7
	v_cndmask_b32_e32 v2, v6, v0, vcc
	v_cndmask_b32_e64 v0, 0, 1, vcc
	v_lshrrev_b64 v[0:1], v0, v[52:53]
; %bb.13997:                            ;   in Loop: Header=BB6_13634 Depth=3
	s_andn2_saveexec_b64 s[40:41], s[40:41]
; %bb.13998:                            ;   in Loop: Header=BB6_13634 Depth=3
	v_mov_b32_e32 v0, v52
	v_bfe_u32 v2, v52, 23, 1
	v_mov_b32_e32 v1, v53
; %bb.13999:                            ;   in Loop: Header=BB6_13634 Depth=3
	s_or_b64 exec, exec, s[40:41]
	v_lshrrev_b64 v[0:1], 20, v[0:1]
	v_cmp_gt_i32_e32 vcc, 16, v2
	v_cndmask_b32_e32 v1, 0, v1, vcc
	v_cndmask_b32_e32 v0, 7, v0, vcc
	v_cmp_eq_u64_e64 s[40:41], 0, v[0:1]
	v_min_i32_e32 v1, 15, v2
	v_lshlrev_b32_e32 v1, 3, v1
	v_cmp_eq_u32_e32 vcc, 0, v2
	v_and_b32_e32 v1, 0xf8, v1
	v_and_or_b32 v0, v0, 7, v1
	s_and_b64 s[40:41], vcc, s[40:41]
	v_cndmask_b32_e64 v0, v0, 0, s[40:41]
	v_or_b32_e32 v13, v0, v3
.LBB6_14000:                            ;   in Loop: Header=BB6_13634 Depth=3
	s_or_b64 exec, exec, s[46:47]
                                        ; implicit-def: $vgpr3
.LBB6_14001:                            ;   in Loop: Header=BB6_13634 Depth=3
	s_andn2_saveexec_b64 s[40:41], s[44:45]
; %bb.14002:                            ;   in Loop: Header=BB6_13634 Depth=3
	v_or_b32_e32 v13, 0x7e, v3
; %bb.14003:                            ;   in Loop: Header=BB6_13634 Depth=3
	s_or_b64 exec, exec, s[40:41]
                                        ; implicit-def: $vgpr1
.LBB6_14004:                            ;   in Loop: Header=BB6_13634 Depth=3
	s_andn2_saveexec_b64 s[40:41], s[42:43]
; %bb.14005:                            ;   in Loop: Header=BB6_13634 Depth=3
	v_or_b32_sdwa v13, v1, s83 dst_sel:DWORD dst_unused:UNUSED_PAD src0_sel:BYTE_3 src1_sel:DWORD
; %bb.14006:                            ;   in Loop: Header=BB6_13634 Depth=3
	s_or_b64 exec, exec, s[40:41]
	v_lshrrev_b16_e32 v52, 8, v14
	v_and_b32_e32 v3, 7, v52
	v_and_b32_e32 v0, 0x7f, v52
	v_cmp_eq_u32_e64 s[40:41], s83, v0
	v_cmp_gt_u32_e32 vcc, 8, v0
	v_ffbh_u32_e32 v0, v3
	v_min_u32_e32 v7, 32, v0
	v_subrev_u32_e32 v0, 28, v7
	v_lshlrev_b64 v[0:1], v0, v[52:53]
	v_bfe_u32 v6, v52, 3, 4
	v_sub_u32_e32 v1, 29, v7
	v_and_b32_e32 v0, 7, v0
	v_cndmask_b32_e32 v1, v6, v1, vcc
	v_cndmask_b32_e32 v0, v3, v0, vcc
	v_lshlrev_b32_e32 v3, 24, v52
	v_bfrev_b32_e32 v6, 60
	v_lshrrev_b16_e32 v2, 8, v10
	v_lshlrev_b32_e32 v0, 20, v0
	v_and_b32_e32 v3, 0x80000000, v3
	v_lshl_add_u32 v1, v1, 23, v6
	v_or3_b32 v0, v3, v1, v0
	v_cmp_ne_u16_e64 s[42:43], 0, v2
	s_mov_b64 s[44:45], -1
	s_and_b64 vcc, exec, s[52:53]
                                        ; implicit-def: $vgpr1
	s_cbranch_vccz .LBB6_14020
; %bb.14007:                            ;   in Loop: Header=BB6_13634 Depth=3
	v_mov_b32_e32 v1, 0
	s_and_saveexec_b64 s[44:45], s[42:43]
	s_cbranch_execz .LBB6_14013
; %bb.14008:                            ;   in Loop: Header=BB6_13634 Depth=3
	v_cmp_ne_u16_e32 vcc, s82, v2
	v_bfrev_b32_e32 v1, 1
	s_and_saveexec_b64 s[46:47], vcc
	s_cbranch_execz .LBB6_14012
; %bb.14009:                            ;   in Loop: Header=BB6_13634 Depth=3
	v_and_b32_e32 v3, 0x7f, v2
	v_cmp_ne_u32_e32 vcc, s83, v3
	v_mov_b32_e32 v1, 0x7f800001
	s_and_saveexec_b64 s[54:55], vcc
	s_cbranch_execz .LBB6_14011
; %bb.14010:                            ;   in Loop: Header=BB6_13634 Depth=3
	v_and_b32_e32 v1, 7, v2
	v_lshrrev_b32_e32 v8, 3, v3
	v_cmp_gt_u32_e32 vcc, 8, v3
	v_ffbh_u32_e32 v3, v1
	v_min_u32_e32 v3, 32, v3
	v_subrev_u32_e32 v6, 28, v3
	v_lshlrev_b64 v[6:7], v6, v[2:3]
	v_sub_u32_e32 v3, 29, v3
	v_and_b32_e32 v6, 7, v6
	v_cndmask_b32_e32 v3, v8, v3, vcc
	v_cndmask_b32_e32 v1, v1, v6, vcc
	v_lshlrev_b32_e32 v6, 16, v10
	v_bfrev_b32_e32 v7, 60
	v_lshlrev_b32_e32 v1, 20, v1
	v_and_b32_e32 v6, 0x80000000, v6
	v_lshl_add_u32 v3, v3, 23, v7
	v_or3_b32 v1, v6, v3, v1
.LBB6_14011:                            ;   in Loop: Header=BB6_13634 Depth=3
	s_or_b64 exec, exec, s[54:55]
.LBB6_14012:                            ;   in Loop: Header=BB6_13634 Depth=3
	s_or_b64 exec, exec, s[46:47]
.LBB6_14013:                            ;   in Loop: Header=BB6_13634 Depth=3
	s_or_b64 exec, exec, s[44:45]
	v_cmp_lt_i16_e32 vcc, s83, v52
	s_mov_b64 s[44:45], 0
	s_and_saveexec_b64 s[46:47], vcc
	s_xor_b64 s[46:47], exec, s[46:47]
	s_cbranch_execz .LBB6_14318
; %bb.14014:                            ;   in Loop: Header=BB6_13634 Depth=3
	v_cmp_eq_u16_e32 vcc, s82, v52
	s_mov_b64 s[44:45], -1
	s_and_saveexec_b64 s[54:55], vcc
; %bb.14015:                            ;   in Loop: Header=BB6_13634 Depth=3
	s_xor_b64 s[44:45], exec, -1
; %bb.14016:                            ;   in Loop: Header=BB6_13634 Depth=3
	s_or_b64 exec, exec, s[54:55]
	s_and_b64 s[44:45], s[44:45], exec
	s_or_saveexec_b64 s[46:47], s[46:47]
	v_bfrev_b32_e32 v3, 1
	s_xor_b64 exec, exec, s[46:47]
	s_cbranch_execnz .LBB6_14319
.LBB6_14017:                            ;   in Loop: Header=BB6_13634 Depth=3
	s_or_b64 exec, exec, s[46:47]
	s_and_saveexec_b64 s[46:47], s[44:45]
.LBB6_14018:                            ;   in Loop: Header=BB6_13634 Depth=3
	v_mov_b32_e32 v3, 0x7f800001
	v_cndmask_b32_e64 v3, v0, v3, s[40:41]
.LBB6_14019:                            ;   in Loop: Header=BB6_13634 Depth=3
	s_or_b64 exec, exec, s[46:47]
	v_max_f32_e32 v3, v3, v3
	v_max_f32_e32 v1, v1, v1
	;; [unrolled: 1-line block ×3, first 2 shown]
	s_mov_b64 s[44:45], 0
.LBB6_14020:                            ;   in Loop: Header=BB6_13634 Depth=3
	s_and_b64 vcc, exec, s[44:45]
	s_cbranch_vccz .LBB6_14034
; %bb.14021:                            ;   in Loop: Header=BB6_13634 Depth=3
	v_mov_b32_e32 v1, 0
	s_and_saveexec_b64 s[44:45], s[42:43]
	s_cbranch_execz .LBB6_14027
; %bb.14022:                            ;   in Loop: Header=BB6_13634 Depth=3
	v_cmp_ne_u16_e32 vcc, s82, v2
	v_bfrev_b32_e32 v1, 1
	s_and_saveexec_b64 s[42:43], vcc
	s_cbranch_execz .LBB6_14026
; %bb.14023:                            ;   in Loop: Header=BB6_13634 Depth=3
	v_and_b32_e32 v3, 0x7f, v2
	v_cmp_ne_u32_e32 vcc, s83, v3
	v_mov_b32_e32 v1, 0x7f800001
	s_and_saveexec_b64 s[46:47], vcc
	s_cbranch_execz .LBB6_14025
; %bb.14024:                            ;   in Loop: Header=BB6_13634 Depth=3
	v_and_b32_e32 v6, 7, v2
	v_ffbh_u32_e32 v1, v6
	v_lshrrev_b32_e32 v7, 3, v3
	v_cmp_gt_u32_e32 vcc, 8, v3
	v_min_u32_e32 v3, 32, v1
	v_subrev_u32_e32 v1, 28, v3
	v_lshlrev_b64 v[1:2], v1, v[2:3]
	v_sub_u32_e32 v2, 29, v3
	v_and_b32_e32 v1, 7, v1
	v_cndmask_b32_e32 v2, v7, v2, vcc
	v_cndmask_b32_e32 v1, v6, v1, vcc
	v_lshlrev_b32_e32 v3, 16, v10
	v_bfrev_b32_e32 v6, 60
	v_lshlrev_b32_e32 v1, 20, v1
	v_and_b32_e32 v3, 0x80000000, v3
	v_lshl_add_u32 v2, v2, 23, v6
	v_or3_b32 v1, v3, v2, v1
.LBB6_14025:                            ;   in Loop: Header=BB6_13634 Depth=3
	s_or_b64 exec, exec, s[46:47]
.LBB6_14026:                            ;   in Loop: Header=BB6_13634 Depth=3
	s_or_b64 exec, exec, s[42:43]
.LBB6_14027:                            ;   in Loop: Header=BB6_13634 Depth=3
	s_or_b64 exec, exec, s[44:45]
	v_cmp_lt_i16_e32 vcc, s83, v52
	s_mov_b64 s[42:43], 0
	s_and_saveexec_b64 s[44:45], vcc
	s_xor_b64 s[44:45], exec, s[44:45]
	s_cbranch_execz .LBB6_14320
; %bb.14028:                            ;   in Loop: Header=BB6_13634 Depth=3
	v_cmp_eq_u16_e32 vcc, s82, v52
	s_mov_b64 s[42:43], -1
	s_and_saveexec_b64 s[46:47], vcc
; %bb.14029:                            ;   in Loop: Header=BB6_13634 Depth=3
	s_xor_b64 s[42:43], exec, -1
; %bb.14030:                            ;   in Loop: Header=BB6_13634 Depth=3
	s_or_b64 exec, exec, s[46:47]
	s_and_b64 s[42:43], s[42:43], exec
	s_or_saveexec_b64 s[44:45], s[44:45]
	v_bfrev_b32_e32 v2, 1
	s_xor_b64 exec, exec, s[44:45]
	s_cbranch_execnz .LBB6_14321
.LBB6_14031:                            ;   in Loop: Header=BB6_13634 Depth=3
	s_or_b64 exec, exec, s[44:45]
	s_and_saveexec_b64 s[44:45], s[42:43]
.LBB6_14032:                            ;   in Loop: Header=BB6_13634 Depth=3
	v_mov_b32_e32 v2, 0x7f800001
	v_cndmask_b32_e64 v2, v0, v2, s[40:41]
.LBB6_14033:                            ;   in Loop: Header=BB6_13634 Depth=3
	s_or_b64 exec, exec, s[44:45]
	v_max_f32_e32 v0, v2, v2
	v_max_f32_e32 v1, v1, v1
	v_min_f32_e32 v1, v1, v0
.LBB6_14034:                            ;   in Loop: Header=BB6_13634 Depth=3
	v_and_b32_e32 v52, 0x7f800000, v1
	v_cmp_ne_u64_e32 vcc, s[76:77], v[52:53]
                                        ; implicit-def: $vgpr33
	s_and_saveexec_b64 s[40:41], vcc
	s_xor_b64 s[42:43], exec, s[40:41]
	s_cbranch_execz .LBB6_14048
; %bb.14035:                            ;   in Loop: Header=BB6_13634 Depth=3
	v_and_b32_e32 v52, 0x7fffffff, v1
	v_cmp_gt_u64_e32 vcc, s[78:79], v[52:53]
	v_and_b32_sdwa v3, v1, s82 dst_sel:DWORD dst_unused:UNUSED_PAD src0_sel:BYTE_3 src1_sel:DWORD
                                        ; implicit-def: $vgpr33
	s_and_saveexec_b64 s[40:41], vcc
	s_xor_b64 s[44:45], exec, s[40:41]
	s_cbranch_execz .LBB6_14045
; %bb.14036:                            ;   in Loop: Header=BB6_13634 Depth=3
	v_mov_b32_e32 v33, 0
	v_cmp_ne_u32_e32 vcc, 0, v1
	s_and_saveexec_b64 s[46:47], vcc
	s_cbranch_execz .LBB6_14044
; %bb.14037:                            ;   in Loop: Header=BB6_13634 Depth=3
	v_bfe_u32 v6, v1, 23, 8
	v_and_b32_e32 v0, 0x7fffff, v1
	v_cmp_gt_u32_e64 s[40:41], s85, v6
	v_sub_u32_e32 v1, 0x79, v6
	v_cmp_eq_u32_e32 vcc, 0, v6
	v_cndmask_b32_e64 v1, 0, v1, s[40:41]
	v_mov_b32_e32 v7, 0x78
	v_or_b32_e32 v2, 0x800000, v0
	v_cndmask_b32_e32 v7, v1, v7, vcc
	v_cndmask_b32_e32 v52, v2, v0, vcc
	v_add_u32_e32 v0, 20, v7
	v_lshlrev_b64 v[0:1], v0, -1
	v_add_u32_e32 v2, 19, v7
	v_lshlrev_b64 v[8:9], v2, 1
	v_bfi_b32 v1, v1, 0, 0
	v_bfi_b32 v0, v0, 0, v52
	v_cmp_eq_u64_e64 s[40:41], v[0:1], v[8:9]
	v_lshrrev_b64 v[0:1], v7, v[52:53]
	v_mov_b32_e32 v2, v1
	v_mov_b32_e32 v1, v0
	s_and_saveexec_b64 s[54:55], s[40:41]
; %bb.14038:                            ;   in Loop: Header=BB6_13634 Depth=3
	v_bfe_u32 v1, v0, 20, 1
	v_add_co_u32_e64 v1, s[40:41], v0, v1
	v_add_co_u32_e64 v1, s[40:41], -1, v1
; %bb.14039:                            ;   in Loop: Header=BB6_13634 Depth=3
	s_or_b64 exec, exec, s[54:55]
	v_add_u32_e32 v2, 0xffffff81, v6
	v_mov_b32_e32 v6, 0xffffff82
	v_cndmask_b32_e32 v2, v2, v6, vcc
	v_lshrrev_b32_e32 v6, 23, v0
	v_add3_u32 v7, v7, v2, v6
	v_add_u32_e32 v6, 6, v7
	v_and_b32_e32 v1, 0xfffff, v1
	v_add_u32_e32 v52, v1, v0
	v_cmp_ne_u32_e32 vcc, 0, v6
                                        ; implicit-def: $vgpr0_vgpr1
                                        ; implicit-def: $vgpr2
	s_and_saveexec_b64 s[40:41], vcc
	s_xor_b64 s[40:41], exec, s[40:41]
; %bb.14040:                            ;   in Loop: Header=BB6_13634 Depth=3
	v_cmp_lt_u64_e32 vcc, s[88:89], v[52:53]
	v_add_u32_e32 v0, 7, v7
	v_cndmask_b32_e32 v2, v6, v0, vcc
	v_cndmask_b32_e64 v0, 0, 1, vcc
	v_lshrrev_b64 v[0:1], v0, v[52:53]
; %bb.14041:                            ;   in Loop: Header=BB6_13634 Depth=3
	s_andn2_saveexec_b64 s[40:41], s[40:41]
; %bb.14042:                            ;   in Loop: Header=BB6_13634 Depth=3
	v_mov_b32_e32 v0, v52
	v_bfe_u32 v2, v52, 23, 1
	v_mov_b32_e32 v1, v53
; %bb.14043:                            ;   in Loop: Header=BB6_13634 Depth=3
	s_or_b64 exec, exec, s[40:41]
	v_lshrrev_b64 v[0:1], 20, v[0:1]
	v_cmp_gt_i32_e32 vcc, 16, v2
	v_cndmask_b32_e32 v1, 0, v1, vcc
	v_cndmask_b32_e32 v0, 7, v0, vcc
	v_cmp_eq_u64_e64 s[40:41], 0, v[0:1]
	v_min_i32_e32 v1, 15, v2
	v_lshlrev_b32_e32 v1, 3, v1
	v_cmp_eq_u32_e32 vcc, 0, v2
	v_and_b32_e32 v1, 0xf8, v1
	v_and_or_b32 v0, v0, 7, v1
	s_and_b64 s[40:41], vcc, s[40:41]
	v_cndmask_b32_e64 v0, v0, 0, s[40:41]
	v_or_b32_e32 v33, v0, v3
.LBB6_14044:                            ;   in Loop: Header=BB6_13634 Depth=3
	s_or_b64 exec, exec, s[46:47]
                                        ; implicit-def: $vgpr3
.LBB6_14045:                            ;   in Loop: Header=BB6_13634 Depth=3
	s_andn2_saveexec_b64 s[40:41], s[44:45]
; %bb.14046:                            ;   in Loop: Header=BB6_13634 Depth=3
	v_or_b32_e32 v33, 0x7e, v3
; %bb.14047:                            ;   in Loop: Header=BB6_13634 Depth=3
	s_or_b64 exec, exec, s[40:41]
                                        ; implicit-def: $vgpr1
.LBB6_14048:                            ;   in Loop: Header=BB6_13634 Depth=3
	s_andn2_saveexec_b64 s[40:41], s[42:43]
; %bb.14049:                            ;   in Loop: Header=BB6_13634 Depth=3
	v_or_b32_sdwa v33, v1, s83 dst_sel:DWORD dst_unused:UNUSED_PAD src0_sel:BYTE_3 src1_sel:DWORD
; %bb.14050:                            ;   in Loop: Header=BB6_13634 Depth=3
	s_or_b64 exec, exec, s[40:41]
	v_bfe_u32 v3, v14, 16, 3
	v_bfe_u32 v1, v14, 16, 7
	v_cmp_eq_u32_e64 s[40:41], s83, v1
	v_cmp_gt_u32_e32 vcc, 8, v1
	v_ffbh_u32_e32 v1, v3
	v_min_u32_e32 v7, 32, v1
	v_lshrrev_b32_e32 v0, 16, v14
	v_subrev_u32_e32 v1, 28, v7
	v_lshlrev_b64 v[1:2], v1, v[0:1]
	v_bfe_u32 v6, v0, 3, 4
	v_sub_u32_e32 v2, 29, v7
	v_and_b32_e32 v1, 7, v1
	v_cndmask_b32_e32 v2, v6, v2, vcc
	v_cndmask_b32_e32 v1, v3, v1, vcc
	v_lshlrev_b32_e32 v3, 8, v14
	v_bfrev_b32_e32 v6, 60
	v_lshlrev_b32_e32 v1, 20, v1
	v_and_b32_e32 v3, 0x80000000, v3
	v_lshl_add_u32 v2, v2, 23, v6
	v_or3_b32 v1, v3, v2, v1
	v_lshrrev_b32_e32 v2, 16, v10
	v_cmp_ne_u16_sdwa s[42:43], v2, v53 src0_sel:BYTE_0 src1_sel:DWORD
	s_mov_b64 s[44:45], -1
	s_and_b64 vcc, exec, s[52:53]
                                        ; implicit-def: $vgpr6
	s_cbranch_vccz .LBB6_14064
; %bb.14051:                            ;   in Loop: Header=BB6_13634 Depth=3
	v_mov_b32_e32 v3, 0
	s_and_saveexec_b64 s[44:45], s[42:43]
	s_cbranch_execz .LBB6_14057
; %bb.14052:                            ;   in Loop: Header=BB6_13634 Depth=3
	v_cmp_ne_u16_sdwa vcc, v2, s82 src0_sel:BYTE_0 src1_sel:DWORD
	v_bfrev_b32_e32 v3, 1
	s_and_saveexec_b64 s[46:47], vcc
	s_cbranch_execz .LBB6_14056
; %bb.14053:                            ;   in Loop: Header=BB6_13634 Depth=3
	v_bfe_u32 v6, v10, 16, 7
	v_cmp_ne_u32_e32 vcc, s83, v6
	v_mov_b32_e32 v3, 0x7f800001
	s_and_saveexec_b64 s[54:55], vcc
	s_cbranch_execz .LBB6_14055
; %bb.14054:                            ;   in Loop: Header=BB6_13634 Depth=3
	v_and_b32_e32 v3, 7, v2
	v_lshrrev_b32_e32 v8, 3, v6
	v_cmp_gt_u32_e32 vcc, 8, v6
	v_ffbh_u32_e32 v6, v3
	v_min_u32_e32 v9, 32, v6
	v_subrev_u32_e32 v6, 28, v9
	v_lshlrev_b64 v[6:7], v6, v[2:3]
	v_sub_u32_e32 v7, 29, v9
	v_and_b32_e32 v6, 7, v6
	v_cndmask_b32_e32 v7, v8, v7, vcc
	v_cndmask_b32_e32 v3, v3, v6, vcc
	v_lshlrev_b32_e32 v6, 24, v2
	v_bfrev_b32_e32 v8, 60
	v_lshlrev_b32_e32 v3, 20, v3
	v_and_b32_e32 v6, 0x80000000, v6
	v_lshl_add_u32 v7, v7, 23, v8
	v_or3_b32 v3, v6, v7, v3
.LBB6_14055:                            ;   in Loop: Header=BB6_13634 Depth=3
	s_or_b64 exec, exec, s[54:55]
.LBB6_14056:                            ;   in Loop: Header=BB6_13634 Depth=3
	s_or_b64 exec, exec, s[46:47]
.LBB6_14057:                            ;   in Loop: Header=BB6_13634 Depth=3
	s_or_b64 exec, exec, s[44:45]
	v_cmp_gt_i16_sdwa s[46:47], v0, s83 src0_sel:BYTE_0 src1_sel:DWORD
	s_mov_b64 s[44:45], 0
	s_and_saveexec_b64 vcc, s[46:47]
	s_xor_b64 s[46:47], exec, vcc
	s_cbranch_execz .LBB6_14322
; %bb.14058:                            ;   in Loop: Header=BB6_13634 Depth=3
	v_cmp_eq_u16_sdwa s[54:55], v0, s82 src0_sel:BYTE_0 src1_sel:DWORD
	s_mov_b64 s[44:45], -1
	s_and_saveexec_b64 vcc, s[54:55]
; %bb.14059:                            ;   in Loop: Header=BB6_13634 Depth=3
	s_xor_b64 s[44:45], exec, -1
; %bb.14060:                            ;   in Loop: Header=BB6_13634 Depth=3
	s_or_b64 exec, exec, vcc
	s_and_b64 s[44:45], s[44:45], exec
	s_or_saveexec_b64 s[46:47], s[46:47]
	v_bfrev_b32_e32 v6, 1
	s_xor_b64 exec, exec, s[46:47]
	s_cbranch_execnz .LBB6_14323
.LBB6_14061:                            ;   in Loop: Header=BB6_13634 Depth=3
	s_or_b64 exec, exec, s[46:47]
	s_and_saveexec_b64 s[46:47], s[44:45]
.LBB6_14062:                            ;   in Loop: Header=BB6_13634 Depth=3
	v_mov_b32_e32 v6, 0x7f800001
	v_cndmask_b32_e64 v6, v1, v6, s[40:41]
.LBB6_14063:                            ;   in Loop: Header=BB6_13634 Depth=3
	s_or_b64 exec, exec, s[46:47]
	v_max_f32_e32 v6, v6, v6
	v_max_f32_e32 v3, v3, v3
	;; [unrolled: 1-line block ×3, first 2 shown]
	s_mov_b64 s[44:45], 0
.LBB6_14064:                            ;   in Loop: Header=BB6_13634 Depth=3
	s_and_b64 vcc, exec, s[44:45]
	s_cbranch_vccz .LBB6_14078
; %bb.14065:                            ;   in Loop: Header=BB6_13634 Depth=3
	v_mov_b32_e32 v3, 0
	s_and_saveexec_b64 s[44:45], s[42:43]
	s_cbranch_execz .LBB6_14071
; %bb.14066:                            ;   in Loop: Header=BB6_13634 Depth=3
	v_cmp_ne_u16_sdwa s[46:47], v2, s82 src0_sel:BYTE_0 src1_sel:DWORD
	v_bfrev_b32_e32 v3, 1
	s_and_saveexec_b64 s[42:43], s[46:47]
	s_cbranch_execz .LBB6_14070
; %bb.14067:                            ;   in Loop: Header=BB6_13634 Depth=3
	v_bfe_u32 v6, v10, 16, 7
	v_cmp_ne_u32_e32 vcc, s83, v6
	v_mov_b32_e32 v3, 0x7f800001
	s_and_saveexec_b64 s[46:47], vcc
	s_cbranch_execz .LBB6_14069
; %bb.14068:                            ;   in Loop: Header=BB6_13634 Depth=3
	v_and_b32_e32 v3, 7, v2
	v_lshrrev_b32_e32 v8, 3, v6
	v_cmp_gt_u32_e32 vcc, 8, v6
	v_ffbh_u32_e32 v6, v3
	v_min_u32_e32 v9, 32, v6
	v_subrev_u32_e32 v6, 28, v9
	v_lshlrev_b64 v[6:7], v6, v[2:3]
	v_sub_u32_e32 v7, 29, v9
	v_and_b32_e32 v6, 7, v6
	v_cndmask_b32_e32 v7, v8, v7, vcc
	v_cndmask_b32_e32 v3, v3, v6, vcc
	v_lshlrev_b32_e32 v2, 24, v2
	v_bfrev_b32_e32 v6, 60
	v_lshlrev_b32_e32 v3, 20, v3
	v_and_b32_e32 v2, 0x80000000, v2
	v_lshl_add_u32 v6, v7, 23, v6
	v_or3_b32 v3, v2, v6, v3
.LBB6_14069:                            ;   in Loop: Header=BB6_13634 Depth=3
	s_or_b64 exec, exec, s[46:47]
.LBB6_14070:                            ;   in Loop: Header=BB6_13634 Depth=3
	s_or_b64 exec, exec, s[42:43]
.LBB6_14071:                            ;   in Loop: Header=BB6_13634 Depth=3
	s_or_b64 exec, exec, s[44:45]
	v_cmp_gt_i16_sdwa s[44:45], v0, s83 src0_sel:BYTE_0 src1_sel:DWORD
	s_mov_b64 s[42:43], 0
	s_and_saveexec_b64 s[46:47], s[44:45]
	s_xor_b64 s[44:45], exec, s[46:47]
	s_cbranch_execz .LBB6_14324
; %bb.14072:                            ;   in Loop: Header=BB6_13634 Depth=3
	v_cmp_eq_u16_sdwa vcc, v0, s82 src0_sel:BYTE_0 src1_sel:DWORD
	s_mov_b64 s[42:43], -1
	s_and_saveexec_b64 s[46:47], vcc
; %bb.14073:                            ;   in Loop: Header=BB6_13634 Depth=3
	s_xor_b64 s[42:43], exec, -1
; %bb.14074:                            ;   in Loop: Header=BB6_13634 Depth=3
	s_or_b64 exec, exec, s[46:47]
	s_and_b64 s[42:43], s[42:43], exec
                                        ; implicit-def: $vgpr0
	s_or_saveexec_b64 s[44:45], s[44:45]
	v_bfrev_b32_e32 v2, 1
	s_xor_b64 exec, exec, s[44:45]
	s_cbranch_execnz .LBB6_14325
.LBB6_14075:                            ;   in Loop: Header=BB6_13634 Depth=3
	s_or_b64 exec, exec, s[44:45]
	s_and_saveexec_b64 s[44:45], s[42:43]
.LBB6_14076:                            ;   in Loop: Header=BB6_13634 Depth=3
	v_mov_b32_e32 v0, 0x7f800001
	v_cndmask_b32_e64 v2, v1, v0, s[40:41]
.LBB6_14077:                            ;   in Loop: Header=BB6_13634 Depth=3
	s_or_b64 exec, exec, s[44:45]
	v_max_f32_e32 v0, v2, v2
	v_max_f32_e32 v1, v3, v3
	v_min_f32_e32 v6, v1, v0
.LBB6_14078:                            ;   in Loop: Header=BB6_13634 Depth=3
	v_and_b32_e32 v52, 0x7f800000, v6
	v_cmp_ne_u64_e32 vcc, s[76:77], v[52:53]
                                        ; implicit-def: $vgpr34
	s_and_saveexec_b64 s[40:41], vcc
	s_xor_b64 s[42:43], exec, s[40:41]
	s_cbranch_execz .LBB6_14092
; %bb.14079:                            ;   in Loop: Header=BB6_13634 Depth=3
	v_and_b32_e32 v52, 0x7fffffff, v6
	v_cmp_gt_u64_e32 vcc, s[78:79], v[52:53]
	v_and_b32_sdwa v3, v6, s82 dst_sel:DWORD dst_unused:UNUSED_PAD src0_sel:BYTE_3 src1_sel:DWORD
                                        ; implicit-def: $vgpr34
	s_and_saveexec_b64 s[40:41], vcc
	s_xor_b64 s[44:45], exec, s[40:41]
	s_cbranch_execz .LBB6_14089
; %bb.14080:                            ;   in Loop: Header=BB6_13634 Depth=3
	v_mov_b32_e32 v34, 0
	v_cmp_ne_u32_e32 vcc, 0, v6
	s_and_saveexec_b64 s[46:47], vcc
	s_cbranch_execz .LBB6_14088
; %bb.14081:                            ;   in Loop: Header=BB6_13634 Depth=3
	v_and_b32_e32 v0, 0x7fffff, v6
	v_bfe_u32 v6, v6, 23, 8
	v_cmp_gt_u32_e64 s[40:41], s85, v6
	v_sub_u32_e32 v1, 0x79, v6
	v_cmp_eq_u32_e32 vcc, 0, v6
	v_cndmask_b32_e64 v1, 0, v1, s[40:41]
	v_mov_b32_e32 v7, 0x78
	v_or_b32_e32 v2, 0x800000, v0
	v_cndmask_b32_e32 v7, v1, v7, vcc
	v_cndmask_b32_e32 v52, v2, v0, vcc
	v_add_u32_e32 v0, 20, v7
	v_lshlrev_b64 v[0:1], v0, -1
	v_add_u32_e32 v2, 19, v7
	v_lshlrev_b64 v[8:9], v2, 1
	v_bfi_b32 v1, v1, 0, 0
	v_bfi_b32 v0, v0, 0, v52
	v_cmp_eq_u64_e64 s[40:41], v[0:1], v[8:9]
	v_lshrrev_b64 v[0:1], v7, v[52:53]
	v_mov_b32_e32 v2, v1
	v_mov_b32_e32 v1, v0
	s_and_saveexec_b64 s[54:55], s[40:41]
; %bb.14082:                            ;   in Loop: Header=BB6_13634 Depth=3
	v_bfe_u32 v1, v0, 20, 1
	v_add_co_u32_e64 v1, s[40:41], v0, v1
	v_add_co_u32_e64 v1, s[40:41], -1, v1
; %bb.14083:                            ;   in Loop: Header=BB6_13634 Depth=3
	s_or_b64 exec, exec, s[54:55]
	v_add_u32_e32 v2, 0xffffff81, v6
	v_mov_b32_e32 v6, 0xffffff82
	v_cndmask_b32_e32 v2, v2, v6, vcc
	v_lshrrev_b32_e32 v6, 23, v0
	v_add3_u32 v7, v7, v2, v6
	v_add_u32_e32 v6, 6, v7
	v_and_b32_e32 v1, 0xfffff, v1
	v_add_u32_e32 v52, v1, v0
	v_cmp_ne_u32_e32 vcc, 0, v6
                                        ; implicit-def: $vgpr0_vgpr1
                                        ; implicit-def: $vgpr2
	s_and_saveexec_b64 s[40:41], vcc
	s_xor_b64 s[40:41], exec, s[40:41]
; %bb.14084:                            ;   in Loop: Header=BB6_13634 Depth=3
	v_cmp_lt_u64_e32 vcc, s[88:89], v[52:53]
	v_add_u32_e32 v0, 7, v7
	v_cndmask_b32_e32 v2, v6, v0, vcc
	v_cndmask_b32_e64 v0, 0, 1, vcc
	v_lshrrev_b64 v[0:1], v0, v[52:53]
; %bb.14085:                            ;   in Loop: Header=BB6_13634 Depth=3
	s_andn2_saveexec_b64 s[40:41], s[40:41]
; %bb.14086:                            ;   in Loop: Header=BB6_13634 Depth=3
	v_mov_b32_e32 v0, v52
	v_bfe_u32 v2, v52, 23, 1
	v_mov_b32_e32 v1, v53
; %bb.14087:                            ;   in Loop: Header=BB6_13634 Depth=3
	s_or_b64 exec, exec, s[40:41]
	v_lshrrev_b64 v[0:1], 20, v[0:1]
	v_cmp_gt_i32_e32 vcc, 16, v2
	v_cndmask_b32_e32 v1, 0, v1, vcc
	v_cndmask_b32_e32 v0, 7, v0, vcc
	v_cmp_eq_u64_e64 s[40:41], 0, v[0:1]
	v_min_i32_e32 v1, 15, v2
	v_lshlrev_b32_e32 v1, 3, v1
	v_cmp_eq_u32_e32 vcc, 0, v2
	v_and_b32_e32 v1, 0xf8, v1
	v_and_or_b32 v0, v0, 7, v1
	s_and_b64 s[40:41], vcc, s[40:41]
	v_cndmask_b32_e64 v0, v0, 0, s[40:41]
	v_or_b32_e32 v34, v0, v3
.LBB6_14088:                            ;   in Loop: Header=BB6_13634 Depth=3
	s_or_b64 exec, exec, s[46:47]
                                        ; implicit-def: $vgpr3
.LBB6_14089:                            ;   in Loop: Header=BB6_13634 Depth=3
	s_andn2_saveexec_b64 s[40:41], s[44:45]
; %bb.14090:                            ;   in Loop: Header=BB6_13634 Depth=3
	v_or_b32_e32 v34, 0x7e, v3
; %bb.14091:                            ;   in Loop: Header=BB6_13634 Depth=3
	s_or_b64 exec, exec, s[40:41]
                                        ; implicit-def: $vgpr6
.LBB6_14092:                            ;   in Loop: Header=BB6_13634 Depth=3
	s_andn2_saveexec_b64 s[40:41], s[42:43]
; %bb.14093:                            ;   in Loop: Header=BB6_13634 Depth=3
	v_or_b32_sdwa v34, v6, s83 dst_sel:DWORD dst_unused:UNUSED_PAD src0_sel:BYTE_3 src1_sel:DWORD
; %bb.14094:                            ;   in Loop: Header=BB6_13634 Depth=3
	s_or_b64 exec, exec, s[40:41]
	v_bfe_u32 v3, v14, 24, 3
	v_bfe_u32 v2, v14, 24, 7
	v_cmp_eq_u32_e64 s[44:45], s83, v2
	v_cmp_gt_u32_e32 vcc, 8, v2
	v_ffbh_u32_e32 v2, v3
	v_min_u32_e32 v7, 32, v2
	v_lshrrev_b32_e32 v1, 24, v14
	v_subrev_u32_e32 v2, 28, v7
	v_bfe_u32 v6, v1, 3, 4
	v_cmp_eq_u32_e64 s[42:43], s82, v1
	v_lshlrev_b64 v[1:2], v2, v[1:2]
	v_sub_u32_e32 v2, 29, v7
	v_and_b32_e32 v1, 7, v1
	v_cndmask_b32_e32 v2, v6, v2, vcc
	v_cndmask_b32_e32 v1, v3, v1, vcc
	v_bfrev_b32_e32 v6, 60
	v_lshlrev_b32_e32 v1, 20, v1
	v_and_b32_e32 v3, 0x80000000, v14
	v_lshl_add_u32 v2, v2, 23, v6
	v_lshrrev_b32_e32 v0, 24, v10
	v_cmp_gt_u32_e64 s[40:41], s61, v14
	v_or3_b32 v1, v3, v2, v1
	v_cmp_lt_u32_e64 s[46:47], s63, v10
	s_mov_b64 s[54:55], -1
	s_and_b64 vcc, exec, s[52:53]
                                        ; implicit-def: $vgpr2
	s_cbranch_vccz .LBB6_14102
; %bb.14095:                            ;   in Loop: Header=BB6_13634 Depth=3
	v_mov_b32_e32 v2, 0
	s_and_saveexec_b64 s[54:55], s[46:47]
	s_cbranch_execz .LBB6_14101
; %bb.14096:                            ;   in Loop: Header=BB6_13634 Depth=3
	v_cmp_ne_u32_e32 vcc, s82, v0
	v_bfrev_b32_e32 v2, 1
	s_and_saveexec_b64 s[64:65], vcc
	s_cbranch_execz .LBB6_14100
; %bb.14097:                            ;   in Loop: Header=BB6_13634 Depth=3
	v_bfe_u32 v3, v10, 24, 7
	v_cmp_ne_u32_e32 vcc, s83, v3
	v_mov_b32_e32 v2, 0x7f800001
	s_and_saveexec_b64 s[66:67], vcc
	s_cbranch_execz .LBB6_14099
; %bb.14098:                            ;   in Loop: Header=BB6_13634 Depth=3
	v_and_b32_e32 v6, 7, v0
	v_ffbh_u32_e32 v2, v6
	v_min_u32_e32 v8, 32, v2
	v_subrev_u32_e32 v2, 28, v8
	v_lshrrev_b32_e32 v7, 3, v3
	v_cmp_gt_u32_e32 vcc, 8, v3
	v_lshlrev_b64 v[2:3], v2, v[0:1]
	v_sub_u32_e32 v3, 29, v8
	v_and_b32_e32 v2, 7, v2
	v_cndmask_b32_e32 v3, v7, v3, vcc
	v_cndmask_b32_e32 v2, v6, v2, vcc
	v_lshlrev_b32_e32 v6, 24, v0
	v_bfrev_b32_e32 v7, 60
	v_lshlrev_b32_e32 v2, 20, v2
	v_and_b32_e32 v6, 0x80000000, v6
	v_lshl_add_u32 v3, v3, 23, v7
	v_or3_b32 v2, v6, v3, v2
.LBB6_14099:                            ;   in Loop: Header=BB6_13634 Depth=3
	s_or_b64 exec, exec, s[66:67]
.LBB6_14100:                            ;   in Loop: Header=BB6_13634 Depth=3
	s_or_b64 exec, exec, s[64:65]
.LBB6_14101:                            ;   in Loop: Header=BB6_13634 Depth=3
	s_or_b64 exec, exec, s[54:55]
	v_mov_b32_e32 v3, 0x7f800001
	v_cndmask_b32_e64 v3, v1, v3, s[44:45]
	v_bfrev_b32_e32 v6, 1
	v_cndmask_b32_e64 v3, v3, v6, s[42:43]
	v_cndmask_b32_e64 v3, v3, 0, s[40:41]
	v_max_f32_e32 v3, v3, v3
	v_max_f32_e32 v2, v2, v2
	;; [unrolled: 1-line block ×3, first 2 shown]
	s_mov_b64 s[54:55], 0
.LBB6_14102:                            ;   in Loop: Header=BB6_13634 Depth=3
	s_and_b64 vcc, exec, s[54:55]
	s_cbranch_vccz .LBB6_14110
; %bb.14103:                            ;   in Loop: Header=BB6_13634 Depth=3
	v_mov_b32_e32 v2, 0
	s_and_saveexec_b64 s[54:55], s[46:47]
	s_cbranch_execz .LBB6_14109
; %bb.14104:                            ;   in Loop: Header=BB6_13634 Depth=3
	v_cmp_ne_u32_e32 vcc, s82, v0
	v_bfrev_b32_e32 v2, 1
	s_and_saveexec_b64 s[46:47], vcc
	s_cbranch_execz .LBB6_14108
; %bb.14105:                            ;   in Loop: Header=BB6_13634 Depth=3
	v_bfe_u32 v3, v10, 24, 7
	v_cmp_ne_u32_e32 vcc, s83, v3
	v_mov_b32_e32 v2, 0x7f800001
	s_and_saveexec_b64 s[64:65], vcc
	s_cbranch_execz .LBB6_14107
; %bb.14106:                            ;   in Loop: Header=BB6_13634 Depth=3
	v_and_b32_e32 v6, 7, v0
	v_ffbh_u32_e32 v2, v6
	v_min_u32_e32 v8, 32, v2
	v_subrev_u32_e32 v2, 28, v8
	v_lshrrev_b32_e32 v7, 3, v3
	v_cmp_gt_u32_e32 vcc, 8, v3
	v_lshlrev_b64 v[2:3], v2, v[0:1]
	v_sub_u32_e32 v3, 29, v8
	v_and_b32_e32 v2, 7, v2
	v_cndmask_b32_e32 v3, v7, v3, vcc
	v_cndmask_b32_e32 v2, v6, v2, vcc
	v_lshlrev_b32_e32 v0, 24, v0
	v_bfrev_b32_e32 v6, 60
	v_lshlrev_b32_e32 v2, 20, v2
	v_and_b32_e32 v0, 0x80000000, v0
	v_lshl_add_u32 v3, v3, 23, v6
	v_or3_b32 v2, v0, v3, v2
.LBB6_14107:                            ;   in Loop: Header=BB6_13634 Depth=3
	s_or_b64 exec, exec, s[64:65]
.LBB6_14108:                            ;   in Loop: Header=BB6_13634 Depth=3
	s_or_b64 exec, exec, s[46:47]
.LBB6_14109:                            ;   in Loop: Header=BB6_13634 Depth=3
	s_or_b64 exec, exec, s[54:55]
	v_mov_b32_e32 v0, 0x7f800001
	v_cndmask_b32_e64 v0, v1, v0, s[44:45]
	v_bfrev_b32_e32 v1, 1
	v_cndmask_b32_e64 v0, v0, v1, s[42:43]
	v_cndmask_b32_e64 v0, v0, 0, s[40:41]
	v_max_f32_e32 v0, v0, v0
	v_max_f32_e32 v1, v2, v2
	v_min_f32_e32 v2, v1, v0
.LBB6_14110:                            ;   in Loop: Header=BB6_13634 Depth=3
	v_and_b32_e32 v52, 0x7f800000, v2
	v_cmp_ne_u64_e32 vcc, s[76:77], v[52:53]
                                        ; implicit-def: $vgpr35
	s_and_saveexec_b64 s[40:41], vcc
	s_xor_b64 s[42:43], exec, s[40:41]
	s_cbranch_execz .LBB6_14124
; %bb.14111:                            ;   in Loop: Header=BB6_13634 Depth=3
	v_and_b32_e32 v52, 0x7fffffff, v2
	v_cmp_gt_u64_e32 vcc, s[78:79], v[52:53]
	v_and_b32_sdwa v3, v2, s82 dst_sel:DWORD dst_unused:UNUSED_PAD src0_sel:BYTE_3 src1_sel:DWORD
                                        ; implicit-def: $vgpr35
	s_and_saveexec_b64 s[40:41], vcc
	s_xor_b64 s[44:45], exec, s[40:41]
	s_cbranch_execz .LBB6_14121
; %bb.14112:                            ;   in Loop: Header=BB6_13634 Depth=3
	v_mov_b32_e32 v35, 0
	v_cmp_ne_u32_e32 vcc, 0, v2
	s_and_saveexec_b64 s[46:47], vcc
	s_cbranch_execz .LBB6_14120
; %bb.14113:                            ;   in Loop: Header=BB6_13634 Depth=3
	v_bfe_u32 v6, v2, 23, 8
	v_cmp_gt_u32_e64 s[40:41], s85, v6
	v_sub_u32_e32 v1, 0x79, v6
	v_and_b32_e32 v0, 0x7fffff, v2
	v_cmp_eq_u32_e32 vcc, 0, v6
	v_cndmask_b32_e64 v1, 0, v1, s[40:41]
	v_mov_b32_e32 v7, 0x78
	v_or_b32_e32 v2, 0x800000, v0
	v_cndmask_b32_e32 v7, v1, v7, vcc
	v_cndmask_b32_e32 v52, v2, v0, vcc
	v_add_u32_e32 v0, 20, v7
	v_lshlrev_b64 v[0:1], v0, -1
	v_add_u32_e32 v2, 19, v7
	v_lshlrev_b64 v[8:9], v2, 1
	v_bfi_b32 v1, v1, 0, 0
	v_bfi_b32 v0, v0, 0, v52
	v_cmp_eq_u64_e64 s[40:41], v[0:1], v[8:9]
	v_lshrrev_b64 v[0:1], v7, v[52:53]
	v_mov_b32_e32 v2, v1
	v_mov_b32_e32 v1, v0
	s_and_saveexec_b64 s[54:55], s[40:41]
; %bb.14114:                            ;   in Loop: Header=BB6_13634 Depth=3
	v_bfe_u32 v1, v0, 20, 1
	v_add_co_u32_e64 v1, s[40:41], v0, v1
	v_add_co_u32_e64 v1, s[40:41], -1, v1
; %bb.14115:                            ;   in Loop: Header=BB6_13634 Depth=3
	s_or_b64 exec, exec, s[54:55]
	v_add_u32_e32 v2, 0xffffff81, v6
	v_mov_b32_e32 v6, 0xffffff82
	v_cndmask_b32_e32 v2, v2, v6, vcc
	v_lshrrev_b32_e32 v6, 23, v0
	v_add3_u32 v7, v7, v2, v6
	v_add_u32_e32 v6, 6, v7
	v_and_b32_e32 v1, 0xfffff, v1
	v_add_u32_e32 v52, v1, v0
	v_cmp_ne_u32_e32 vcc, 0, v6
                                        ; implicit-def: $vgpr0_vgpr1
                                        ; implicit-def: $vgpr2
	s_and_saveexec_b64 s[40:41], vcc
	s_xor_b64 s[40:41], exec, s[40:41]
; %bb.14116:                            ;   in Loop: Header=BB6_13634 Depth=3
	v_cmp_lt_u64_e32 vcc, s[88:89], v[52:53]
	v_add_u32_e32 v0, 7, v7
	v_cndmask_b32_e32 v2, v6, v0, vcc
	v_cndmask_b32_e64 v0, 0, 1, vcc
	v_lshrrev_b64 v[0:1], v0, v[52:53]
; %bb.14117:                            ;   in Loop: Header=BB6_13634 Depth=3
	s_andn2_saveexec_b64 s[40:41], s[40:41]
; %bb.14118:                            ;   in Loop: Header=BB6_13634 Depth=3
	v_mov_b32_e32 v0, v52
	v_bfe_u32 v2, v52, 23, 1
	v_mov_b32_e32 v1, v53
; %bb.14119:                            ;   in Loop: Header=BB6_13634 Depth=3
	s_or_b64 exec, exec, s[40:41]
	v_lshrrev_b64 v[0:1], 20, v[0:1]
	v_cmp_gt_i32_e32 vcc, 16, v2
	v_cndmask_b32_e32 v1, 0, v1, vcc
	v_cndmask_b32_e32 v0, 7, v0, vcc
	v_cmp_eq_u64_e64 s[40:41], 0, v[0:1]
	v_min_i32_e32 v1, 15, v2
	v_lshlrev_b32_e32 v1, 3, v1
	v_cmp_eq_u32_e32 vcc, 0, v2
	v_and_b32_e32 v1, 0xf8, v1
	v_and_or_b32 v0, v0, 7, v1
	s_and_b64 s[40:41], vcc, s[40:41]
	v_cndmask_b32_e64 v0, v0, 0, s[40:41]
	v_or_b32_e32 v35, v0, v3
.LBB6_14120:                            ;   in Loop: Header=BB6_13634 Depth=3
	s_or_b64 exec, exec, s[46:47]
                                        ; implicit-def: $vgpr3
.LBB6_14121:                            ;   in Loop: Header=BB6_13634 Depth=3
	s_andn2_saveexec_b64 s[40:41], s[44:45]
; %bb.14122:                            ;   in Loop: Header=BB6_13634 Depth=3
	v_or_b32_e32 v35, 0x7e, v3
; %bb.14123:                            ;   in Loop: Header=BB6_13634 Depth=3
	s_or_b64 exec, exec, s[40:41]
                                        ; implicit-def: $vgpr2
.LBB6_14124:                            ;   in Loop: Header=BB6_13634 Depth=3
	s_andn2_saveexec_b64 s[40:41], s[42:43]
; %bb.14125:                            ;   in Loop: Header=BB6_13634 Depth=3
	v_or_b32_sdwa v35, v2, s83 dst_sel:DWORD dst_unused:UNUSED_PAD src0_sel:BYTE_3 src1_sel:DWORD
; %bb.14126:                            ;   in Loop: Header=BB6_13634 Depth=3
	s_or_b64 exec, exec, s[40:41]
	v_and_b32_e32 v0, 7, v15
	v_ffbh_u32_e32 v0, v0
	v_and_b32_e32 v1, 0x7f, v15
	v_min_u32_e32 v0, 32, v0
	v_bfe_u32 v6, v15, 3, 4
	v_cmp_eq_u32_e64 s[40:41], s83, v1
	v_cmp_gt_u32_e32 vcc, 8, v1
	v_subrev_u32_e32 v1, 28, v0
	v_sub_u32_e32 v0, 29, v0
	v_mov_b32_e32 v2, v15
	v_mov_b32_e32 v3, v53
	v_cndmask_b32_e32 v6, v6, v0, vcc
	v_cndmask_b32_e32 v0, 0, v1, vcc
	v_lshlrev_b64 v[0:1], v0, v[2:3]
	v_lshlrev_b32_e32 v1, 24, v15
	v_lshlrev_b32_e32 v0, 20, v0
	v_bfrev_b32_e32 v3, 60
	v_and_b32_e32 v0, 0x700000, v0
	v_and_b32_e32 v1, 0x80000000, v1
	v_lshl_add_u32 v3, v6, 23, v3
	v_mov_b32_e32 v52, v11
	v_or3_b32 v0, v1, v3, v0
	v_cmp_ne_u16_sdwa s[42:43], v11, v53 src0_sel:BYTE_0 src1_sel:DWORD
	s_mov_b64 s[44:45], -1
	s_and_b64 vcc, exec, s[52:53]
                                        ; implicit-def: $vgpr1
	s_cbranch_vccz .LBB6_14140
; %bb.14127:                            ;   in Loop: Header=BB6_13634 Depth=3
	v_mov_b32_e32 v1, 0
	s_and_saveexec_b64 s[44:45], s[42:43]
	s_cbranch_execz .LBB6_14133
; %bb.14128:                            ;   in Loop: Header=BB6_13634 Depth=3
	v_cmp_ne_u16_sdwa vcc, v11, s82 src0_sel:BYTE_0 src1_sel:DWORD
	v_bfrev_b32_e32 v1, 1
	s_and_saveexec_b64 s[46:47], vcc
	s_cbranch_execz .LBB6_14132
; %bb.14129:                            ;   in Loop: Header=BB6_13634 Depth=3
	v_and_b32_e32 v3, 0x7f, v11
	v_cmp_ne_u32_e32 vcc, s83, v3
	v_mov_b32_e32 v1, 0x7f800001
	s_and_saveexec_b64 s[54:55], vcc
	s_cbranch_execz .LBB6_14131
; %bb.14130:                            ;   in Loop: Header=BB6_13634 Depth=3
	v_and_b32_e32 v1, 7, v11
	v_ffbh_u32_e32 v1, v1
	v_min_u32_e32 v1, 32, v1
	v_lshrrev_b32_e32 v6, 3, v3
	v_cmp_gt_u32_e32 vcc, 8, v3
	v_subrev_u32_e32 v3, 28, v1
	v_sub_u32_e32 v1, 29, v1
	v_cndmask_b32_e32 v3, 0, v3, vcc
	v_cndmask_b32_e32 v1, v6, v1, vcc
	v_lshlrev_b64 v[6:7], v3, v[52:53]
	v_bfrev_b32_e32 v7, 60
	v_lshlrev_b32_e32 v3, 20, v6
	v_lshlrev_b32_e32 v6, 24, v52
	v_and_b32_e32 v3, 0x700000, v3
	v_and_b32_e32 v6, 0x80000000, v6
	v_lshl_add_u32 v1, v1, 23, v7
	v_or3_b32 v1, v6, v1, v3
.LBB6_14131:                            ;   in Loop: Header=BB6_13634 Depth=3
	s_or_b64 exec, exec, s[54:55]
.LBB6_14132:                            ;   in Loop: Header=BB6_13634 Depth=3
	s_or_b64 exec, exec, s[46:47]
.LBB6_14133:                            ;   in Loop: Header=BB6_13634 Depth=3
	s_or_b64 exec, exec, s[44:45]
	v_cmp_gt_i16_sdwa s[46:47], v15, s83 src0_sel:BYTE_0 src1_sel:DWORD
	s_mov_b64 s[44:45], 0
	s_and_saveexec_b64 vcc, s[46:47]
	s_xor_b64 s[46:47], exec, vcc
	s_cbranch_execz .LBB6_14326
; %bb.14134:                            ;   in Loop: Header=BB6_13634 Depth=3
	v_cmp_eq_u16_sdwa s[54:55], v15, s82 src0_sel:BYTE_0 src1_sel:DWORD
	s_mov_b64 s[44:45], -1
	s_and_saveexec_b64 vcc, s[54:55]
; %bb.14135:                            ;   in Loop: Header=BB6_13634 Depth=3
	s_xor_b64 s[44:45], exec, -1
; %bb.14136:                            ;   in Loop: Header=BB6_13634 Depth=3
	s_or_b64 exec, exec, vcc
	s_and_b64 s[44:45], s[44:45], exec
	s_or_saveexec_b64 s[46:47], s[46:47]
	v_bfrev_b32_e32 v3, 1
	s_xor_b64 exec, exec, s[46:47]
	s_cbranch_execnz .LBB6_14327
.LBB6_14137:                            ;   in Loop: Header=BB6_13634 Depth=3
	s_or_b64 exec, exec, s[46:47]
	s_and_saveexec_b64 s[46:47], s[44:45]
.LBB6_14138:                            ;   in Loop: Header=BB6_13634 Depth=3
	v_mov_b32_e32 v3, 0x7f800001
	v_cndmask_b32_e64 v3, v0, v3, s[40:41]
.LBB6_14139:                            ;   in Loop: Header=BB6_13634 Depth=3
	s_or_b64 exec, exec, s[46:47]
	v_max_f32_e32 v3, v3, v3
	v_max_f32_e32 v1, v1, v1
	;; [unrolled: 1-line block ×3, first 2 shown]
	s_mov_b64 s[44:45], 0
.LBB6_14140:                            ;   in Loop: Header=BB6_13634 Depth=3
	s_and_b64 vcc, exec, s[44:45]
	s_cbranch_vccz .LBB6_14154
; %bb.14141:                            ;   in Loop: Header=BB6_13634 Depth=3
	v_mov_b32_e32 v1, 0
	s_and_saveexec_b64 s[44:45], s[42:43]
	s_cbranch_execz .LBB6_14147
; %bb.14142:                            ;   in Loop: Header=BB6_13634 Depth=3
	v_cmp_ne_u16_sdwa s[46:47], v11, s82 src0_sel:BYTE_0 src1_sel:DWORD
	v_bfrev_b32_e32 v1, 1
	s_and_saveexec_b64 s[42:43], s[46:47]
	s_cbranch_execz .LBB6_14146
; %bb.14143:                            ;   in Loop: Header=BB6_13634 Depth=3
	v_and_b32_e32 v3, 0x7f, v11
	v_cmp_ne_u32_e32 vcc, s83, v3
	v_mov_b32_e32 v1, 0x7f800001
	s_and_saveexec_b64 s[46:47], vcc
	s_cbranch_execz .LBB6_14145
; %bb.14144:                            ;   in Loop: Header=BB6_13634 Depth=3
	v_and_b32_e32 v1, 7, v11
	v_ffbh_u32_e32 v1, v1
	v_min_u32_e32 v1, 32, v1
	v_lshrrev_b32_e32 v6, 3, v3
	v_cmp_gt_u32_e32 vcc, 8, v3
	v_subrev_u32_e32 v3, 28, v1
	v_sub_u32_e32 v1, 29, v1
	v_cndmask_b32_e32 v3, 0, v3, vcc
	v_cndmask_b32_e32 v1, v6, v1, vcc
	v_lshlrev_b64 v[6:7], v3, v[52:53]
	v_bfrev_b32_e32 v7, 60
	v_lshlrev_b32_e32 v3, 20, v6
	v_lshlrev_b32_e32 v6, 24, v52
	v_and_b32_e32 v3, 0x700000, v3
	v_and_b32_e32 v6, 0x80000000, v6
	v_lshl_add_u32 v1, v1, 23, v7
	v_or3_b32 v1, v6, v1, v3
.LBB6_14145:                            ;   in Loop: Header=BB6_13634 Depth=3
	s_or_b64 exec, exec, s[46:47]
.LBB6_14146:                            ;   in Loop: Header=BB6_13634 Depth=3
	s_or_b64 exec, exec, s[42:43]
.LBB6_14147:                            ;   in Loop: Header=BB6_13634 Depth=3
	s_or_b64 exec, exec, s[44:45]
	v_cmp_gt_i16_sdwa s[44:45], v15, s83 src0_sel:BYTE_0 src1_sel:DWORD
	s_mov_b64 s[42:43], 0
	s_and_saveexec_b64 s[46:47], s[44:45]
	s_xor_b64 s[44:45], exec, s[46:47]
	s_cbranch_execz .LBB6_14328
; %bb.14148:                            ;   in Loop: Header=BB6_13634 Depth=3
	v_cmp_eq_u16_sdwa vcc, v15, s82 src0_sel:BYTE_0 src1_sel:DWORD
	s_mov_b64 s[42:43], -1
	s_and_saveexec_b64 s[46:47], vcc
; %bb.14149:                            ;   in Loop: Header=BB6_13634 Depth=3
	s_xor_b64 s[42:43], exec, -1
; %bb.14150:                            ;   in Loop: Header=BB6_13634 Depth=3
	s_or_b64 exec, exec, s[46:47]
	s_and_b64 s[42:43], s[42:43], exec
	s_or_saveexec_b64 s[44:45], s[44:45]
	v_bfrev_b32_e32 v3, 1
	s_xor_b64 exec, exec, s[44:45]
	s_cbranch_execnz .LBB6_14329
.LBB6_14151:                            ;   in Loop: Header=BB6_13634 Depth=3
	s_or_b64 exec, exec, s[44:45]
	s_and_saveexec_b64 s[44:45], s[42:43]
.LBB6_14152:                            ;   in Loop: Header=BB6_13634 Depth=3
	v_mov_b32_e32 v3, 0x7f800001
	v_cndmask_b32_e64 v3, v0, v3, s[40:41]
.LBB6_14153:                            ;   in Loop: Header=BB6_13634 Depth=3
	s_or_b64 exec, exec, s[44:45]
	v_max_f32_e32 v0, v3, v3
	v_max_f32_e32 v1, v1, v1
	v_min_f32_e32 v1, v1, v0
.LBB6_14154:                            ;   in Loop: Header=BB6_13634 Depth=3
	v_and_b32_e32 v6, 0x7f800000, v1
	v_mov_b32_e32 v7, v53
	v_cmp_ne_u64_e32 vcc, s[76:77], v[6:7]
                                        ; implicit-def: $vgpr6
	s_and_saveexec_b64 s[40:41], vcc
	s_xor_b64 s[42:43], exec, s[40:41]
	s_cbranch_execz .LBB6_14168
; %bb.14155:                            ;   in Loop: Header=BB6_13634 Depth=3
	v_and_b32_e32 v6, 0x7fffffff, v1
	v_mov_b32_e32 v7, v53
	v_cmp_gt_u64_e32 vcc, s[78:79], v[6:7]
	v_and_b32_sdwa v3, v1, s82 dst_sel:DWORD dst_unused:UNUSED_PAD src0_sel:BYTE_3 src1_sel:DWORD
                                        ; implicit-def: $vgpr6
	s_and_saveexec_b64 s[40:41], vcc
	s_xor_b64 s[44:45], exec, s[40:41]
	s_cbranch_execz .LBB6_14165
; %bb.14156:                            ;   in Loop: Header=BB6_13634 Depth=3
	v_mov_b32_e32 v6, 0
	v_cmp_ne_u32_e32 vcc, 0, v1
	s_and_saveexec_b64 s[46:47], vcc
	s_cbranch_execz .LBB6_14164
; %bb.14157:                            ;   in Loop: Header=BB6_13634 Depth=3
	v_bfe_u32 v8, v1, 23, 8
	v_and_b32_e32 v0, 0x7fffff, v1
	v_cmp_gt_u32_e64 s[40:41], s85, v8
	v_sub_u32_e32 v1, 0x79, v8
	v_cmp_eq_u32_e32 vcc, 0, v8
	v_cndmask_b32_e64 v1, 0, v1, s[40:41]
	v_mov_b32_e32 v7, 0x78
	v_or_b32_e32 v6, 0x800000, v0
	v_cndmask_b32_e32 v9, v1, v7, vcc
	v_cndmask_b32_e32 v0, v6, v0, vcc
	v_add_u32_e32 v6, 20, v9
	v_lshlrev_b64 v[6:7], v6, -1
	v_mov_b32_e32 v1, v53
	v_add_u32_e32 v36, 19, v9
	v_bfi_b32 v6, v6, 0, v0
	v_lshlrev_b64 v[36:37], v36, 1
	v_lshrrev_b64 v[0:1], v9, v[0:1]
	v_bfi_b32 v7, v7, 0, 0
	v_cmp_eq_u64_e64 s[40:41], v[6:7], v[36:37]
	v_mov_b32_e32 v7, v1
	v_mov_b32_e32 v6, v0
	s_and_saveexec_b64 s[54:55], s[40:41]
; %bb.14158:                            ;   in Loop: Header=BB6_13634 Depth=3
	v_bfe_u32 v1, v0, 20, 1
	v_add_co_u32_e64 v1, s[40:41], v0, v1
	v_add_co_u32_e64 v6, s[40:41], -1, v1
; %bb.14159:                            ;   in Loop: Header=BB6_13634 Depth=3
	s_or_b64 exec, exec, s[54:55]
	v_add_u32_e32 v1, 0xffffff81, v8
	v_mov_b32_e32 v7, 0xffffff82
	v_cndmask_b32_e32 v1, v1, v7, vcc
	v_lshrrev_b32_e32 v7, 23, v0
	v_add3_u32 v7, v9, v1, v7
	v_add_u32_e32 v1, 6, v7
	v_and_b32_e32 v6, 0xfffff, v6
	v_add_u32_e32 v8, v6, v0
	v_mov_b32_e32 v9, v53
	v_cmp_ne_u32_e32 vcc, 0, v1
                                        ; implicit-def: $vgpr0
	s_and_saveexec_b64 s[40:41], vcc
	s_xor_b64 s[40:41], exec, s[40:41]
; %bb.14160:                            ;   in Loop: Header=BB6_13634 Depth=3
	v_cmp_lt_u64_e32 vcc, s[88:89], v[8:9]
	v_add_u32_e32 v0, 7, v7
	v_cndmask_b32_e32 v0, v1, v0, vcc
	v_cndmask_b32_e64 v1, 0, 1, vcc
	v_lshrrev_b64 v[8:9], v1, v[8:9]
; %bb.14161:                            ;   in Loop: Header=BB6_13634 Depth=3
	s_andn2_saveexec_b64 s[40:41], s[40:41]
; %bb.14162:                            ;   in Loop: Header=BB6_13634 Depth=3
	v_bfe_u32 v0, v8, 23, 1
; %bb.14163:                            ;   in Loop: Header=BB6_13634 Depth=3
	s_or_b64 exec, exec, s[40:41]
	v_lshrrev_b64 v[6:7], 20, v[8:9]
	v_cmp_gt_i32_e32 vcc, 16, v0
	v_cndmask_b32_e32 v7, 0, v7, vcc
	v_cndmask_b32_e32 v6, 7, v6, vcc
	v_cmp_eq_u32_e32 vcc, 0, v0
	v_min_i32_e32 v0, 15, v0
	v_cmp_eq_u64_e64 s[40:41], 0, v[6:7]
	v_lshlrev_b32_e32 v0, 3, v0
	v_and_b32_e32 v0, 0xf8, v0
	v_and_or_b32 v0, v6, 7, v0
	s_and_b64 s[40:41], vcc, s[40:41]
	v_cndmask_b32_e64 v0, v0, 0, s[40:41]
	v_or_b32_e32 v6, v0, v3
.LBB6_14164:                            ;   in Loop: Header=BB6_13634 Depth=3
	s_or_b64 exec, exec, s[46:47]
                                        ; implicit-def: $vgpr3
.LBB6_14165:                            ;   in Loop: Header=BB6_13634 Depth=3
	s_andn2_saveexec_b64 s[40:41], s[44:45]
; %bb.14166:                            ;   in Loop: Header=BB6_13634 Depth=3
	v_or_b32_e32 v6, 0x7e, v3
; %bb.14167:                            ;   in Loop: Header=BB6_13634 Depth=3
	s_or_b64 exec, exec, s[40:41]
                                        ; implicit-def: $vgpr1
.LBB6_14168:                            ;   in Loop: Header=BB6_13634 Depth=3
	s_andn2_saveexec_b64 s[40:41], s[42:43]
; %bb.14169:                            ;   in Loop: Header=BB6_13634 Depth=3
	v_or_b32_sdwa v6, v1, s83 dst_sel:DWORD dst_unused:UNUSED_PAD src0_sel:BYTE_3 src1_sel:DWORD
; %bb.14170:                            ;   in Loop: Header=BB6_13634 Depth=3
	s_or_b64 exec, exec, s[40:41]
	v_lshrrev_b16_e32 v2, 8, v2
	v_and_b32_e32 v7, 7, v2
	v_and_b32_e32 v0, 0x7f, v2
	v_cmp_eq_u32_e64 s[40:41], s83, v0
	v_cmp_gt_u32_e32 vcc, 8, v0
	v_ffbh_u32_e32 v0, v7
	v_min_u32_e32 v36, 32, v0
	v_mov_b32_e32 v3, v53
	v_subrev_u32_e32 v0, 28, v36
	v_lshlrev_b64 v[0:1], v0, v[2:3]
	v_bfe_u32 v9, v2, 3, 4
	v_sub_u32_e32 v1, 29, v36
	v_and_b32_e32 v0, 7, v0
	v_cndmask_b32_e32 v1, v9, v1, vcc
	v_cndmask_b32_e32 v0, v7, v0, vcc
	v_lshlrev_b32_e32 v3, 24, v2
	v_bfrev_b32_e32 v7, 60
	v_lshrrev_b16_e32 v8, 8, v52
	v_lshlrev_b32_e32 v0, 20, v0
	v_and_b32_e32 v3, 0x80000000, v3
	v_lshl_add_u32 v1, v1, 23, v7
	v_or3_b32 v0, v3, v1, v0
	v_cmp_ne_u16_e64 s[42:43], 0, v8
	s_mov_b64 s[44:45], -1
	s_and_b64 vcc, exec, s[52:53]
                                        ; implicit-def: $vgpr1
	s_cbranch_vccz .LBB6_14184
; %bb.14171:                            ;   in Loop: Header=BB6_13634 Depth=3
	v_mov_b32_e32 v1, 0
	s_and_saveexec_b64 s[44:45], s[42:43]
	s_cbranch_execz .LBB6_14177
; %bb.14172:                            ;   in Loop: Header=BB6_13634 Depth=3
	v_cmp_ne_u16_e32 vcc, s82, v8
	v_bfrev_b32_e32 v1, 1
	s_and_saveexec_b64 s[46:47], vcc
	s_cbranch_execz .LBB6_14176
; %bb.14173:                            ;   in Loop: Header=BB6_13634 Depth=3
	v_and_b32_e32 v3, 0x7f, v8
	v_cmp_ne_u32_e32 vcc, s83, v3
	v_mov_b32_e32 v1, 0x7f800001
	s_and_saveexec_b64 s[54:55], vcc
	s_cbranch_execz .LBB6_14175
; %bb.14174:                            ;   in Loop: Header=BB6_13634 Depth=3
	v_and_b32_e32 v1, 7, v8
	v_lshrrev_b32_e32 v7, 3, v3
	v_cmp_gt_u32_e32 vcc, 8, v3
	v_ffbh_u32_e32 v3, v1
	v_min_u32_e32 v3, 32, v3
	v_subrev_u32_e32 v9, 28, v3
	v_lshlrev_b64 v[36:37], v9, v[8:9]
	v_sub_u32_e32 v3, 29, v3
	v_and_b32_e32 v9, 7, v36
	v_cndmask_b32_e32 v3, v7, v3, vcc
	v_cndmask_b32_e32 v1, v1, v9, vcc
	v_lshlrev_b32_e32 v7, 16, v52
	v_bfrev_b32_e32 v9, 60
	v_lshlrev_b32_e32 v1, 20, v1
	v_and_b32_e32 v7, 0x80000000, v7
	v_lshl_add_u32 v3, v3, 23, v9
	v_or3_b32 v1, v7, v3, v1
.LBB6_14175:                            ;   in Loop: Header=BB6_13634 Depth=3
	s_or_b64 exec, exec, s[54:55]
.LBB6_14176:                            ;   in Loop: Header=BB6_13634 Depth=3
	s_or_b64 exec, exec, s[46:47]
.LBB6_14177:                            ;   in Loop: Header=BB6_13634 Depth=3
	s_or_b64 exec, exec, s[44:45]
	v_cmp_lt_i16_e32 vcc, s83, v2
	s_mov_b64 s[44:45], 0
	s_and_saveexec_b64 s[46:47], vcc
	s_xor_b64 s[46:47], exec, s[46:47]
	s_cbranch_execz .LBB6_14330
; %bb.14178:                            ;   in Loop: Header=BB6_13634 Depth=3
	v_cmp_eq_u16_e32 vcc, s82, v2
	s_mov_b64 s[44:45], -1
	s_and_saveexec_b64 s[54:55], vcc
; %bb.14179:                            ;   in Loop: Header=BB6_13634 Depth=3
	s_xor_b64 s[44:45], exec, -1
; %bb.14180:                            ;   in Loop: Header=BB6_13634 Depth=3
	s_or_b64 exec, exec, s[54:55]
	s_and_b64 s[44:45], s[44:45], exec
	s_or_saveexec_b64 s[46:47], s[46:47]
	v_bfrev_b32_e32 v3, 1
	s_xor_b64 exec, exec, s[46:47]
	s_cbranch_execnz .LBB6_14331
.LBB6_14181:                            ;   in Loop: Header=BB6_13634 Depth=3
	s_or_b64 exec, exec, s[46:47]
	s_and_saveexec_b64 s[46:47], s[44:45]
.LBB6_14182:                            ;   in Loop: Header=BB6_13634 Depth=3
	v_mov_b32_e32 v3, 0x7f800001
	v_cndmask_b32_e64 v3, v0, v3, s[40:41]
.LBB6_14183:                            ;   in Loop: Header=BB6_13634 Depth=3
	s_or_b64 exec, exec, s[46:47]
	v_max_f32_e32 v3, v3, v3
	v_max_f32_e32 v1, v1, v1
	;; [unrolled: 1-line block ×3, first 2 shown]
	s_mov_b64 s[44:45], 0
.LBB6_14184:                            ;   in Loop: Header=BB6_13634 Depth=3
	s_and_b64 vcc, exec, s[44:45]
	s_cbranch_vccz .LBB6_14198
; %bb.14185:                            ;   in Loop: Header=BB6_13634 Depth=3
	v_mov_b32_e32 v1, 0
	s_and_saveexec_b64 s[44:45], s[42:43]
	s_cbranch_execz .LBB6_14191
; %bb.14186:                            ;   in Loop: Header=BB6_13634 Depth=3
	v_cmp_ne_u16_e32 vcc, s82, v8
	v_bfrev_b32_e32 v1, 1
	s_and_saveexec_b64 s[42:43], vcc
	s_cbranch_execz .LBB6_14190
; %bb.14187:                            ;   in Loop: Header=BB6_13634 Depth=3
	v_and_b32_e32 v3, 0x7f, v8
	v_cmp_ne_u32_e32 vcc, s83, v3
	v_mov_b32_e32 v1, 0x7f800001
	s_and_saveexec_b64 s[46:47], vcc
	s_cbranch_execz .LBB6_14189
; %bb.14188:                            ;   in Loop: Header=BB6_13634 Depth=3
	v_and_b32_e32 v1, 7, v8
	v_lshrrev_b32_e32 v9, 3, v3
	v_cmp_gt_u32_e32 vcc, 8, v3
	v_ffbh_u32_e32 v3, v1
	v_min_u32_e32 v3, 32, v3
	v_subrev_u32_e32 v7, 28, v3
	v_lshlrev_b64 v[7:8], v7, v[8:9]
	v_sub_u32_e32 v3, 29, v3
	v_and_b32_e32 v7, 7, v7
	v_cndmask_b32_e32 v3, v9, v3, vcc
	v_cndmask_b32_e32 v1, v1, v7, vcc
	v_lshlrev_b32_e32 v7, 16, v52
	v_bfrev_b32_e32 v8, 60
	v_lshlrev_b32_e32 v1, 20, v1
	v_and_b32_e32 v7, 0x80000000, v7
	v_lshl_add_u32 v3, v3, 23, v8
	v_or3_b32 v1, v7, v3, v1
.LBB6_14189:                            ;   in Loop: Header=BB6_13634 Depth=3
	s_or_b64 exec, exec, s[46:47]
.LBB6_14190:                            ;   in Loop: Header=BB6_13634 Depth=3
	s_or_b64 exec, exec, s[42:43]
.LBB6_14191:                            ;   in Loop: Header=BB6_13634 Depth=3
	s_or_b64 exec, exec, s[44:45]
	v_cmp_lt_i16_e32 vcc, s83, v2
	s_mov_b64 s[42:43], 0
	s_and_saveexec_b64 s[44:45], vcc
	s_xor_b64 s[44:45], exec, s[44:45]
	s_cbranch_execz .LBB6_14332
; %bb.14192:                            ;   in Loop: Header=BB6_13634 Depth=3
	v_cmp_eq_u16_e32 vcc, s82, v2
	s_mov_b64 s[42:43], -1
	s_and_saveexec_b64 s[46:47], vcc
; %bb.14193:                            ;   in Loop: Header=BB6_13634 Depth=3
	s_xor_b64 s[42:43], exec, -1
; %bb.14194:                            ;   in Loop: Header=BB6_13634 Depth=3
	s_or_b64 exec, exec, s[46:47]
	s_and_b64 s[42:43], s[42:43], exec
                                        ; implicit-def: $vgpr2
	s_or_saveexec_b64 s[44:45], s[44:45]
	v_bfrev_b32_e32 v3, 1
	s_xor_b64 exec, exec, s[44:45]
	s_cbranch_execnz .LBB6_14333
.LBB6_14195:                            ;   in Loop: Header=BB6_13634 Depth=3
	s_or_b64 exec, exec, s[44:45]
	s_and_saveexec_b64 s[44:45], s[42:43]
.LBB6_14196:                            ;   in Loop: Header=BB6_13634 Depth=3
	v_mov_b32_e32 v2, 0x7f800001
	v_cndmask_b32_e64 v3, v0, v2, s[40:41]
.LBB6_14197:                            ;   in Loop: Header=BB6_13634 Depth=3
	s_or_b64 exec, exec, s[44:45]
	v_max_f32_e32 v0, v3, v3
	v_max_f32_e32 v1, v1, v1
	v_min_f32_e32 v1, v1, v0
.LBB6_14198:                            ;   in Loop: Header=BB6_13634 Depth=3
	v_and_b32_e32 v52, 0x7f800000, v1
	v_cmp_ne_u64_e32 vcc, s[76:77], v[52:53]
                                        ; implicit-def: $vgpr3
	s_and_saveexec_b64 s[40:41], vcc
	s_xor_b64 s[42:43], exec, s[40:41]
	s_cbranch_execz .LBB6_14212
; %bb.14199:                            ;   in Loop: Header=BB6_13634 Depth=3
	v_and_b32_e32 v52, 0x7fffffff, v1
	v_cmp_gt_u64_e32 vcc, s[78:79], v[52:53]
	v_and_b32_sdwa v7, v1, s82 dst_sel:DWORD dst_unused:UNUSED_PAD src0_sel:BYTE_3 src1_sel:DWORD
                                        ; implicit-def: $vgpr3
	s_and_saveexec_b64 s[40:41], vcc
	s_xor_b64 s[44:45], exec, s[40:41]
	s_cbranch_execz .LBB6_14209
; %bb.14200:                            ;   in Loop: Header=BB6_13634 Depth=3
	v_mov_b32_e32 v3, 0
	v_cmp_ne_u32_e32 vcc, 0, v1
	s_and_saveexec_b64 s[46:47], vcc
	s_cbranch_execz .LBB6_14208
; %bb.14201:                            ;   in Loop: Header=BB6_13634 Depth=3
	v_bfe_u32 v3, v1, 23, 8
	v_and_b32_e32 v0, 0x7fffff, v1
	v_cmp_gt_u32_e64 s[40:41], s85, v3
	v_sub_u32_e32 v1, 0x79, v3
	v_cmp_eq_u32_e32 vcc, 0, v3
	v_cndmask_b32_e64 v1, 0, v1, s[40:41]
	v_mov_b32_e32 v8, 0x78
	v_or_b32_e32 v2, 0x800000, v0
	v_cndmask_b32_e32 v8, v1, v8, vcc
	v_cndmask_b32_e32 v52, v2, v0, vcc
	v_add_u32_e32 v0, 20, v8
	v_lshlrev_b64 v[0:1], v0, -1
	v_add_u32_e32 v2, 19, v8
	v_lshlrev_b64 v[36:37], v2, 1
	v_bfi_b32 v1, v1, 0, 0
	v_bfi_b32 v0, v0, 0, v52
	v_cmp_eq_u64_e64 s[40:41], v[0:1], v[36:37]
	v_lshrrev_b64 v[0:1], v8, v[52:53]
	v_mov_b32_e32 v2, v1
	v_mov_b32_e32 v1, v0
	s_and_saveexec_b64 s[54:55], s[40:41]
; %bb.14202:                            ;   in Loop: Header=BB6_13634 Depth=3
	v_bfe_u32 v1, v0, 20, 1
	v_add_co_u32_e64 v1, s[40:41], v0, v1
	v_add_co_u32_e64 v1, s[40:41], -1, v1
; %bb.14203:                            ;   in Loop: Header=BB6_13634 Depth=3
	s_or_b64 exec, exec, s[54:55]
	v_add_u32_e32 v2, 0xffffff81, v3
	v_mov_b32_e32 v3, 0xffffff82
	v_cndmask_b32_e32 v2, v2, v3, vcc
	v_lshrrev_b32_e32 v3, 23, v0
	v_add3_u32 v8, v8, v2, v3
	v_add_u32_e32 v3, 6, v8
	v_and_b32_e32 v1, 0xfffff, v1
	v_add_u32_e32 v52, v1, v0
	v_cmp_ne_u32_e32 vcc, 0, v3
                                        ; implicit-def: $vgpr0_vgpr1
                                        ; implicit-def: $vgpr2
	s_and_saveexec_b64 s[40:41], vcc
	s_xor_b64 s[40:41], exec, s[40:41]
; %bb.14204:                            ;   in Loop: Header=BB6_13634 Depth=3
	v_cmp_lt_u64_e32 vcc, s[88:89], v[52:53]
	v_add_u32_e32 v0, 7, v8
	v_cndmask_b32_e32 v2, v3, v0, vcc
	v_cndmask_b32_e64 v0, 0, 1, vcc
	v_lshrrev_b64 v[0:1], v0, v[52:53]
; %bb.14205:                            ;   in Loop: Header=BB6_13634 Depth=3
	s_andn2_saveexec_b64 s[40:41], s[40:41]
; %bb.14206:                            ;   in Loop: Header=BB6_13634 Depth=3
	v_mov_b32_e32 v0, v52
	v_bfe_u32 v2, v52, 23, 1
	v_mov_b32_e32 v1, v53
; %bb.14207:                            ;   in Loop: Header=BB6_13634 Depth=3
	s_or_b64 exec, exec, s[40:41]
	v_lshrrev_b64 v[0:1], 20, v[0:1]
	v_cmp_gt_i32_e32 vcc, 16, v2
	v_cndmask_b32_e32 v1, 0, v1, vcc
	v_cndmask_b32_e32 v0, 7, v0, vcc
	v_cmp_eq_u64_e64 s[40:41], 0, v[0:1]
	v_min_i32_e32 v1, 15, v2
	v_lshlrev_b32_e32 v1, 3, v1
	v_cmp_eq_u32_e32 vcc, 0, v2
	v_and_b32_e32 v1, 0xf8, v1
	v_and_or_b32 v0, v0, 7, v1
	s_and_b64 s[40:41], vcc, s[40:41]
	v_cndmask_b32_e64 v0, v0, 0, s[40:41]
	v_or_b32_e32 v3, v0, v7
.LBB6_14208:                            ;   in Loop: Header=BB6_13634 Depth=3
	s_or_b64 exec, exec, s[46:47]
                                        ; implicit-def: $vgpr7
.LBB6_14209:                            ;   in Loop: Header=BB6_13634 Depth=3
	s_andn2_saveexec_b64 s[40:41], s[44:45]
; %bb.14210:                            ;   in Loop: Header=BB6_13634 Depth=3
	v_or_b32_e32 v3, 0x7e, v7
; %bb.14211:                            ;   in Loop: Header=BB6_13634 Depth=3
	s_or_b64 exec, exec, s[40:41]
                                        ; implicit-def: $vgpr1
.LBB6_14212:                            ;   in Loop: Header=BB6_13634 Depth=3
	s_andn2_saveexec_b64 s[40:41], s[42:43]
; %bb.14213:                            ;   in Loop: Header=BB6_13634 Depth=3
	v_or_b32_sdwa v3, v1, s83 dst_sel:DWORD dst_unused:UNUSED_PAD src0_sel:BYTE_3 src1_sel:DWORD
; %bb.14214:                            ;   in Loop: Header=BB6_13634 Depth=3
	s_or_b64 exec, exec, s[40:41]
	v_bfe_u32 v7, v15, 16, 3
	v_bfe_u32 v1, v15, 16, 7
	v_cmp_eq_u32_e64 s[40:41], s83, v1
	v_cmp_gt_u32_e32 vcc, 8, v1
	v_ffbh_u32_e32 v1, v7
	v_min_u32_e32 v9, 32, v1
	v_lshrrev_b32_e32 v0, 16, v15
	v_subrev_u32_e32 v1, 28, v9
	v_lshlrev_b64 v[1:2], v1, v[0:1]
	v_bfe_u32 v8, v0, 3, 4
	v_sub_u32_e32 v2, 29, v9
	v_and_b32_e32 v1, 7, v1
	v_cndmask_b32_e32 v2, v8, v2, vcc
	v_cndmask_b32_e32 v1, v7, v1, vcc
	v_lshlrev_b32_e32 v7, 8, v15
	v_bfrev_b32_e32 v8, 60
	v_lshlrev_b32_e32 v1, 20, v1
	v_and_b32_e32 v7, 0x80000000, v7
	v_lshl_add_u32 v2, v2, 23, v8
	v_or3_b32 v1, v7, v2, v1
	v_lshrrev_b32_e32 v2, 16, v11
	v_cmp_ne_u16_sdwa s[42:43], v2, v53 src0_sel:BYTE_0 src1_sel:DWORD
	s_mov_b64 s[44:45], -1
	s_and_b64 vcc, exec, s[52:53]
                                        ; implicit-def: $vgpr9
	s_cbranch_vccz .LBB6_14228
; %bb.14215:                            ;   in Loop: Header=BB6_13634 Depth=3
	v_mov_b32_e32 v7, 0
	s_and_saveexec_b64 s[44:45], s[42:43]
	s_cbranch_execz .LBB6_14221
; %bb.14216:                            ;   in Loop: Header=BB6_13634 Depth=3
	v_cmp_ne_u16_sdwa vcc, v2, s82 src0_sel:BYTE_0 src1_sel:DWORD
	v_bfrev_b32_e32 v7, 1
	s_and_saveexec_b64 s[46:47], vcc
	s_cbranch_execz .LBB6_14220
; %bb.14217:                            ;   in Loop: Header=BB6_13634 Depth=3
	v_bfe_u32 v8, v11, 16, 7
	v_cmp_ne_u32_e32 vcc, s83, v8
	v_mov_b32_e32 v7, 0x7f800001
	s_and_saveexec_b64 s[54:55], vcc
	s_cbranch_execz .LBB6_14219
; %bb.14218:                            ;   in Loop: Header=BB6_13634 Depth=3
	v_and_b32_e32 v9, 7, v2
	v_ffbh_u32_e32 v7, v9
	v_min_u32_e32 v37, 32, v7
	v_subrev_u32_e32 v7, 28, v37
	v_lshrrev_b32_e32 v36, 3, v8
	v_cmp_gt_u32_e32 vcc, 8, v8
	v_lshlrev_b64 v[7:8], v7, v[2:3]
	v_sub_u32_e32 v8, 29, v37
	v_and_b32_e32 v7, 7, v7
	v_cndmask_b32_e32 v8, v36, v8, vcc
	v_cndmask_b32_e32 v7, v9, v7, vcc
	v_lshlrev_b32_e32 v9, 24, v2
	v_bfrev_b32_e32 v36, 60
	v_lshlrev_b32_e32 v7, 20, v7
	v_and_b32_e32 v9, 0x80000000, v9
	v_lshl_add_u32 v8, v8, 23, v36
	v_or3_b32 v7, v9, v8, v7
.LBB6_14219:                            ;   in Loop: Header=BB6_13634 Depth=3
	s_or_b64 exec, exec, s[54:55]
.LBB6_14220:                            ;   in Loop: Header=BB6_13634 Depth=3
	s_or_b64 exec, exec, s[46:47]
.LBB6_14221:                            ;   in Loop: Header=BB6_13634 Depth=3
	s_or_b64 exec, exec, s[44:45]
	v_cmp_gt_i16_sdwa s[46:47], v0, s83 src0_sel:BYTE_0 src1_sel:DWORD
	s_mov_b64 s[44:45], 0
	s_and_saveexec_b64 vcc, s[46:47]
	s_xor_b64 s[46:47], exec, vcc
	s_cbranch_execz .LBB6_14334
; %bb.14222:                            ;   in Loop: Header=BB6_13634 Depth=3
	v_cmp_eq_u16_sdwa s[54:55], v0, s82 src0_sel:BYTE_0 src1_sel:DWORD
	s_mov_b64 s[44:45], -1
	s_and_saveexec_b64 vcc, s[54:55]
; %bb.14223:                            ;   in Loop: Header=BB6_13634 Depth=3
	s_xor_b64 s[44:45], exec, -1
; %bb.14224:                            ;   in Loop: Header=BB6_13634 Depth=3
	s_or_b64 exec, exec, vcc
	s_and_b64 s[44:45], s[44:45], exec
	s_or_saveexec_b64 s[46:47], s[46:47]
	v_bfrev_b32_e32 v8, 1
	s_xor_b64 exec, exec, s[46:47]
	s_cbranch_execnz .LBB6_14335
.LBB6_14225:                            ;   in Loop: Header=BB6_13634 Depth=3
	s_or_b64 exec, exec, s[46:47]
	s_and_saveexec_b64 s[46:47], s[44:45]
.LBB6_14226:                            ;   in Loop: Header=BB6_13634 Depth=3
	v_mov_b32_e32 v8, 0x7f800001
	v_cndmask_b32_e64 v8, v1, v8, s[40:41]
.LBB6_14227:                            ;   in Loop: Header=BB6_13634 Depth=3
	s_or_b64 exec, exec, s[46:47]
	v_max_f32_e32 v8, v8, v8
	v_max_f32_e32 v7, v7, v7
	;; [unrolled: 1-line block ×3, first 2 shown]
	s_mov_b64 s[44:45], 0
.LBB6_14228:                            ;   in Loop: Header=BB6_13634 Depth=3
	s_and_b64 vcc, exec, s[44:45]
	s_cbranch_vccz .LBB6_14242
; %bb.14229:                            ;   in Loop: Header=BB6_13634 Depth=3
	v_mov_b32_e32 v7, 0
	s_and_saveexec_b64 s[44:45], s[42:43]
	s_cbranch_execz .LBB6_14235
; %bb.14230:                            ;   in Loop: Header=BB6_13634 Depth=3
	v_cmp_ne_u16_sdwa s[46:47], v2, s82 src0_sel:BYTE_0 src1_sel:DWORD
	v_bfrev_b32_e32 v7, 1
	s_and_saveexec_b64 s[42:43], s[46:47]
	s_cbranch_execz .LBB6_14234
; %bb.14231:                            ;   in Loop: Header=BB6_13634 Depth=3
	v_bfe_u32 v8, v11, 16, 7
	v_cmp_ne_u32_e32 vcc, s83, v8
	v_mov_b32_e32 v7, 0x7f800001
	s_and_saveexec_b64 s[46:47], vcc
	s_cbranch_execz .LBB6_14233
; %bb.14232:                            ;   in Loop: Header=BB6_13634 Depth=3
	v_and_b32_e32 v9, 7, v2
	v_ffbh_u32_e32 v7, v9
	v_min_u32_e32 v37, 32, v7
	v_subrev_u32_e32 v7, 28, v37
	v_lshrrev_b32_e32 v36, 3, v8
	v_cmp_gt_u32_e32 vcc, 8, v8
	v_lshlrev_b64 v[7:8], v7, v[2:3]
	v_sub_u32_e32 v8, 29, v37
	v_and_b32_e32 v7, 7, v7
	v_cndmask_b32_e32 v8, v36, v8, vcc
	v_cndmask_b32_e32 v7, v9, v7, vcc
	v_lshlrev_b32_e32 v2, 24, v2
	v_bfrev_b32_e32 v9, 60
	v_lshlrev_b32_e32 v7, 20, v7
	v_and_b32_e32 v2, 0x80000000, v2
	v_lshl_add_u32 v8, v8, 23, v9
	v_or3_b32 v7, v2, v8, v7
.LBB6_14233:                            ;   in Loop: Header=BB6_13634 Depth=3
	s_or_b64 exec, exec, s[46:47]
.LBB6_14234:                            ;   in Loop: Header=BB6_13634 Depth=3
	s_or_b64 exec, exec, s[42:43]
.LBB6_14235:                            ;   in Loop: Header=BB6_13634 Depth=3
	s_or_b64 exec, exec, s[44:45]
	v_cmp_gt_i16_sdwa s[44:45], v0, s83 src0_sel:BYTE_0 src1_sel:DWORD
	s_mov_b64 s[42:43], 0
	s_and_saveexec_b64 s[46:47], s[44:45]
	s_xor_b64 s[44:45], exec, s[46:47]
	s_cbranch_execz .LBB6_14336
; %bb.14236:                            ;   in Loop: Header=BB6_13634 Depth=3
	v_cmp_eq_u16_sdwa vcc, v0, s82 src0_sel:BYTE_0 src1_sel:DWORD
	s_mov_b64 s[42:43], -1
	s_and_saveexec_b64 s[46:47], vcc
; %bb.14237:                            ;   in Loop: Header=BB6_13634 Depth=3
	s_xor_b64 s[42:43], exec, -1
; %bb.14238:                            ;   in Loop: Header=BB6_13634 Depth=3
	s_or_b64 exec, exec, s[46:47]
	s_and_b64 s[42:43], s[42:43], exec
                                        ; implicit-def: $vgpr0
	s_or_saveexec_b64 s[44:45], s[44:45]
	v_bfrev_b32_e32 v2, 1
	s_xor_b64 exec, exec, s[44:45]
	s_cbranch_execnz .LBB6_14337
.LBB6_14239:                            ;   in Loop: Header=BB6_13634 Depth=3
	s_or_b64 exec, exec, s[44:45]
	s_and_saveexec_b64 s[44:45], s[42:43]
.LBB6_14240:                            ;   in Loop: Header=BB6_13634 Depth=3
	v_mov_b32_e32 v0, 0x7f800001
	v_cndmask_b32_e64 v2, v1, v0, s[40:41]
.LBB6_14241:                            ;   in Loop: Header=BB6_13634 Depth=3
	s_or_b64 exec, exec, s[44:45]
	v_max_f32_e32 v0, v2, v2
	v_max_f32_e32 v1, v7, v7
	v_min_f32_e32 v9, v1, v0
.LBB6_14242:                            ;   in Loop: Header=BB6_13634 Depth=3
	v_and_b32_e32 v52, 0x7f800000, v9
	v_cmp_ne_u64_e32 vcc, s[76:77], v[52:53]
                                        ; implicit-def: $vgpr7
	s_and_saveexec_b64 s[40:41], vcc
	s_xor_b64 s[42:43], exec, s[40:41]
	s_cbranch_execz .LBB6_14256
; %bb.14243:                            ;   in Loop: Header=BB6_13634 Depth=3
	v_and_b32_e32 v52, 0x7fffffff, v9
	v_cmp_gt_u64_e32 vcc, s[78:79], v[52:53]
	v_and_b32_sdwa v8, v9, s82 dst_sel:DWORD dst_unused:UNUSED_PAD src0_sel:BYTE_3 src1_sel:DWORD
                                        ; implicit-def: $vgpr7
	s_and_saveexec_b64 s[40:41], vcc
	s_xor_b64 s[44:45], exec, s[40:41]
	s_cbranch_execz .LBB6_14253
; %bb.14244:                            ;   in Loop: Header=BB6_13634 Depth=3
	v_mov_b32_e32 v7, 0
	v_cmp_ne_u32_e32 vcc, 0, v9
	s_and_saveexec_b64 s[46:47], vcc
	s_cbranch_execz .LBB6_14252
; %bb.14245:                            ;   in Loop: Header=BB6_13634 Depth=3
	v_bfe_u32 v7, v9, 23, 8
	v_cmp_gt_u32_e64 s[40:41], s85, v7
	v_sub_u32_e32 v1, 0x79, v7
	v_and_b32_e32 v0, 0x7fffff, v9
	v_cmp_eq_u32_e32 vcc, 0, v7
	v_cndmask_b32_e64 v1, 0, v1, s[40:41]
	v_mov_b32_e32 v9, 0x78
	v_or_b32_e32 v2, 0x800000, v0
	v_cndmask_b32_e32 v9, v1, v9, vcc
	v_cndmask_b32_e32 v52, v2, v0, vcc
	v_add_u32_e32 v0, 20, v9
	v_lshlrev_b64 v[0:1], v0, -1
	v_add_u32_e32 v2, 19, v9
	v_lshlrev_b64 v[36:37], v2, 1
	v_bfi_b32 v1, v1, 0, 0
	v_bfi_b32 v0, v0, 0, v52
	v_cmp_eq_u64_e64 s[40:41], v[0:1], v[36:37]
	v_lshrrev_b64 v[0:1], v9, v[52:53]
	v_mov_b32_e32 v2, v1
	v_mov_b32_e32 v1, v0
	s_and_saveexec_b64 s[54:55], s[40:41]
; %bb.14246:                            ;   in Loop: Header=BB6_13634 Depth=3
	v_bfe_u32 v1, v0, 20, 1
	v_add_co_u32_e64 v1, s[40:41], v0, v1
	v_add_co_u32_e64 v1, s[40:41], -1, v1
; %bb.14247:                            ;   in Loop: Header=BB6_13634 Depth=3
	s_or_b64 exec, exec, s[54:55]
	v_add_u32_e32 v2, 0xffffff81, v7
	v_mov_b32_e32 v7, 0xffffff82
	v_cndmask_b32_e32 v2, v2, v7, vcc
	v_lshrrev_b32_e32 v7, 23, v0
	v_add3_u32 v9, v9, v2, v7
	v_add_u32_e32 v7, 6, v9
	v_and_b32_e32 v1, 0xfffff, v1
	v_add_u32_e32 v52, v1, v0
	v_cmp_ne_u32_e32 vcc, 0, v7
                                        ; implicit-def: $vgpr0_vgpr1
                                        ; implicit-def: $vgpr2
	s_and_saveexec_b64 s[40:41], vcc
	s_xor_b64 s[40:41], exec, s[40:41]
; %bb.14248:                            ;   in Loop: Header=BB6_13634 Depth=3
	v_cmp_lt_u64_e32 vcc, s[88:89], v[52:53]
	v_add_u32_e32 v0, 7, v9
	v_cndmask_b32_e32 v2, v7, v0, vcc
	v_cndmask_b32_e64 v0, 0, 1, vcc
	v_lshrrev_b64 v[0:1], v0, v[52:53]
; %bb.14249:                            ;   in Loop: Header=BB6_13634 Depth=3
	s_andn2_saveexec_b64 s[40:41], s[40:41]
; %bb.14250:                            ;   in Loop: Header=BB6_13634 Depth=3
	v_mov_b32_e32 v0, v52
	v_bfe_u32 v2, v52, 23, 1
	v_mov_b32_e32 v1, v53
; %bb.14251:                            ;   in Loop: Header=BB6_13634 Depth=3
	s_or_b64 exec, exec, s[40:41]
	v_lshrrev_b64 v[0:1], 20, v[0:1]
	v_cmp_gt_i32_e32 vcc, 16, v2
	v_cndmask_b32_e32 v1, 0, v1, vcc
	v_cndmask_b32_e32 v0, 7, v0, vcc
	v_cmp_eq_u64_e64 s[40:41], 0, v[0:1]
	v_min_i32_e32 v1, 15, v2
	v_lshlrev_b32_e32 v1, 3, v1
	v_cmp_eq_u32_e32 vcc, 0, v2
	v_and_b32_e32 v1, 0xf8, v1
	v_and_or_b32 v0, v0, 7, v1
	s_and_b64 s[40:41], vcc, s[40:41]
	v_cndmask_b32_e64 v0, v0, 0, s[40:41]
	v_or_b32_e32 v7, v0, v8
.LBB6_14252:                            ;   in Loop: Header=BB6_13634 Depth=3
	s_or_b64 exec, exec, s[46:47]
                                        ; implicit-def: $vgpr8
.LBB6_14253:                            ;   in Loop: Header=BB6_13634 Depth=3
	s_andn2_saveexec_b64 s[40:41], s[44:45]
; %bb.14254:                            ;   in Loop: Header=BB6_13634 Depth=3
	v_or_b32_e32 v7, 0x7e, v8
; %bb.14255:                            ;   in Loop: Header=BB6_13634 Depth=3
	s_or_b64 exec, exec, s[40:41]
                                        ; implicit-def: $vgpr9
.LBB6_14256:                            ;   in Loop: Header=BB6_13634 Depth=3
	s_andn2_saveexec_b64 s[40:41], s[42:43]
; %bb.14257:                            ;   in Loop: Header=BB6_13634 Depth=3
	v_or_b32_sdwa v7, v9, s83 dst_sel:DWORD dst_unused:UNUSED_PAD src0_sel:BYTE_3 src1_sel:DWORD
; %bb.14258:                            ;   in Loop: Header=BB6_13634 Depth=3
	s_or_b64 exec, exec, s[40:41]
	v_bfe_u32 v8, v15, 24, 3
	v_bfe_u32 v2, v15, 24, 7
	v_cmp_eq_u32_e64 s[44:45], s83, v2
	v_cmp_gt_u32_e32 vcc, 8, v2
	v_ffbh_u32_e32 v2, v8
	v_cmp_gt_u64_e64 s[40:41], s[60:61], v[14:15]
	v_min_u32_e32 v14, 32, v2
	v_lshrrev_b32_e32 v1, 24, v15
	v_subrev_u32_e32 v2, 28, v14
	v_bfe_u32 v9, v1, 3, 4
	v_cmp_eq_u32_e64 s[42:43], s82, v1
	v_lshlrev_b64 v[1:2], v2, v[1:2]
	v_sub_u32_e32 v2, 29, v14
	v_and_b32_e32 v1, 7, v1
	v_cndmask_b32_e32 v2, v9, v2, vcc
	v_cndmask_b32_e32 v1, v8, v1, vcc
	v_bfrev_b32_e32 v9, 60
	v_lshlrev_b32_e32 v1, 20, v1
	v_and_b32_e32 v8, 0x80000000, v15
	v_lshl_add_u32 v2, v2, 23, v9
	v_cmp_lt_u64_e64 s[46:47], s[62:63], v[10:11]
	v_lshrrev_b32_e32 v0, 24, v11
	v_or3_b32 v1, v8, v2, v1
	s_mov_b64 s[54:55], -1
	s_and_b64 vcc, exec, s[52:53]
                                        ; implicit-def: $vgpr2
	s_cbranch_vccz .LBB6_14266
; %bb.14259:                            ;   in Loop: Header=BB6_13634 Depth=3
	v_mov_b32_e32 v2, 0
	s_and_saveexec_b64 s[54:55], s[46:47]
	s_cbranch_execz .LBB6_14265
; %bb.14260:                            ;   in Loop: Header=BB6_13634 Depth=3
	v_cmp_ne_u32_e32 vcc, s82, v0
	v_bfrev_b32_e32 v2, 1
	s_and_saveexec_b64 s[64:65], vcc
	s_cbranch_execz .LBB6_14264
; %bb.14261:                            ;   in Loop: Header=BB6_13634 Depth=3
	v_bfe_u32 v8, v11, 24, 7
	v_cmp_ne_u32_e32 vcc, s83, v8
	v_mov_b32_e32 v2, 0x7f800001
	s_and_saveexec_b64 s[66:67], vcc
	s_cbranch_execz .LBB6_14263
; %bb.14262:                            ;   in Loop: Header=BB6_13634 Depth=3
	v_and_b32_e32 v2, 7, v0
	v_lshrrev_b32_e32 v10, 3, v8
	v_cmp_gt_u32_e32 vcc, 8, v8
	v_ffbh_u32_e32 v8, v2
	v_min_u32_e32 v14, 32, v8
	v_subrev_u32_e32 v8, 28, v14
	v_lshlrev_b64 v[8:9], v8, v[0:1]
	v_sub_u32_e32 v9, 29, v14
	v_and_b32_e32 v8, 7, v8
	v_cndmask_b32_e32 v9, v10, v9, vcc
	v_cndmask_b32_e32 v2, v2, v8, vcc
	v_lshlrev_b32_e32 v8, 24, v0
	v_bfrev_b32_e32 v10, 60
	v_lshlrev_b32_e32 v2, 20, v2
	v_and_b32_e32 v8, 0x80000000, v8
	v_lshl_add_u32 v9, v9, 23, v10
	v_or3_b32 v2, v8, v9, v2
.LBB6_14263:                            ;   in Loop: Header=BB6_13634 Depth=3
	s_or_b64 exec, exec, s[66:67]
.LBB6_14264:                            ;   in Loop: Header=BB6_13634 Depth=3
	s_or_b64 exec, exec, s[64:65]
.LBB6_14265:                            ;   in Loop: Header=BB6_13634 Depth=3
	s_or_b64 exec, exec, s[54:55]
	v_mov_b32_e32 v8, 0x7f800001
	v_cndmask_b32_e64 v8, v1, v8, s[44:45]
	v_bfrev_b32_e32 v9, 1
	v_cndmask_b32_e64 v8, v8, v9, s[42:43]
	v_cndmask_b32_e64 v8, v8, 0, s[40:41]
	v_max_f32_e32 v8, v8, v8
	v_max_f32_e32 v2, v2, v2
	;; [unrolled: 1-line block ×3, first 2 shown]
	s_mov_b64 s[54:55], 0
.LBB6_14266:                            ;   in Loop: Header=BB6_13634 Depth=3
	s_and_b64 vcc, exec, s[54:55]
	s_cbranch_vccz .LBB6_14274
; %bb.14267:                            ;   in Loop: Header=BB6_13634 Depth=3
	v_mov_b32_e32 v2, 0
	s_and_saveexec_b64 s[54:55], s[46:47]
	s_cbranch_execz .LBB6_14273
; %bb.14268:                            ;   in Loop: Header=BB6_13634 Depth=3
	v_cmp_ne_u32_e32 vcc, s82, v0
	v_bfrev_b32_e32 v2, 1
	s_and_saveexec_b64 s[46:47], vcc
	s_cbranch_execz .LBB6_14272
; %bb.14269:                            ;   in Loop: Header=BB6_13634 Depth=3
	v_bfe_u32 v8, v11, 24, 7
	v_cmp_ne_u32_e32 vcc, s83, v8
	v_mov_b32_e32 v2, 0x7f800001
	s_and_saveexec_b64 s[64:65], vcc
	s_cbranch_execz .LBB6_14271
; %bb.14270:                            ;   in Loop: Header=BB6_13634 Depth=3
	v_and_b32_e32 v2, 7, v0
	v_lshrrev_b32_e32 v10, 3, v8
	v_cmp_gt_u32_e32 vcc, 8, v8
	v_ffbh_u32_e32 v8, v2
	v_min_u32_e32 v11, 32, v8
	v_subrev_u32_e32 v8, 28, v11
	v_lshlrev_b64 v[8:9], v8, v[0:1]
	v_sub_u32_e32 v9, 29, v11
	v_and_b32_e32 v8, 7, v8
	v_cndmask_b32_e32 v9, v10, v9, vcc
	v_cndmask_b32_e32 v2, v2, v8, vcc
	v_lshlrev_b32_e32 v0, 24, v0
	v_bfrev_b32_e32 v8, 60
	v_lshlrev_b32_e32 v2, 20, v2
	v_and_b32_e32 v0, 0x80000000, v0
	v_lshl_add_u32 v8, v9, 23, v8
	v_or3_b32 v2, v0, v8, v2
.LBB6_14271:                            ;   in Loop: Header=BB6_13634 Depth=3
	s_or_b64 exec, exec, s[64:65]
.LBB6_14272:                            ;   in Loop: Header=BB6_13634 Depth=3
	s_or_b64 exec, exec, s[46:47]
.LBB6_14273:                            ;   in Loop: Header=BB6_13634 Depth=3
	s_or_b64 exec, exec, s[54:55]
	v_mov_b32_e32 v0, 0x7f800001
	v_cndmask_b32_e64 v0, v1, v0, s[44:45]
	v_bfrev_b32_e32 v1, 1
	v_cndmask_b32_e64 v0, v0, v1, s[42:43]
	v_cndmask_b32_e64 v0, v0, 0, s[40:41]
	v_max_f32_e32 v0, v0, v0
	v_max_f32_e32 v1, v2, v2
	v_min_f32_e32 v2, v1, v0
.LBB6_14274:                            ;   in Loop: Header=BB6_13634 Depth=3
	v_and_b32_e32 v52, 0x7f800000, v2
	v_cmp_ne_u64_e32 vcc, s[76:77], v[52:53]
                                        ; implicit-def: $vgpr0
	s_and_saveexec_b64 s[40:41], vcc
	s_xor_b64 s[42:43], exec, s[40:41]
	s_cbranch_execz .LBB6_14288
; %bb.14275:                            ;   in Loop: Header=BB6_13634 Depth=3
	v_and_b32_e32 v52, 0x7fffffff, v2
	v_cmp_gt_u64_e32 vcc, s[78:79], v[52:53]
	v_and_b32_sdwa v8, v2, s82 dst_sel:DWORD dst_unused:UNUSED_PAD src0_sel:BYTE_3 src1_sel:DWORD
                                        ; implicit-def: $vgpr0
	s_and_saveexec_b64 s[40:41], vcc
	s_xor_b64 s[44:45], exec, s[40:41]
	s_cbranch_execz .LBB6_14285
; %bb.14276:                            ;   in Loop: Header=BB6_13634 Depth=3
	v_mov_b32_e32 v0, 0
	v_cmp_ne_u32_e32 vcc, 0, v2
	s_and_saveexec_b64 s[46:47], vcc
	s_cbranch_execz .LBB6_14284
; %bb.14277:                            ;   in Loop: Header=BB6_13634 Depth=3
	v_bfe_u32 v9, v2, 23, 8
	v_cmp_gt_u32_e64 s[40:41], s85, v9
	v_sub_u32_e32 v1, 0x79, v9
	v_and_b32_e32 v0, 0x7fffff, v2
	v_cmp_eq_u32_e32 vcc, 0, v9
	v_cndmask_b32_e64 v1, 0, v1, s[40:41]
	v_mov_b32_e32 v10, 0x78
	v_or_b32_e32 v2, 0x800000, v0
	v_cndmask_b32_e32 v10, v1, v10, vcc
	v_cndmask_b32_e32 v52, v2, v0, vcc
	v_add_u32_e32 v0, 20, v10
	v_lshlrev_b64 v[0:1], v0, -1
	v_add_u32_e32 v2, 19, v10
	v_lshlrev_b64 v[14:15], v2, 1
	v_bfi_b32 v1, v1, 0, 0
	v_bfi_b32 v0, v0, 0, v52
	v_cmp_eq_u64_e64 s[40:41], v[0:1], v[14:15]
	v_lshrrev_b64 v[0:1], v10, v[52:53]
	v_mov_b32_e32 v2, v1
	v_mov_b32_e32 v1, v0
	s_and_saveexec_b64 s[54:55], s[40:41]
; %bb.14278:                            ;   in Loop: Header=BB6_13634 Depth=3
	v_bfe_u32 v1, v0, 20, 1
	v_add_co_u32_e64 v1, s[40:41], v0, v1
	v_add_co_u32_e64 v1, s[40:41], -1, v1
; %bb.14279:                            ;   in Loop: Header=BB6_13634 Depth=3
	s_or_b64 exec, exec, s[54:55]
	v_add_u32_e32 v2, 0xffffff81, v9
	v_mov_b32_e32 v9, 0xffffff82
	v_cndmask_b32_e32 v2, v2, v9, vcc
	v_lshrrev_b32_e32 v9, 23, v0
	v_add3_u32 v10, v10, v2, v9
	v_add_u32_e32 v9, 6, v10
	v_and_b32_e32 v1, 0xfffff, v1
	v_add_u32_e32 v52, v1, v0
	v_cmp_ne_u32_e32 vcc, 0, v9
                                        ; implicit-def: $vgpr0_vgpr1
                                        ; implicit-def: $vgpr2
	s_and_saveexec_b64 s[40:41], vcc
	s_xor_b64 s[40:41], exec, s[40:41]
; %bb.14280:                            ;   in Loop: Header=BB6_13634 Depth=3
	v_cmp_lt_u64_e32 vcc, s[88:89], v[52:53]
	v_add_u32_e32 v0, 7, v10
	v_cndmask_b32_e32 v2, v9, v0, vcc
	v_cndmask_b32_e64 v0, 0, 1, vcc
	v_lshrrev_b64 v[0:1], v0, v[52:53]
; %bb.14281:                            ;   in Loop: Header=BB6_13634 Depth=3
	s_andn2_saveexec_b64 s[40:41], s[40:41]
; %bb.14282:                            ;   in Loop: Header=BB6_13634 Depth=3
	v_mov_b32_e32 v0, v52
	v_bfe_u32 v2, v52, 23, 1
	v_mov_b32_e32 v1, v53
; %bb.14283:                            ;   in Loop: Header=BB6_13634 Depth=3
	s_or_b64 exec, exec, s[40:41]
	v_lshrrev_b64 v[0:1], 20, v[0:1]
	v_cmp_gt_i32_e32 vcc, 16, v2
	v_cndmask_b32_e32 v1, 0, v1, vcc
	v_cndmask_b32_e32 v0, 7, v0, vcc
	v_cmp_eq_u64_e64 s[40:41], 0, v[0:1]
	v_min_i32_e32 v1, 15, v2
	v_lshlrev_b32_e32 v1, 3, v1
	v_cmp_eq_u32_e32 vcc, 0, v2
	v_and_b32_e32 v1, 0xf8, v1
	v_and_or_b32 v0, v0, 7, v1
	s_and_b64 s[40:41], vcc, s[40:41]
	v_cndmask_b32_e64 v0, v0, 0, s[40:41]
	v_or_b32_e32 v0, v0, v8
.LBB6_14284:                            ;   in Loop: Header=BB6_13634 Depth=3
	s_or_b64 exec, exec, s[46:47]
                                        ; implicit-def: $vgpr8
.LBB6_14285:                            ;   in Loop: Header=BB6_13634 Depth=3
	s_andn2_saveexec_b64 s[40:41], s[44:45]
; %bb.14286:                            ;   in Loop: Header=BB6_13634 Depth=3
	v_or_b32_e32 v0, 0x7e, v8
; %bb.14287:                            ;   in Loop: Header=BB6_13634 Depth=3
	s_or_b64 exec, exec, s[40:41]
                                        ; implicit-def: $vgpr2
.LBB6_14288:                            ;   in Loop: Header=BB6_13634 Depth=3
	s_andn2_saveexec_b64 s[40:41], s[42:43]
	s_cbranch_execz .LBB6_13633
; %bb.14289:                            ;   in Loop: Header=BB6_13634 Depth=3
	v_or_b32_sdwa v0, v2, s83 dst_sel:DWORD dst_unused:UNUSED_PAD src0_sel:BYTE_3 src1_sel:DWORD
	s_branch .LBB6_13633
.LBB6_14290:                            ;   in Loop: Header=BB6_13634 Depth=3
	s_or_saveexec_b64 s[46:47], s[46:47]
	v_bfrev_b32_e32 v2, 1
	s_xor_b64 exec, exec, s[46:47]
	s_cbranch_execz .LBB6_13645
.LBB6_14291:                            ;   in Loop: Header=BB6_13634 Depth=3
	v_cmp_ne_u16_sdwa vcc, v12, v53 src0_sel:BYTE_0 src1_sel:DWORD
	s_andn2_b64 s[44:45], s[44:45], exec
	s_and_b64 vcc, vcc, exec
	v_mov_b32_e32 v2, 0
	s_or_b64 s[44:45], s[44:45], vcc
	s_or_b64 exec, exec, s[46:47]
	s_and_saveexec_b64 s[46:47], s[44:45]
	s_cbranch_execnz .LBB6_13646
	s_branch .LBB6_13647
.LBB6_14292:                            ;   in Loop: Header=BB6_13634 Depth=3
	s_or_saveexec_b64 s[44:45], s[44:45]
	v_bfrev_b32_e32 v2, 1
	s_xor_b64 exec, exec, s[44:45]
	s_cbranch_execz .LBB6_13659
.LBB6_14293:                            ;   in Loop: Header=BB6_13634 Depth=3
	v_cmp_ne_u16_sdwa s[46:47], v12, v53 src0_sel:BYTE_0 src1_sel:DWORD
	s_andn2_b64 s[42:43], s[42:43], exec
	s_and_b64 s[46:47], s[46:47], exec
	v_mov_b32_e32 v2, 0
	s_or_b64 s[42:43], s[42:43], s[46:47]
	s_or_b64 exec, exec, s[44:45]
	s_and_saveexec_b64 s[44:45], s[42:43]
	s_cbranch_execnz .LBB6_13660
	s_branch .LBB6_13661
.LBB6_14294:                            ;   in Loop: Header=BB6_13634 Depth=3
	s_or_saveexec_b64 s[46:47], s[46:47]
	v_bfrev_b32_e32 v3, 1
	s_xor_b64 exec, exec, s[46:47]
	s_cbranch_execz .LBB6_13689
.LBB6_14295:                            ;   in Loop: Header=BB6_13634 Depth=3
	v_cmp_ne_u16_e32 vcc, 0, v52
	s_andn2_b64 s[44:45], s[44:45], exec
	s_and_b64 vcc, vcc, exec
	v_mov_b32_e32 v3, 0
	s_or_b64 s[44:45], s[44:45], vcc
	s_or_b64 exec, exec, s[46:47]
	s_and_saveexec_b64 s[46:47], s[44:45]
	s_cbranch_execnz .LBB6_13690
	s_branch .LBB6_13691
.LBB6_14296:                            ;   in Loop: Header=BB6_13634 Depth=3
	s_or_saveexec_b64 s[44:45], s[44:45]
	v_bfrev_b32_e32 v2, 1
	s_xor_b64 exec, exec, s[44:45]
	s_cbranch_execz .LBB6_13703
.LBB6_14297:                            ;   in Loop: Header=BB6_13634 Depth=3
	v_cmp_ne_u16_e32 vcc, 0, v52
	s_andn2_b64 s[42:43], s[42:43], exec
	s_and_b64 s[46:47], vcc, exec
	v_mov_b32_e32 v2, 0
	s_or_b64 s[42:43], s[42:43], s[46:47]
	s_or_b64 exec, exec, s[44:45]
	s_and_saveexec_b64 s[44:45], s[42:43]
	s_cbranch_execnz .LBB6_13704
	s_branch .LBB6_13705
.LBB6_14298:                            ;   in Loop: Header=BB6_13634 Depth=3
	s_or_saveexec_b64 s[46:47], s[46:47]
	v_bfrev_b32_e32 v6, 1
	s_xor_b64 exec, exec, s[46:47]
	s_cbranch_execz .LBB6_13733
.LBB6_14299:                            ;   in Loop: Header=BB6_13634 Depth=3
	v_cmp_ne_u16_sdwa vcc, v0, v53 src0_sel:BYTE_0 src1_sel:DWORD
	s_andn2_b64 s[44:45], s[44:45], exec
	s_and_b64 vcc, vcc, exec
	v_mov_b32_e32 v6, 0
	s_or_b64 s[44:45], s[44:45], vcc
	s_or_b64 exec, exec, s[46:47]
	s_and_saveexec_b64 s[46:47], s[44:45]
	s_cbranch_execnz .LBB6_13734
	s_branch .LBB6_13735
.LBB6_14300:                            ;   in Loop: Header=BB6_13634 Depth=3
	s_or_saveexec_b64 s[44:45], s[44:45]
	v_bfrev_b32_e32 v2, 1
	s_xor_b64 exec, exec, s[44:45]
	s_cbranch_execz .LBB6_13747
.LBB6_14301:                            ;   in Loop: Header=BB6_13634 Depth=3
	v_cmp_ne_u16_sdwa s[46:47], v0, v53 src0_sel:BYTE_0 src1_sel:DWORD
	s_andn2_b64 s[42:43], s[42:43], exec
	s_and_b64 s[46:47], s[46:47], exec
	v_mov_b32_e32 v2, 0
	s_or_b64 s[42:43], s[42:43], s[46:47]
	s_or_b64 exec, exec, s[44:45]
	s_and_saveexec_b64 s[44:45], s[42:43]
	s_cbranch_execnz .LBB6_13748
	s_branch .LBB6_13749
.LBB6_14302:                            ;   in Loop: Header=BB6_13634 Depth=3
	s_or_saveexec_b64 s[46:47], s[46:47]
	v_bfrev_b32_e32 v6, 1
	s_xor_b64 exec, exec, s[46:47]
	s_cbranch_execz .LBB6_13809
.LBB6_14303:                            ;   in Loop: Header=BB6_13634 Depth=3
	v_cmp_ne_u16_sdwa vcc, v13, v53 src0_sel:BYTE_0 src1_sel:DWORD
	s_andn2_b64 s[44:45], s[44:45], exec
	s_and_b64 vcc, vcc, exec
	v_mov_b32_e32 v6, 0
	s_or_b64 s[44:45], s[44:45], vcc
	s_or_b64 exec, exec, s[46:47]
	s_and_saveexec_b64 s[46:47], s[44:45]
	s_cbranch_execnz .LBB6_13810
	s_branch .LBB6_13811
.LBB6_14304:                            ;   in Loop: Header=BB6_13634 Depth=3
	s_or_saveexec_b64 s[44:45], s[44:45]
	v_bfrev_b32_e32 v3, 1
	s_xor_b64 exec, exec, s[44:45]
	s_cbranch_execz .LBB6_13823
.LBB6_14305:                            ;   in Loop: Header=BB6_13634 Depth=3
	v_cmp_ne_u16_sdwa s[46:47], v13, v53 src0_sel:BYTE_0 src1_sel:DWORD
	s_andn2_b64 s[42:43], s[42:43], exec
	s_and_b64 s[46:47], s[46:47], exec
	v_mov_b32_e32 v3, 0
	s_or_b64 s[42:43], s[42:43], s[46:47]
	s_or_b64 exec, exec, s[44:45]
	s_and_saveexec_b64 s[44:45], s[42:43]
	s_cbranch_execnz .LBB6_13824
	s_branch .LBB6_13825
.LBB6_14306:                            ;   in Loop: Header=BB6_13634 Depth=3
	s_or_saveexec_b64 s[46:47], s[46:47]
	v_bfrev_b32_e32 v6, 1
	s_xor_b64 exec, exec, s[46:47]
	s_cbranch_execz .LBB6_13853
.LBB6_14307:                            ;   in Loop: Header=BB6_13634 Depth=3
	v_cmp_ne_u16_e32 vcc, 0, v52
	s_andn2_b64 s[44:45], s[44:45], exec
	s_and_b64 vcc, vcc, exec
	v_mov_b32_e32 v6, 0
	s_or_b64 s[44:45], s[44:45], vcc
	s_or_b64 exec, exec, s[46:47]
	s_and_saveexec_b64 s[46:47], s[44:45]
	s_cbranch_execnz .LBB6_13854
	s_branch .LBB6_13855
.LBB6_14308:                            ;   in Loop: Header=BB6_13634 Depth=3
	s_or_saveexec_b64 s[44:45], s[44:45]
	v_bfrev_b32_e32 v2, 1
	s_xor_b64 exec, exec, s[44:45]
	s_cbranch_execz .LBB6_13867
.LBB6_14309:                            ;   in Loop: Header=BB6_13634 Depth=3
	v_cmp_ne_u16_e32 vcc, 0, v52
	s_andn2_b64 s[42:43], s[42:43], exec
	s_and_b64 s[46:47], vcc, exec
	v_mov_b32_e32 v2, 0
	s_or_b64 s[42:43], s[42:43], s[46:47]
	s_or_b64 exec, exec, s[44:45]
	s_and_saveexec_b64 s[44:45], s[42:43]
	s_cbranch_execnz .LBB6_13868
	s_branch .LBB6_13869
.LBB6_14310:                            ;   in Loop: Header=BB6_13634 Depth=3
	s_or_saveexec_b64 s[46:47], s[46:47]
	v_bfrev_b32_e32 v6, 1
	s_xor_b64 exec, exec, s[46:47]
	s_cbranch_execz .LBB6_13897
.LBB6_14311:                            ;   in Loop: Header=BB6_13634 Depth=3
	v_cmp_ne_u16_sdwa vcc, v0, v53 src0_sel:BYTE_0 src1_sel:DWORD
	s_andn2_b64 s[44:45], s[44:45], exec
	s_and_b64 vcc, vcc, exec
	v_mov_b32_e32 v6, 0
	s_or_b64 s[44:45], s[44:45], vcc
	s_or_b64 exec, exec, s[46:47]
	s_and_saveexec_b64 s[46:47], s[44:45]
	s_cbranch_execnz .LBB6_13898
	s_branch .LBB6_13899
.LBB6_14312:                            ;   in Loop: Header=BB6_13634 Depth=3
	s_or_saveexec_b64 s[44:45], s[44:45]
	v_bfrev_b32_e32 v2, 1
	s_xor_b64 exec, exec, s[44:45]
	s_cbranch_execz .LBB6_13911
.LBB6_14313:                            ;   in Loop: Header=BB6_13634 Depth=3
	v_cmp_ne_u16_sdwa s[46:47], v0, v53 src0_sel:BYTE_0 src1_sel:DWORD
	s_andn2_b64 s[42:43], s[42:43], exec
	s_and_b64 s[46:47], s[46:47], exec
	v_mov_b32_e32 v2, 0
	s_or_b64 s[42:43], s[42:43], s[46:47]
	s_or_b64 exec, exec, s[44:45]
	s_and_saveexec_b64 s[44:45], s[42:43]
	s_cbranch_execnz .LBB6_13912
	s_branch .LBB6_13913
.LBB6_14314:                            ;   in Loop: Header=BB6_13634 Depth=3
	s_or_saveexec_b64 s[46:47], s[46:47]
	v_bfrev_b32_e32 v2, 1
	s_xor_b64 exec, exec, s[46:47]
	s_cbranch_execz .LBB6_13973
.LBB6_14315:                            ;   in Loop: Header=BB6_13634 Depth=3
	v_cmp_ne_u16_sdwa vcc, v14, v53 src0_sel:BYTE_0 src1_sel:DWORD
	s_andn2_b64 s[44:45], s[44:45], exec
	s_and_b64 vcc, vcc, exec
	v_mov_b32_e32 v2, 0
	s_or_b64 s[44:45], s[44:45], vcc
	s_or_b64 exec, exec, s[46:47]
	s_and_saveexec_b64 s[46:47], s[44:45]
	s_cbranch_execnz .LBB6_13974
	s_branch .LBB6_13975
.LBB6_14316:                            ;   in Loop: Header=BB6_13634 Depth=3
	s_or_saveexec_b64 s[44:45], s[44:45]
	v_bfrev_b32_e32 v2, 1
	s_xor_b64 exec, exec, s[44:45]
	s_cbranch_execz .LBB6_13987
.LBB6_14317:                            ;   in Loop: Header=BB6_13634 Depth=3
	v_cmp_ne_u16_sdwa s[46:47], v14, v53 src0_sel:BYTE_0 src1_sel:DWORD
	s_andn2_b64 s[42:43], s[42:43], exec
	s_and_b64 s[46:47], s[46:47], exec
	v_mov_b32_e32 v2, 0
	s_or_b64 s[42:43], s[42:43], s[46:47]
	s_or_b64 exec, exec, s[44:45]
	s_and_saveexec_b64 s[44:45], s[42:43]
	s_cbranch_execnz .LBB6_13988
	s_branch .LBB6_13989
.LBB6_14318:                            ;   in Loop: Header=BB6_13634 Depth=3
	s_or_saveexec_b64 s[46:47], s[46:47]
	v_bfrev_b32_e32 v3, 1
	s_xor_b64 exec, exec, s[46:47]
	s_cbranch_execz .LBB6_14017
.LBB6_14319:                            ;   in Loop: Header=BB6_13634 Depth=3
	v_cmp_ne_u16_e32 vcc, 0, v52
	s_andn2_b64 s[44:45], s[44:45], exec
	s_and_b64 vcc, vcc, exec
	v_mov_b32_e32 v3, 0
	s_or_b64 s[44:45], s[44:45], vcc
	s_or_b64 exec, exec, s[46:47]
	s_and_saveexec_b64 s[46:47], s[44:45]
	s_cbranch_execnz .LBB6_14018
	s_branch .LBB6_14019
.LBB6_14320:                            ;   in Loop: Header=BB6_13634 Depth=3
	s_or_saveexec_b64 s[44:45], s[44:45]
	v_bfrev_b32_e32 v2, 1
	s_xor_b64 exec, exec, s[44:45]
	s_cbranch_execz .LBB6_14031
.LBB6_14321:                            ;   in Loop: Header=BB6_13634 Depth=3
	v_cmp_ne_u16_e32 vcc, 0, v52
	s_andn2_b64 s[42:43], s[42:43], exec
	s_and_b64 s[46:47], vcc, exec
	v_mov_b32_e32 v2, 0
	s_or_b64 s[42:43], s[42:43], s[46:47]
	s_or_b64 exec, exec, s[44:45]
	s_and_saveexec_b64 s[44:45], s[42:43]
	s_cbranch_execnz .LBB6_14032
	s_branch .LBB6_14033
.LBB6_14322:                            ;   in Loop: Header=BB6_13634 Depth=3
	s_or_saveexec_b64 s[46:47], s[46:47]
	v_bfrev_b32_e32 v6, 1
	s_xor_b64 exec, exec, s[46:47]
	s_cbranch_execz .LBB6_14061
.LBB6_14323:                            ;   in Loop: Header=BB6_13634 Depth=3
	v_cmp_ne_u16_sdwa vcc, v0, v53 src0_sel:BYTE_0 src1_sel:DWORD
	s_andn2_b64 s[44:45], s[44:45], exec
	s_and_b64 vcc, vcc, exec
	v_mov_b32_e32 v6, 0
	s_or_b64 s[44:45], s[44:45], vcc
	s_or_b64 exec, exec, s[46:47]
	s_and_saveexec_b64 s[46:47], s[44:45]
	s_cbranch_execnz .LBB6_14062
	s_branch .LBB6_14063
.LBB6_14324:                            ;   in Loop: Header=BB6_13634 Depth=3
	s_or_saveexec_b64 s[44:45], s[44:45]
	v_bfrev_b32_e32 v2, 1
	s_xor_b64 exec, exec, s[44:45]
	s_cbranch_execz .LBB6_14075
.LBB6_14325:                            ;   in Loop: Header=BB6_13634 Depth=3
	v_cmp_ne_u16_sdwa s[46:47], v0, v53 src0_sel:BYTE_0 src1_sel:DWORD
	s_andn2_b64 s[42:43], s[42:43], exec
	s_and_b64 s[46:47], s[46:47], exec
	v_mov_b32_e32 v2, 0
	s_or_b64 s[42:43], s[42:43], s[46:47]
	s_or_b64 exec, exec, s[44:45]
	s_and_saveexec_b64 s[44:45], s[42:43]
	s_cbranch_execnz .LBB6_14076
	s_branch .LBB6_14077
.LBB6_14326:                            ;   in Loop: Header=BB6_13634 Depth=3
	s_or_saveexec_b64 s[46:47], s[46:47]
	v_bfrev_b32_e32 v3, 1
	s_xor_b64 exec, exec, s[46:47]
	s_cbranch_execz .LBB6_14137
.LBB6_14327:                            ;   in Loop: Header=BB6_13634 Depth=3
	v_cmp_ne_u16_sdwa vcc, v15, v53 src0_sel:BYTE_0 src1_sel:DWORD
	s_andn2_b64 s[44:45], s[44:45], exec
	s_and_b64 vcc, vcc, exec
	v_mov_b32_e32 v3, 0
	s_or_b64 s[44:45], s[44:45], vcc
	s_or_b64 exec, exec, s[46:47]
	s_and_saveexec_b64 s[46:47], s[44:45]
	s_cbranch_execnz .LBB6_14138
	s_branch .LBB6_14139
.LBB6_14328:                            ;   in Loop: Header=BB6_13634 Depth=3
	s_or_saveexec_b64 s[44:45], s[44:45]
	v_bfrev_b32_e32 v3, 1
	s_xor_b64 exec, exec, s[44:45]
	s_cbranch_execz .LBB6_14151
.LBB6_14329:                            ;   in Loop: Header=BB6_13634 Depth=3
	v_cmp_ne_u16_sdwa s[46:47], v15, v53 src0_sel:BYTE_0 src1_sel:DWORD
	s_andn2_b64 s[42:43], s[42:43], exec
	s_and_b64 s[46:47], s[46:47], exec
	v_mov_b32_e32 v3, 0
	s_or_b64 s[42:43], s[42:43], s[46:47]
	s_or_b64 exec, exec, s[44:45]
	s_and_saveexec_b64 s[44:45], s[42:43]
	s_cbranch_execnz .LBB6_14152
	s_branch .LBB6_14153
.LBB6_14330:                            ;   in Loop: Header=BB6_13634 Depth=3
	s_or_saveexec_b64 s[46:47], s[46:47]
	v_bfrev_b32_e32 v3, 1
	s_xor_b64 exec, exec, s[46:47]
	s_cbranch_execz .LBB6_14181
.LBB6_14331:                            ;   in Loop: Header=BB6_13634 Depth=3
	v_cmp_ne_u16_e32 vcc, 0, v2
	s_andn2_b64 s[44:45], s[44:45], exec
	s_and_b64 vcc, vcc, exec
	v_mov_b32_e32 v3, 0
	s_or_b64 s[44:45], s[44:45], vcc
	s_or_b64 exec, exec, s[46:47]
	s_and_saveexec_b64 s[46:47], s[44:45]
	s_cbranch_execnz .LBB6_14182
	s_branch .LBB6_14183
.LBB6_14332:                            ;   in Loop: Header=BB6_13634 Depth=3
	s_or_saveexec_b64 s[44:45], s[44:45]
	v_bfrev_b32_e32 v3, 1
	s_xor_b64 exec, exec, s[44:45]
	s_cbranch_execz .LBB6_14195
.LBB6_14333:                            ;   in Loop: Header=BB6_13634 Depth=3
	v_cmp_ne_u16_e32 vcc, 0, v2
	s_andn2_b64 s[42:43], s[42:43], exec
	s_and_b64 s[46:47], vcc, exec
	v_mov_b32_e32 v3, 0
	s_or_b64 s[42:43], s[42:43], s[46:47]
	s_or_b64 exec, exec, s[44:45]
	s_and_saveexec_b64 s[44:45], s[42:43]
	s_cbranch_execnz .LBB6_14196
	s_branch .LBB6_14197
.LBB6_14334:                            ;   in Loop: Header=BB6_13634 Depth=3
	s_or_saveexec_b64 s[46:47], s[46:47]
	v_bfrev_b32_e32 v8, 1
	s_xor_b64 exec, exec, s[46:47]
	s_cbranch_execz .LBB6_14225
.LBB6_14335:                            ;   in Loop: Header=BB6_13634 Depth=3
	v_cmp_ne_u16_sdwa vcc, v0, v53 src0_sel:BYTE_0 src1_sel:DWORD
	s_andn2_b64 s[44:45], s[44:45], exec
	s_and_b64 vcc, vcc, exec
	v_mov_b32_e32 v8, 0
	s_or_b64 s[44:45], s[44:45], vcc
	s_or_b64 exec, exec, s[46:47]
	s_and_saveexec_b64 s[46:47], s[44:45]
	s_cbranch_execnz .LBB6_14226
	s_branch .LBB6_14227
.LBB6_14336:                            ;   in Loop: Header=BB6_13634 Depth=3
	s_or_saveexec_b64 s[44:45], s[44:45]
	v_bfrev_b32_e32 v2, 1
	s_xor_b64 exec, exec, s[44:45]
	s_cbranch_execz .LBB6_14239
.LBB6_14337:                            ;   in Loop: Header=BB6_13634 Depth=3
	v_cmp_ne_u16_sdwa s[46:47], v0, v53 src0_sel:BYTE_0 src1_sel:DWORD
	s_andn2_b64 s[42:43], s[42:43], exec
	s_and_b64 s[46:47], s[46:47], exec
	v_mov_b32_e32 v2, 0
	s_or_b64 s[42:43], s[42:43], s[46:47]
	s_or_b64 exec, exec, s[44:45]
	s_and_saveexec_b64 s[44:45], s[42:43]
	s_cbranch_execnz .LBB6_14240
	s_branch .LBB6_14241
.LBB6_14338:                            ;   in Loop: Header=BB6_5595 Depth=2
	s_or_b64 exec, exec, s[50:51]
	buffer_load_dword v5, off, s[0:3], s33 offset:340 ; 4-byte Folded Reload
	buffer_load_dword v6, off, s[0:3], s33 offset:344 ; 4-byte Folded Reload
.LBB6_14339:                            ;   in Loop: Header=BB6_5595 Depth=2
	s_or_b64 exec, exec, s[48:49]
	buffer_load_dword v0, off, s[0:3], s33 offset:320 ; 4-byte Folded Reload
	v_cmp_lt_i32_e32 vcc, 0, v26
	s_waitcnt vmcnt(0)
	v_and_b32_e32 v0, 15, v0
	v_sub_u32_e32 v1, v25, v0
	v_cndmask_b32_e64 v4, v25, v0, s[28:29]
	v_cndmask_b32_e32 v0, 0, v48, vcc
	v_cndmask_b32_e64 v1, 0, v1, s[28:29]
	v_sub_u32_e32 v0, v0, v26
	v_cmp_ne_u32_e32 vcc, 0, v4
	v_add3_u32 v3, v24, v22, v1
	v_lshl_add_u32 v2, v0, 6, v23
	s_and_b64 s[28:29], vcc, exec
.LBB6_14340:                            ;   in Loop: Header=BB6_5595 Depth=2
	s_or_b64 exec, exec, s[38:39]
	s_and_saveexec_b64 s[44:45], s[28:29]
	s_cbranch_execz .LBB6_15933
.LBB6_14341:                            ;   in Loop: Header=BB6_5595 Depth=2
	v_ashrrev_i32_e32 v0, 31, v2
	v_ashrrev_i32_e32 v1, 31, v4
	v_lshrrev_b32_e32 v0, 26, v0
	v_lshrrev_b32_e32 v1, 21, v1
	v_add_u32_e32 v0, v2, v0
	v_add_u32_e32 v1, v4, v1
	v_ashrrev_i32_e32 v7, 6, v0
	v_ashrrev_i32_e32 v1, 11, v1
	v_sub_u32_e32 v13, v1, v7
	v_cmp_lt_i32_e32 vcc, 0, v13
	s_and_saveexec_b64 s[42:43], vcc
	s_cbranch_execz .LBB6_15881
; %bb.14342:                            ;   in Loop: Header=BB6_5595 Depth=2
	v_and_b32_e32 v0, 0xffffffc0, v0
	buffer_store_dword v1, off, s[0:3], s33 offset:308 ; 4-byte Folded Spill
	buffer_store_dword v4, off, s[0:3], s33 offset:176 ; 4-byte Folded Spill
	v_sub_u32_e32 v0, v2, v0
	v_lshlrev_b32_e32 v1, 11, v7
	buffer_store_dword v2, off, s[0:3], s33 offset:292 ; 4-byte Folded Spill
	buffer_store_dword v7, off, s[0:3], s33 offset:296 ; 4-byte Folded Spill
	;; [unrolled: 1-line block ×3, first 2 shown]
	v_add3_u32 v2, v3, v0, v1
	s_trap 2
	ds_read_b64 v[0:1], v0
	v_ashrrev_i32_e32 v3, 31, v2
	v_add_co_u32_e32 v4, vcc, v2, v5
	v_addc_co_u32_e32 v5, vcc, v3, v6, vcc
	s_waitcnt lgkmcnt(0)
	v_add_co_u32_e32 v8, vcc, v0, v2
	v_addc_co_u32_e32 v9, vcc, v1, v3, vcc
	buffer_load_dword v0, off, s[0:3], s33 offset:332 ; 4-byte Folded Reload
	buffer_load_dword v1, off, s[0:3], s33 offset:336 ; 4-byte Folded Reload
	s_bitcmp1_b32 s8, 0
	s_cselect_b64 s[46:47], -1, 0
	s_mov_b64 s[38:39], 0
	s_waitcnt vmcnt(1)
	v_add_co_u32_e32 v0, vcc, 0x7c0, v0
	s_waitcnt vmcnt(0)
	v_addc_co_u32_e32 v1, vcc, 0, v1, vcc
	v_add_co_u32_e32 v10, vcc, v0, v2
	v_addc_co_u32_e32 v11, vcc, v1, v3, vcc
	s_branch .LBB6_14344
.LBB6_14343:                            ;   in Loop: Header=BB6_14344 Depth=3
	s_or_b64 exec, exec, s[28:29]
	v_add_co_u32_e32 v27, vcc, 0xfffff840, v10
	v_addc_co_u32_e32 v28, vcc, -1, v11, vcc
	flat_store_byte v[27:28], v39 glc slc
	v_add_co_u32_e32 v27, vcc, 0xfffff880, v10
	v_addc_co_u32_e32 v28, vcc, -1, v11, vcc
	flat_store_byte v[27:28], v37 glc slc
	;; [unrolled: 3-line block ×14, first 2 shown]
	v_add_co_u32_e32 v27, vcc, 0xfffffbc0, v10
	v_addc_co_u32_e32 v28, vcc, -1, v11, vcc
	v_add_co_u32_e32 v2, vcc, s70, v10
	flat_store_byte v[27:28], v3 glc slc
	v_addc_co_u32_e32 v3, vcc, -1, v11, vcc
	flat_store_byte v[2:3], v58 glc slc
	v_add_co_u32_e32 v2, vcc, 0xfffffc40, v10
	v_addc_co_u32_e32 v3, vcc, -1, v11, vcc
	flat_store_byte v[2:3], v6 glc slc
	v_add_co_u32_e32 v2, vcc, 0xfffffc80, v10
	;; [unrolled: 3-line block ×15, first 2 shown]
	v_addc_co_u32_e32 v3, vcc, -1, v11, vcc
	flat_store_byte v[2:3], v24 glc slc
	flat_store_byte v[10:11], v1 glc slc
	buffer_load_dword v0, off, s[0:3], s33 offset:184 ; 4-byte Folded Reload
	s_waitcnt vmcnt(0)
	v_sub_u32_e32 v13, v13, v48
	v_add_co_u32_e32 v4, vcc, v4, v0
	v_addc_co_u32_e32 v5, vcc, 0, v5, vcc
	v_add_co_u32_e32 v8, vcc, v8, v0
	v_addc_co_u32_e32 v9, vcc, 0, v9, vcc
	v_cmp_gt_i32_e32 vcc, 1, v13
	s_or_b64 s[38:39], vcc, s[38:39]
	v_add_co_u32_e32 v10, vcc, v10, v0
	v_addc_co_u32_e32 v11, vcc, 0, v11, vcc
	s_andn2_b64 exec, exec, s[38:39]
	s_cbranch_execz .LBB6_15880
.LBB6_14344:                            ;   Parent Loop BB6_47 Depth=1
                                        ;     Parent Loop BB6_5595 Depth=2
                                        ; =>    This Inner Loop Header: Depth=3
	flat_load_ubyte v2, v[4:5] glc slc
	flat_load_ubyte v31, v[4:5] offset:64 glc slc
	flat_load_ubyte v28, v[4:5] offset:128 glc slc
	;; [unrolled: 1-line block ×14, first 2 shown]
	s_mov_b64 s[40:41], -1
	s_and_b64 vcc, exec, s[46:47]
	s_waitcnt vmcnt(0) lgkmcnt(0)
	v_cmp_ne_u16_e64 s[28:29], 0, v2
	buffer_store_dword v0, off, s[0:3], s33 offset:168 ; 4-byte Folded Spill
	flat_load_ubyte v56, v[4:5] offset:960 glc slc
	flat_load_ubyte v17, v[4:5] offset:1024 glc slc
	;; [unrolled: 1-line block ×6, first 2 shown]
	s_waitcnt vmcnt(0) lgkmcnt(0)
	buffer_store_dword v0, off, s[0:3], s33 offset:104 ; 4-byte Folded Spill
	flat_load_ubyte v0, v[4:5] offset:1344 glc slc
	s_waitcnt vmcnt(0) lgkmcnt(0)
	buffer_store_dword v0, off, s[0:3], s33 offset:156 ; 4-byte Folded Spill
	flat_load_ubyte v0, v[4:5] offset:1408 glc slc
	;; [unrolled: 3-line block ×6, first 2 shown]
	s_nop 0
	flat_load_ubyte v0, v[4:5] offset:1728 glc slc
	s_waitcnt vmcnt(0) lgkmcnt(0)
	buffer_store_dword v0, off, s[0:3], s33 offset:132 ; 4-byte Folded Spill
	flat_load_ubyte v0, v[4:5] offset:1792 glc slc
	s_waitcnt vmcnt(0) lgkmcnt(0)
	buffer_store_dword v0, off, s[0:3], s33 offset:124 ; 4-byte Folded Spill
	;; [unrolled: 3-line block ×4, first 2 shown]
	flat_load_ubyte v50, v[4:5] offset:1984 glc slc
	flat_load_ubyte v1, v[8:9] glc slc
	flat_load_ubyte v30, v[8:9] offset:64 glc slc
	flat_load_ubyte v27, v[8:9] offset:128 glc slc
	;; [unrolled: 1-line block ×14, first 2 shown]
	s_waitcnt vmcnt(0) lgkmcnt(0)
	buffer_store_dword v0, off, s[0:3], s33 offset:164 ; 4-byte Folded Spill
	flat_load_ubyte v3, v[8:9] offset:960 glc slc
	flat_load_ubyte v58, v[8:9] offset:1024 glc slc
	;; [unrolled: 1-line block ×7, first 2 shown]
	s_waitcnt vmcnt(0) lgkmcnt(0)
	buffer_store_dword v0, off, s[0:3], s33 offset:152 ; 4-byte Folded Spill
	flat_load_ubyte v46, v[8:9] offset:1408 glc slc
	flat_load_ubyte v41, v[8:9] offset:1472 glc slc
	s_nop 0
	flat_load_ubyte v0, v[8:9] offset:1536 glc slc
	s_waitcnt vmcnt(0) lgkmcnt(0)
	buffer_store_dword v0, off, s[0:3], s33 offset:140 ; 4-byte Folded Spill
	flat_load_ubyte v42, v[8:9] offset:1600 glc slc
	flat_load_ubyte v55, v[8:9] offset:1664 glc slc
	s_nop 0
	flat_load_ubyte v0, v[8:9] offset:1728 glc slc
	s_waitcnt vmcnt(0) lgkmcnt(0)
	buffer_store_dword v0, off, s[0:3], s33 offset:128 ; 4-byte Folded Spill
	flat_load_ubyte v0, v[8:9] offset:1792 glc slc
	s_waitcnt vmcnt(0) lgkmcnt(0)
	buffer_store_dword v0, off, s[0:3], s33 offset:120 ; 4-byte Folded Spill
	flat_load_ubyte v48, v[8:9] offset:1856 glc slc
	s_nop 0
	flat_load_ubyte v0, v[8:9] offset:1920 glc slc
	flat_load_ubyte v51, v[8:9] offset:1984 glc slc
	s_waitcnt vmcnt(0) lgkmcnt(0)
	buffer_store_dword v0, off, s[0:3], s33 offset:108 ; 4-byte Folded Spill
                                        ; implicit-def: $vgpr0
	s_cbranch_vccz .LBB6_14358
; %bb.14345:                            ;   in Loop: Header=BB6_14344 Depth=3
	v_mov_b32_e32 v33, 0
	v_mov_b32_e32 v52, 0
	s_and_saveexec_b64 s[40:41], s[28:29]
	s_cbranch_execz .LBB6_14351
; %bb.14346:                            ;   in Loop: Header=BB6_14344 Depth=3
	v_cmp_ne_u16_e32 vcc, s82, v2
	v_bfrev_b32_e32 v52, 1
	s_and_saveexec_b64 s[48:49], vcc
	s_cbranch_execz .LBB6_14350
; %bb.14347:                            ;   in Loop: Header=BB6_14344 Depth=3
	v_and_b32_e32 v0, 0xffff, v2
	v_and_b32_e32 v34, 0x7f, v0
	v_cmp_ne_u32_e32 vcc, s83, v34
	v_mov_b32_e32 v52, 0x7f800001
	s_and_saveexec_b64 s[50:51], vcc
	s_cbranch_execz .LBB6_14349
; %bb.14348:                            ;   in Loop: Header=BB6_14344 Depth=3
	v_mov_b32_e32 v39, v50
	v_and_b32_e32 v50, 7, v0
	v_mov_b32_e32 v52, v51
	v_lshrrev_b32_e32 v51, 3, v34
	v_cmp_gt_u32_e32 vcc, 8, v34
	v_ffbh_u32_e32 v34, v50
	v_min_u32_e32 v34, 32, v34
	v_subrev_u32_e32 v36, 28, v34
	v_lshlrev_b64 v[36:37], v36, v[0:1]
	v_sub_u32_e32 v0, 29, v34
	v_and_b32_e32 v34, 7, v36
	v_cndmask_b32_e32 v0, v51, v0, vcc
	v_cndmask_b32_e32 v34, v50, v34, vcc
	v_lshlrev_b32_e32 v36, 24, v2
	v_bfrev_b32_e32 v37, 60
	v_lshlrev_b32_e32 v34, 20, v34
	v_and_b32_e32 v36, 0x80000000, v36
	v_lshl_add_u32 v0, v0, 23, v37
	v_mov_b32_e32 v51, v52
	v_mov_b32_e32 v50, v39
	v_or3_b32 v52, v36, v0, v34
.LBB6_14349:                            ;   in Loop: Header=BB6_14344 Depth=3
	s_or_b64 exec, exec, s[50:51]
.LBB6_14350:                            ;   in Loop: Header=BB6_14344 Depth=3
	s_or_b64 exec, exec, s[48:49]
.LBB6_14351:                            ;   in Loop: Header=BB6_14344 Depth=3
	s_or_b64 exec, exec, s[40:41]
	v_and_b32_e32 v0, 0xff, v1
	v_cmp_ne_u16_e32 vcc, 0, v0
	s_and_saveexec_b64 s[40:41], vcc
	s_cbranch_execz .LBB6_14357
; %bb.14352:                            ;   in Loop: Header=BB6_14344 Depth=3
	v_cmp_ne_u16_e32 vcc, s82, v0
	v_bfrev_b32_e32 v33, 1
	s_and_saveexec_b64 s[48:49], vcc
	s_cbranch_execz .LBB6_14356
; %bb.14353:                            ;   in Loop: Header=BB6_14344 Depth=3
	v_and_b32_e32 v34, 0x7f, v1
	v_cmp_ne_u32_e32 vcc, s83, v34
	v_mov_b32_e32 v33, 0x7f800001
	s_and_saveexec_b64 s[50:51], vcc
	s_cbranch_execz .LBB6_14355
; %bb.14354:                            ;   in Loop: Header=BB6_14344 Depth=3
	v_and_b32_e32 v36, 7, v0
	v_ffbh_u32_e32 v33, v36
	v_mov_b32_e32 v39, v50
	v_min_u32_e32 v50, 32, v33
	v_subrev_u32_e32 v33, 28, v50
	v_lshrrev_b32_e32 v37, 3, v34
	v_cmp_gt_u32_e32 vcc, 8, v34
	v_lshlrev_b64 v[33:34], v33, v[0:1]
	v_sub_u32_e32 v0, 29, v50
	v_and_b32_e32 v33, 7, v33
	v_cndmask_b32_e32 v0, v37, v0, vcc
	v_cndmask_b32_e32 v33, v36, v33, vcc
	v_lshlrev_b32_e32 v34, 24, v1
	v_bfrev_b32_e32 v36, 60
	v_lshlrev_b32_e32 v33, 20, v33
	v_and_b32_e32 v34, 0x80000000, v34
	v_lshl_add_u32 v0, v0, 23, v36
	v_mov_b32_e32 v50, v39
	v_or3_b32 v33, v34, v0, v33
.LBB6_14355:                            ;   in Loop: Header=BB6_14344 Depth=3
	s_or_b64 exec, exec, s[50:51]
.LBB6_14356:                            ;   in Loop: Header=BB6_14344 Depth=3
	s_or_b64 exec, exec, s[48:49]
.LBB6_14357:                            ;   in Loop: Header=BB6_14344 Depth=3
	s_or_b64 exec, exec, s[40:41]
	v_max_f32_e32 v0, v33, v33
	v_max_f32_e32 v33, v52, v52
	v_max_f32_e32 v0, v33, v0
	s_mov_b64 s[40:41], 0
.LBB6_14358:                            ;   in Loop: Header=BB6_14344 Depth=3
	s_and_b64 vcc, exec, s[40:41]
	s_cbranch_vccz .LBB6_14372
; %bb.14359:                            ;   in Loop: Header=BB6_14344 Depth=3
	v_mov_b32_e32 v33, 0
	v_mov_b32_e32 v52, 0
	s_and_saveexec_b64 s[40:41], s[28:29]
	s_cbranch_execz .LBB6_14365
; %bb.14360:                            ;   in Loop: Header=BB6_14344 Depth=3
	v_cmp_ne_u16_e32 vcc, s82, v2
	v_bfrev_b32_e32 v52, 1
	s_and_saveexec_b64 s[28:29], vcc
	s_cbranch_execz .LBB6_14364
; %bb.14361:                            ;   in Loop: Header=BB6_14344 Depth=3
	v_and_b32_e32 v0, 0xffff, v2
	v_and_b32_e32 v34, 0x7f, v0
	v_cmp_ne_u32_e32 vcc, s83, v34
	v_mov_b32_e32 v52, 0x7f800001
	s_and_saveexec_b64 s[48:49], vcc
	s_cbranch_execz .LBB6_14363
; %bb.14362:                            ;   in Loop: Header=BB6_14344 Depth=3
	v_mov_b32_e32 v39, v50
	v_and_b32_e32 v50, 7, v0
	v_mov_b32_e32 v52, v51
	v_lshrrev_b32_e32 v51, 3, v34
	v_cmp_gt_u32_e32 vcc, 8, v34
	v_ffbh_u32_e32 v34, v50
	v_min_u32_e32 v34, 32, v34
	v_subrev_u32_e32 v36, 28, v34
	v_lshlrev_b64 v[36:37], v36, v[0:1]
	v_sub_u32_e32 v0, 29, v34
	v_and_b32_e32 v34, 7, v36
	v_cndmask_b32_e32 v0, v51, v0, vcc
	v_cndmask_b32_e32 v34, v50, v34, vcc
	v_lshlrev_b32_e32 v2, 24, v2
	v_bfrev_b32_e32 v36, 60
	v_lshlrev_b32_e32 v34, 20, v34
	v_and_b32_e32 v2, 0x80000000, v2
	v_lshl_add_u32 v0, v0, 23, v36
	v_mov_b32_e32 v51, v52
	v_mov_b32_e32 v50, v39
	v_or3_b32 v52, v2, v0, v34
.LBB6_14363:                            ;   in Loop: Header=BB6_14344 Depth=3
	s_or_b64 exec, exec, s[48:49]
.LBB6_14364:                            ;   in Loop: Header=BB6_14344 Depth=3
	s_or_b64 exec, exec, s[28:29]
.LBB6_14365:                            ;   in Loop: Header=BB6_14344 Depth=3
	s_or_b64 exec, exec, s[40:41]
	v_and_b32_e32 v0, 0xff, v1
	v_cmp_ne_u16_e32 vcc, 0, v0
	s_and_saveexec_b64 s[28:29], vcc
	s_cbranch_execz .LBB6_14371
; %bb.14366:                            ;   in Loop: Header=BB6_14344 Depth=3
	v_cmp_ne_u16_e32 vcc, s82, v0
	v_bfrev_b32_e32 v33, 1
	s_and_saveexec_b64 s[40:41], vcc
	s_cbranch_execz .LBB6_14370
; %bb.14367:                            ;   in Loop: Header=BB6_14344 Depth=3
	v_and_b32_e32 v2, 0x7f, v1
	v_cmp_ne_u32_e32 vcc, s83, v2
	v_mov_b32_e32 v33, 0x7f800001
	s_and_saveexec_b64 s[48:49], vcc
	s_cbranch_execz .LBB6_14369
; %bb.14368:                            ;   in Loop: Header=BB6_14344 Depth=3
	v_and_b32_e32 v36, 7, v0
	v_lshrrev_b32_e32 v37, 3, v2
	v_cmp_gt_u32_e32 vcc, 8, v2
	v_ffbh_u32_e32 v2, v36
	v_min_u32_e32 v2, 32, v2
	v_subrev_u32_e32 v33, 28, v2
	v_lshlrev_b64 v[33:34], v33, v[0:1]
	v_sub_u32_e32 v0, 29, v2
	v_and_b32_e32 v2, 7, v33
	v_cndmask_b32_e32 v0, v37, v0, vcc
	v_cndmask_b32_e32 v2, v36, v2, vcc
	v_lshlrev_b32_e32 v1, 24, v1
	v_bfrev_b32_e32 v33, 60
	v_lshlrev_b32_e32 v2, 20, v2
	v_and_b32_e32 v1, 0x80000000, v1
	v_lshl_add_u32 v0, v0, 23, v33
	v_or3_b32 v33, v1, v0, v2
.LBB6_14369:                            ;   in Loop: Header=BB6_14344 Depth=3
	s_or_b64 exec, exec, s[48:49]
.LBB6_14370:                            ;   in Loop: Header=BB6_14344 Depth=3
	s_or_b64 exec, exec, s[40:41]
.LBB6_14371:                            ;   in Loop: Header=BB6_14344 Depth=3
	s_or_b64 exec, exec, s[28:29]
	v_max_f32_e32 v0, v33, v33
	v_max_f32_e32 v1, v52, v52
	v_min_f32_e32 v0, v1, v0
.LBB6_14372:                            ;   in Loop: Header=BB6_14344 Depth=3
	v_and_b32_e32 v52, 0x7f800000, v0
	v_cmp_ne_u64_e32 vcc, s[76:77], v[52:53]
                                        ; implicit-def: $vgpr39
	s_and_saveexec_b64 s[28:29], vcc
	s_xor_b64 s[40:41], exec, s[28:29]
	s_cbranch_execz .LBB6_14390
; %bb.14373:                            ;   in Loop: Header=BB6_14344 Depth=3
	v_and_b32_e32 v52, 0x7fffffff, v0
	v_cmp_gt_u64_e32 vcc, s[78:79], v[52:53]
	v_and_b32_sdwa v33, v0, s82 dst_sel:DWORD dst_unused:UNUSED_PAD src0_sel:BYTE_3 src1_sel:DWORD
                                        ; implicit-def: $vgpr39
	s_and_saveexec_b64 s[28:29], vcc
	s_xor_b64 s[48:49], exec, s[28:29]
	s_cbranch_execz .LBB6_14387
; %bb.14374:                            ;   in Loop: Header=BB6_14344 Depth=3
	v_cmp_ne_u32_e32 vcc, 0, v0
	v_mov_b32_e32 v39, 0
	s_and_saveexec_b64 s[50:51], vcc
	s_cbranch_execz .LBB6_14386
; %bb.14375:                            ;   in Loop: Header=BB6_14344 Depth=3
	v_bfe_u32 v34, v0, 23, 8
	v_and_b32_e32 v1, 0x7fffff, v0
	v_cmp_gt_u32_e64 s[28:29], s85, v34
	v_sub_u32_e32 v0, 0x79, v34
	v_cmp_eq_u32_e32 vcc, 0, v34
	v_cndmask_b32_e64 v0, 0, v0, s[28:29]
	v_mov_b32_e32 v36, 0x78
	v_cndmask_b32_e32 v36, v0, v36, vcc
	v_or_b32_e32 v2, 0x800000, v1
	v_add_u32_e32 v0, 20, v36
	v_cndmask_b32_e32 v52, v2, v1, vcc
	v_lshlrev_b64 v[0:1], v0, -1
	v_add_u32_e32 v2, 19, v36
	v_mov_b32_e32 v39, v50
	v_mov_b32_e32 v37, v51
	v_lshlrev_b64 v[50:51], v2, 1
	v_bfi_b32 v1, v1, 0, 0
	v_bfi_b32 v0, v0, 0, v52
	v_cmp_eq_u64_e64 s[28:29], v[0:1], v[50:51]
	v_lshrrev_b64 v[0:1], v36, v[52:53]
	v_mov_b32_e32 v2, v1
	v_mov_b32_e32 v1, v0
	s_and_saveexec_b64 s[52:53], s[28:29]
; %bb.14376:                            ;   in Loop: Header=BB6_14344 Depth=3
	v_bfe_u32 v1, v0, 20, 1
	v_add_co_u32_e64 v1, s[28:29], v0, v1
	v_add_co_u32_e64 v1, s[28:29], -1, v1
; %bb.14377:                            ;   in Loop: Header=BB6_14344 Depth=3
	s_or_b64 exec, exec, s[52:53]
	v_add_u32_e32 v2, 0xffffff81, v34
	v_mov_b32_e32 v34, 0xffffff82
	v_cndmask_b32_e32 v2, v2, v34, vcc
	v_lshrrev_b32_e32 v34, 23, v0
	v_add3_u32 v36, v36, v2, v34
	v_add_u32_e32 v34, 6, v36
	v_and_b32_e32 v1, 0xfffff, v1
	v_add_u32_e32 v52, v1, v0
	v_cmp_ne_u32_e32 vcc, 0, v34
                                        ; implicit-def: $vgpr0_vgpr1
                                        ; implicit-def: $vgpr2
	s_and_saveexec_b64 s[28:29], vcc
	s_xor_b64 s[28:29], exec, s[28:29]
; %bb.14378:                            ;   in Loop: Header=BB6_14344 Depth=3
	v_cmp_lt_u64_e32 vcc, s[88:89], v[52:53]
	v_add_u32_e32 v0, 7, v36
	v_cndmask_b32_e32 v2, v34, v0, vcc
	v_cndmask_b32_e64 v0, 0, 1, vcc
	v_lshrrev_b64 v[0:1], v0, v[52:53]
; %bb.14379:                            ;   in Loop: Header=BB6_14344 Depth=3
	s_or_saveexec_b64 s[28:29], s[28:29]
	v_mov_b32_e32 v51, v37
	v_mov_b32_e32 v50, v39
	s_xor_b64 exec, exec, s[28:29]
; %bb.14380:                            ;   in Loop: Header=BB6_14344 Depth=3
	v_mov_b32_e32 v0, v52
	v_bfe_u32 v2, v52, 23, 1
	v_mov_b32_e32 v1, v53
; %bb.14381:                            ;   in Loop: Header=BB6_14344 Depth=3
	s_or_b64 exec, exec, s[28:29]
	v_lshrrev_b64 v[0:1], 20, v[0:1]
	v_cmp_gt_i32_e32 vcc, 16, v2
	v_cndmask_b32_e32 v1, 0, v1, vcc
	v_cndmask_b32_e32 v0, 7, v0, vcc
	v_cmp_ne_u64_e32 vcc, 0, v[0:1]
	v_cmp_ne_u32_e64 s[28:29], 0, v2
	s_or_b64 s[28:29], s[28:29], vcc
                                        ; implicit-def: $vgpr39
	s_and_saveexec_b64 vcc, s[28:29]
	s_xor_b64 s[28:29], exec, vcc
; %bb.14382:                            ;   in Loop: Header=BB6_14344 Depth=3
	v_min_i32_e32 v1, 15, v2
	v_lshl_or_b32 v1, v1, 3, v33
	v_and_or_b32 v39, v0, 7, v1
                                        ; implicit-def: $vgpr33
; %bb.14383:                            ;   in Loop: Header=BB6_14344 Depth=3
	s_andn2_saveexec_b64 s[28:29], s[28:29]
; %bb.14384:                            ;   in Loop: Header=BB6_14344 Depth=3
	v_mov_b32_e32 v39, v33
; %bb.14385:                            ;   in Loop: Header=BB6_14344 Depth=3
	s_or_b64 exec, exec, s[28:29]
.LBB6_14386:                            ;   in Loop: Header=BB6_14344 Depth=3
	s_or_b64 exec, exec, s[50:51]
                                        ; implicit-def: $vgpr33
.LBB6_14387:                            ;   in Loop: Header=BB6_14344 Depth=3
	s_andn2_saveexec_b64 s[28:29], s[48:49]
; %bb.14388:                            ;   in Loop: Header=BB6_14344 Depth=3
	v_or_b32_e32 v39, 0x7e, v33
; %bb.14389:                            ;   in Loop: Header=BB6_14344 Depth=3
	s_or_b64 exec, exec, s[28:29]
                                        ; implicit-def: $vgpr0
.LBB6_14390:                            ;   in Loop: Header=BB6_14344 Depth=3
	s_andn2_saveexec_b64 s[28:29], s[40:41]
; %bb.14391:                            ;   in Loop: Header=BB6_14344 Depth=3
	v_or_b32_sdwa v39, v0, s83 dst_sel:DWORD dst_unused:UNUSED_PAD src0_sel:BYTE_3 src1_sel:DWORD
; %bb.14392:                            ;   in Loop: Header=BB6_14344 Depth=3
	s_or_b64 exec, exec, s[28:29]
	v_and_b32_e32 v0, 0xff, v31
	v_cndmask_b32_e64 v1, 0, 1, s[46:47]
	v_cmp_ne_u16_e64 s[40:41], 0, v0
	v_cmp_ne_u32_e64 s[28:29], 1, v1
	s_andn2_b64 vcc, exec, s[46:47]
	s_mov_b64 s[48:49], -1
                                        ; implicit-def: $vgpr1
	s_cbranch_vccnz .LBB6_14406
; %bb.14393:                            ;   in Loop: Header=BB6_14344 Depth=3
	v_mov_b32_e32 v33, 0
	v_mov_b32_e32 v2, 0
	s_and_saveexec_b64 s[48:49], s[40:41]
	s_cbranch_execz .LBB6_14399
; %bb.14394:                            ;   in Loop: Header=BB6_14344 Depth=3
	v_cmp_ne_u16_e32 vcc, s82, v0
	v_bfrev_b32_e32 v2, 1
	s_and_saveexec_b64 s[50:51], vcc
	s_cbranch_execz .LBB6_14398
; %bb.14395:                            ;   in Loop: Header=BB6_14344 Depth=3
	v_and_b32_e32 v1, 0x7f, v31
	v_cmp_ne_u32_e32 vcc, s83, v1
	v_mov_b32_e32 v2, 0x7f800001
	s_and_saveexec_b64 s[52:53], vcc
	s_cbranch_execz .LBB6_14397
; %bb.14396:                            ;   in Loop: Header=BB6_14344 Depth=3
	v_and_b32_e32 v34, 7, v0
	v_lshrrev_b32_e32 v36, 3, v1
	v_cmp_gt_u32_e32 vcc, 8, v1
	v_ffbh_u32_e32 v1, v34
	v_min_u32_e32 v37, 32, v1
	v_subrev_u32_e32 v1, 28, v37
	v_lshlrev_b64 v[1:2], v1, v[0:1]
	v_sub_u32_e32 v2, 29, v37
	v_and_b32_e32 v1, 7, v1
	v_cndmask_b32_e32 v2, v36, v2, vcc
	v_cndmask_b32_e32 v1, v34, v1, vcc
	v_lshlrev_b32_e32 v34, 24, v31
	v_bfrev_b32_e32 v36, 60
	v_lshlrev_b32_e32 v1, 20, v1
	v_and_b32_e32 v34, 0x80000000, v34
	v_lshl_add_u32 v2, v2, 23, v36
	v_or3_b32 v2, v34, v2, v1
.LBB6_14397:                            ;   in Loop: Header=BB6_14344 Depth=3
	s_or_b64 exec, exec, s[52:53]
.LBB6_14398:                            ;   in Loop: Header=BB6_14344 Depth=3
	s_or_b64 exec, exec, s[50:51]
.LBB6_14399:                            ;   in Loop: Header=BB6_14344 Depth=3
	s_or_b64 exec, exec, s[48:49]
	v_and_b32_e32 v1, 0xff, v30
	v_cmp_ne_u16_e32 vcc, 0, v1
	s_and_saveexec_b64 s[48:49], vcc
	s_cbranch_execz .LBB6_14405
; %bb.14400:                            ;   in Loop: Header=BB6_14344 Depth=3
	v_cmp_ne_u16_e32 vcc, s82, v1
	v_bfrev_b32_e32 v33, 1
	s_and_saveexec_b64 s[50:51], vcc
	s_cbranch_execz .LBB6_14404
; %bb.14401:                            ;   in Loop: Header=BB6_14344 Depth=3
	v_and_b32_e32 v34, 0x7f, v30
	v_cmp_ne_u32_e32 vcc, s83, v34
	v_mov_b32_e32 v33, 0x7f800001
	s_and_saveexec_b64 s[52:53], vcc
	s_cbranch_execz .LBB6_14403
; %bb.14402:                            ;   in Loop: Header=BB6_14344 Depth=3
	v_and_b32_e32 v36, 7, v1
	v_ffbh_u32_e32 v33, v36
	v_mov_b32_e32 v52, v39
	v_mov_b32_e32 v39, v50
	v_min_u32_e32 v50, 32, v33
	v_subrev_u32_e32 v33, 28, v50
	v_lshrrev_b32_e32 v37, 3, v34
	v_cmp_gt_u32_e32 vcc, 8, v34
	v_lshlrev_b64 v[33:34], v33, v[1:2]
	v_sub_u32_e32 v1, 29, v50
	v_and_b32_e32 v33, 7, v33
	v_cndmask_b32_e32 v1, v37, v1, vcc
	v_cndmask_b32_e32 v33, v36, v33, vcc
	v_lshlrev_b32_e32 v34, 24, v30
	v_bfrev_b32_e32 v36, 60
	v_lshlrev_b32_e32 v33, 20, v33
	v_and_b32_e32 v34, 0x80000000, v34
	v_lshl_add_u32 v1, v1, 23, v36
	v_mov_b32_e32 v50, v39
	v_mov_b32_e32 v39, v52
	v_or3_b32 v33, v34, v1, v33
.LBB6_14403:                            ;   in Loop: Header=BB6_14344 Depth=3
	s_or_b64 exec, exec, s[52:53]
.LBB6_14404:                            ;   in Loop: Header=BB6_14344 Depth=3
	s_or_b64 exec, exec, s[50:51]
.LBB6_14405:                            ;   in Loop: Header=BB6_14344 Depth=3
	s_or_b64 exec, exec, s[48:49]
	v_max_f32_e32 v1, v33, v33
	v_max_f32_e32 v2, v2, v2
	;; [unrolled: 1-line block ×3, first 2 shown]
	s_mov_b64 s[48:49], 0
.LBB6_14406:                            ;   in Loop: Header=BB6_14344 Depth=3
	s_and_b64 vcc, exec, s[48:49]
	s_cbranch_vccz .LBB6_14420
; %bb.14407:                            ;   in Loop: Header=BB6_14344 Depth=3
	v_mov_b32_e32 v2, 0
	v_mov_b32_e32 v1, 0
	s_and_saveexec_b64 s[48:49], s[40:41]
	s_cbranch_execz .LBB6_14413
; %bb.14408:                            ;   in Loop: Header=BB6_14344 Depth=3
	v_cmp_ne_u16_e32 vcc, s82, v0
	v_bfrev_b32_e32 v1, 1
	s_and_saveexec_b64 s[40:41], vcc
	s_cbranch_execz .LBB6_14412
; %bb.14409:                            ;   in Loop: Header=BB6_14344 Depth=3
	v_and_b32_e32 v33, 0x7f, v31
	v_cmp_ne_u32_e32 vcc, s83, v33
	v_mov_b32_e32 v1, 0x7f800001
	s_and_saveexec_b64 s[50:51], vcc
	s_cbranch_execz .LBB6_14411
; %bb.14410:                            ;   in Loop: Header=BB6_14344 Depth=3
	v_and_b32_e32 v34, 7, v0
	v_ffbh_u32_e32 v1, v34
	v_lshrrev_b32_e32 v36, 3, v33
	v_cmp_gt_u32_e32 vcc, 8, v33
	v_min_u32_e32 v33, 32, v1
	v_subrev_u32_e32 v1, 28, v33
	v_lshlrev_b64 v[0:1], v1, v[0:1]
	v_sub_u32_e32 v1, 29, v33
	v_and_b32_e32 v0, 7, v0
	v_cndmask_b32_e32 v1, v36, v1, vcc
	v_cndmask_b32_e32 v0, v34, v0, vcc
	v_lshlrev_b32_e32 v31, 24, v31
	v_bfrev_b32_e32 v33, 60
	v_lshlrev_b32_e32 v0, 20, v0
	v_and_b32_e32 v31, 0x80000000, v31
	v_lshl_add_u32 v1, v1, 23, v33
	v_or3_b32 v1, v31, v1, v0
.LBB6_14411:                            ;   in Loop: Header=BB6_14344 Depth=3
	s_or_b64 exec, exec, s[50:51]
.LBB6_14412:                            ;   in Loop: Header=BB6_14344 Depth=3
	s_or_b64 exec, exec, s[40:41]
.LBB6_14413:                            ;   in Loop: Header=BB6_14344 Depth=3
	s_or_b64 exec, exec, s[48:49]
	v_and_b32_e32 v0, 0xff, v30
	v_cmp_ne_u16_e32 vcc, 0, v0
	s_and_saveexec_b64 s[40:41], vcc
	s_cbranch_execz .LBB6_14419
; %bb.14414:                            ;   in Loop: Header=BB6_14344 Depth=3
	v_cmp_ne_u16_e32 vcc, s82, v0
	v_bfrev_b32_e32 v2, 1
	s_and_saveexec_b64 s[48:49], vcc
	s_cbranch_execz .LBB6_14418
; %bb.14415:                            ;   in Loop: Header=BB6_14344 Depth=3
	v_and_b32_e32 v31, 0x7f, v30
	v_cmp_ne_u32_e32 vcc, s83, v31
	v_mov_b32_e32 v2, 0x7f800001
	s_and_saveexec_b64 s[50:51], vcc
	s_cbranch_execz .LBB6_14417
; %bb.14416:                            ;   in Loop: Header=BB6_14344 Depth=3
	v_and_b32_e32 v2, 7, v0
	v_lshrrev_b32_e32 v36, 3, v31
	v_cmp_gt_u32_e32 vcc, 8, v31
	v_ffbh_u32_e32 v31, v2
	v_min_u32_e32 v31, 32, v31
	v_subrev_u32_e32 v33, 28, v31
	v_lshlrev_b64 v[33:34], v33, v[0:1]
	v_sub_u32_e32 v0, 29, v31
	v_and_b32_e32 v31, 7, v33
	v_cndmask_b32_e32 v0, v36, v0, vcc
	v_cndmask_b32_e32 v2, v2, v31, vcc
	v_lshlrev_b32_e32 v30, 24, v30
	v_bfrev_b32_e32 v31, 60
	v_lshlrev_b32_e32 v2, 20, v2
	v_and_b32_e32 v30, 0x80000000, v30
	v_lshl_add_u32 v0, v0, 23, v31
	v_or3_b32 v2, v30, v0, v2
.LBB6_14417:                            ;   in Loop: Header=BB6_14344 Depth=3
	s_or_b64 exec, exec, s[50:51]
.LBB6_14418:                            ;   in Loop: Header=BB6_14344 Depth=3
	s_or_b64 exec, exec, s[48:49]
.LBB6_14419:                            ;   in Loop: Header=BB6_14344 Depth=3
	s_or_b64 exec, exec, s[40:41]
	v_max_f32_e32 v0, v2, v2
	v_max_f32_e32 v1, v1, v1
	v_min_f32_e32 v1, v1, v0
.LBB6_14420:                            ;   in Loop: Header=BB6_14344 Depth=3
	v_and_b32_e32 v52, 0x7f800000, v1
	v_cmp_ne_u64_e32 vcc, s[76:77], v[52:53]
                                        ; implicit-def: $vgpr37
	s_and_saveexec_b64 s[40:41], vcc
	s_xor_b64 s[48:49], exec, s[40:41]
	s_cbranch_execz .LBB6_14438
; %bb.14421:                            ;   in Loop: Header=BB6_14344 Depth=3
	v_and_b32_e32 v52, 0x7fffffff, v1
	v_cmp_gt_u64_e32 vcc, s[78:79], v[52:53]
	v_and_b32_sdwa v30, v1, s82 dst_sel:DWORD dst_unused:UNUSED_PAD src0_sel:BYTE_3 src1_sel:DWORD
                                        ; implicit-def: $vgpr37
	s_and_saveexec_b64 s[40:41], vcc
	s_xor_b64 s[50:51], exec, s[40:41]
	s_cbranch_execz .LBB6_14435
; %bb.14422:                            ;   in Loop: Header=BB6_14344 Depth=3
	v_cmp_ne_u32_e32 vcc, 0, v1
	v_mov_b32_e32 v37, 0
	s_and_saveexec_b64 s[52:53], vcc
	s_cbranch_execz .LBB6_14434
; %bb.14423:                            ;   in Loop: Header=BB6_14344 Depth=3
	v_bfe_u32 v31, v1, 23, 8
	v_and_b32_e32 v0, 0x7fffff, v1
	v_cmp_gt_u32_e64 s[40:41], s85, v31
	v_sub_u32_e32 v1, 0x79, v31
	v_cmp_eq_u32_e32 vcc, 0, v31
	v_cndmask_b32_e64 v1, 0, v1, s[40:41]
	v_mov_b32_e32 v33, 0x78
	v_or_b32_e32 v2, 0x800000, v0
	v_cndmask_b32_e32 v33, v1, v33, vcc
	v_cndmask_b32_e32 v52, v2, v0, vcc
	v_add_u32_e32 v0, 20, v33
	v_lshlrev_b64 v[0:1], v0, -1
	v_add_u32_e32 v2, 19, v33
	v_lshlrev_b64 v[36:37], v2, 1
	v_bfi_b32 v1, v1, 0, 0
	v_bfi_b32 v0, v0, 0, v52
	v_cmp_eq_u64_e64 s[40:41], v[0:1], v[36:37]
	v_lshrrev_b64 v[0:1], v33, v[52:53]
	v_mov_b32_e32 v2, v1
	v_mov_b32_e32 v1, v0
	s_and_saveexec_b64 s[54:55], s[40:41]
; %bb.14424:                            ;   in Loop: Header=BB6_14344 Depth=3
	v_bfe_u32 v1, v0, 20, 1
	v_add_co_u32_e64 v1, s[40:41], v0, v1
	v_add_co_u32_e64 v1, s[40:41], -1, v1
; %bb.14425:                            ;   in Loop: Header=BB6_14344 Depth=3
	s_or_b64 exec, exec, s[54:55]
	v_add_u32_e32 v2, 0xffffff81, v31
	v_mov_b32_e32 v31, 0xffffff82
	v_cndmask_b32_e32 v2, v2, v31, vcc
	v_lshrrev_b32_e32 v31, 23, v0
	v_add3_u32 v33, v33, v2, v31
	v_add_u32_e32 v31, 6, v33
	v_and_b32_e32 v1, 0xfffff, v1
	v_add_u32_e32 v52, v1, v0
	v_cmp_ne_u32_e32 vcc, 0, v31
                                        ; implicit-def: $vgpr0_vgpr1
                                        ; implicit-def: $vgpr2
	s_and_saveexec_b64 s[40:41], vcc
	s_xor_b64 s[40:41], exec, s[40:41]
; %bb.14426:                            ;   in Loop: Header=BB6_14344 Depth=3
	v_cmp_lt_u64_e32 vcc, s[88:89], v[52:53]
	v_add_u32_e32 v0, 7, v33
	v_cndmask_b32_e32 v2, v31, v0, vcc
	v_cndmask_b32_e64 v0, 0, 1, vcc
	v_lshrrev_b64 v[0:1], v0, v[52:53]
; %bb.14427:                            ;   in Loop: Header=BB6_14344 Depth=3
	s_andn2_saveexec_b64 s[40:41], s[40:41]
; %bb.14428:                            ;   in Loop: Header=BB6_14344 Depth=3
	v_mov_b32_e32 v0, v52
	v_bfe_u32 v2, v52, 23, 1
	v_mov_b32_e32 v1, v53
; %bb.14429:                            ;   in Loop: Header=BB6_14344 Depth=3
	s_or_b64 exec, exec, s[40:41]
	v_lshrrev_b64 v[0:1], 20, v[0:1]
	v_cmp_gt_i32_e32 vcc, 16, v2
	v_cndmask_b32_e32 v1, 0, v1, vcc
	v_cndmask_b32_e32 v0, 7, v0, vcc
	v_cmp_ne_u64_e32 vcc, 0, v[0:1]
	v_cmp_ne_u32_e64 s[40:41], 0, v2
	s_or_b64 s[40:41], s[40:41], vcc
                                        ; implicit-def: $vgpr37
	s_and_saveexec_b64 vcc, s[40:41]
	s_xor_b64 s[40:41], exec, vcc
; %bb.14430:                            ;   in Loop: Header=BB6_14344 Depth=3
	v_min_i32_e32 v1, 15, v2
	v_lshl_or_b32 v1, v1, 3, v30
	v_and_or_b32 v37, v0, 7, v1
                                        ; implicit-def: $vgpr30
; %bb.14431:                            ;   in Loop: Header=BB6_14344 Depth=3
	s_andn2_saveexec_b64 s[40:41], s[40:41]
; %bb.14432:                            ;   in Loop: Header=BB6_14344 Depth=3
	v_mov_b32_e32 v37, v30
; %bb.14433:                            ;   in Loop: Header=BB6_14344 Depth=3
	s_or_b64 exec, exec, s[40:41]
.LBB6_14434:                            ;   in Loop: Header=BB6_14344 Depth=3
	s_or_b64 exec, exec, s[52:53]
                                        ; implicit-def: $vgpr30
.LBB6_14435:                            ;   in Loop: Header=BB6_14344 Depth=3
	s_andn2_saveexec_b64 s[40:41], s[50:51]
; %bb.14436:                            ;   in Loop: Header=BB6_14344 Depth=3
	v_or_b32_e32 v37, 0x7e, v30
; %bb.14437:                            ;   in Loop: Header=BB6_14344 Depth=3
	s_or_b64 exec, exec, s[40:41]
                                        ; implicit-def: $vgpr1
.LBB6_14438:                            ;   in Loop: Header=BB6_14344 Depth=3
	s_andn2_saveexec_b64 s[40:41], s[48:49]
; %bb.14439:                            ;   in Loop: Header=BB6_14344 Depth=3
	v_or_b32_sdwa v37, v1, s83 dst_sel:DWORD dst_unused:UNUSED_PAD src0_sel:BYTE_3 src1_sel:DWORD
; %bb.14440:                            ;   in Loop: Header=BB6_14344 Depth=3
	s_or_b64 exec, exec, s[40:41]
	v_and_b32_e32 v0, 0xff, v28
	v_cmp_ne_u16_e64 s[40:41], 0, v0
	s_and_b64 vcc, exec, s[28:29]
	s_mov_b64 s[48:49], -1
                                        ; implicit-def: $vgpr1
	s_cbranch_vccnz .LBB6_14454
; %bb.14441:                            ;   in Loop: Header=BB6_14344 Depth=3
	v_mov_b32_e32 v30, 0
	v_mov_b32_e32 v2, 0
	s_and_saveexec_b64 s[48:49], s[40:41]
	s_cbranch_execz .LBB6_14447
; %bb.14442:                            ;   in Loop: Header=BB6_14344 Depth=3
	v_cmp_ne_u16_e32 vcc, s82, v0
	v_bfrev_b32_e32 v2, 1
	s_and_saveexec_b64 s[50:51], vcc
	s_cbranch_execz .LBB6_14446
; %bb.14443:                            ;   in Loop: Header=BB6_14344 Depth=3
	v_and_b32_e32 v1, 0x7f, v28
	v_cmp_ne_u32_e32 vcc, s83, v1
	v_mov_b32_e32 v2, 0x7f800001
	s_and_saveexec_b64 s[52:53], vcc
	s_cbranch_execz .LBB6_14445
; %bb.14444:                            ;   in Loop: Header=BB6_14344 Depth=3
	v_and_b32_e32 v31, 7, v0
	v_lshrrev_b32_e32 v33, 3, v1
	v_cmp_gt_u32_e32 vcc, 8, v1
	v_ffbh_u32_e32 v1, v31
	v_min_u32_e32 v34, 32, v1
	v_subrev_u32_e32 v1, 28, v34
	v_lshlrev_b64 v[1:2], v1, v[0:1]
	v_sub_u32_e32 v2, 29, v34
	v_and_b32_e32 v1, 7, v1
	v_cndmask_b32_e32 v2, v33, v2, vcc
	v_cndmask_b32_e32 v1, v31, v1, vcc
	v_lshlrev_b32_e32 v31, 24, v28
	v_bfrev_b32_e32 v33, 60
	v_lshlrev_b32_e32 v1, 20, v1
	v_and_b32_e32 v31, 0x80000000, v31
	v_lshl_add_u32 v2, v2, 23, v33
	v_or3_b32 v2, v31, v2, v1
.LBB6_14445:                            ;   in Loop: Header=BB6_14344 Depth=3
	s_or_b64 exec, exec, s[52:53]
.LBB6_14446:                            ;   in Loop: Header=BB6_14344 Depth=3
	s_or_b64 exec, exec, s[50:51]
.LBB6_14447:                            ;   in Loop: Header=BB6_14344 Depth=3
	s_or_b64 exec, exec, s[48:49]
	v_and_b32_e32 v1, 0xff, v27
	v_cmp_ne_u16_e32 vcc, 0, v1
	s_and_saveexec_b64 s[48:49], vcc
	s_cbranch_execz .LBB6_14453
; %bb.14448:                            ;   in Loop: Header=BB6_14344 Depth=3
	v_cmp_ne_u16_e32 vcc, s82, v1
	v_bfrev_b32_e32 v30, 1
	s_and_saveexec_b64 s[50:51], vcc
	s_cbranch_execz .LBB6_14452
; %bb.14449:                            ;   in Loop: Header=BB6_14344 Depth=3
	v_and_b32_e32 v31, 0x7f, v27
	v_cmp_ne_u32_e32 vcc, s83, v31
	v_mov_b32_e32 v30, 0x7f800001
	s_and_saveexec_b64 s[52:53], vcc
	s_cbranch_execz .LBB6_14451
; %bb.14450:                            ;   in Loop: Header=BB6_14344 Depth=3
	v_and_b32_e32 v33, 7, v1
	v_ffbh_u32_e32 v30, v33
	v_min_u32_e32 v36, 32, v30
	v_subrev_u32_e32 v30, 28, v36
	v_lshrrev_b32_e32 v34, 3, v31
	v_cmp_gt_u32_e32 vcc, 8, v31
	v_lshlrev_b64 v[30:31], v30, v[1:2]
	v_sub_u32_e32 v1, 29, v36
	v_and_b32_e32 v30, 7, v30
	v_cndmask_b32_e32 v1, v34, v1, vcc
	v_cndmask_b32_e32 v30, v33, v30, vcc
	v_lshlrev_b32_e32 v31, 24, v27
	v_bfrev_b32_e32 v33, 60
	v_lshlrev_b32_e32 v30, 20, v30
	v_and_b32_e32 v31, 0x80000000, v31
	v_lshl_add_u32 v1, v1, 23, v33
	v_or3_b32 v30, v31, v1, v30
.LBB6_14451:                            ;   in Loop: Header=BB6_14344 Depth=3
	s_or_b64 exec, exec, s[52:53]
.LBB6_14452:                            ;   in Loop: Header=BB6_14344 Depth=3
	s_or_b64 exec, exec, s[50:51]
.LBB6_14453:                            ;   in Loop: Header=BB6_14344 Depth=3
	s_or_b64 exec, exec, s[48:49]
	v_max_f32_e32 v1, v30, v30
	v_max_f32_e32 v2, v2, v2
	;; [unrolled: 1-line block ×3, first 2 shown]
	s_mov_b64 s[48:49], 0
.LBB6_14454:                            ;   in Loop: Header=BB6_14344 Depth=3
	s_and_b64 vcc, exec, s[48:49]
	s_cbranch_vccz .LBB6_14468
; %bb.14455:                            ;   in Loop: Header=BB6_14344 Depth=3
	v_mov_b32_e32 v2, 0
	v_mov_b32_e32 v1, 0
	s_and_saveexec_b64 s[48:49], s[40:41]
	s_cbranch_execz .LBB6_14461
; %bb.14456:                            ;   in Loop: Header=BB6_14344 Depth=3
	v_cmp_ne_u16_e32 vcc, s82, v0
	v_bfrev_b32_e32 v1, 1
	s_and_saveexec_b64 s[40:41], vcc
	s_cbranch_execz .LBB6_14460
; %bb.14457:                            ;   in Loop: Header=BB6_14344 Depth=3
	v_and_b32_e32 v30, 0x7f, v28
	v_cmp_ne_u32_e32 vcc, s83, v30
	v_mov_b32_e32 v1, 0x7f800001
	s_and_saveexec_b64 s[50:51], vcc
	s_cbranch_execz .LBB6_14459
; %bb.14458:                            ;   in Loop: Header=BB6_14344 Depth=3
	v_and_b32_e32 v31, 7, v0
	v_ffbh_u32_e32 v1, v31
	v_lshrrev_b32_e32 v33, 3, v30
	v_cmp_gt_u32_e32 vcc, 8, v30
	v_min_u32_e32 v30, 32, v1
	v_subrev_u32_e32 v1, 28, v30
	v_lshlrev_b64 v[0:1], v1, v[0:1]
	v_sub_u32_e32 v1, 29, v30
	v_and_b32_e32 v0, 7, v0
	v_cndmask_b32_e32 v1, v33, v1, vcc
	v_cndmask_b32_e32 v0, v31, v0, vcc
	v_lshlrev_b32_e32 v28, 24, v28
	v_bfrev_b32_e32 v30, 60
	v_lshlrev_b32_e32 v0, 20, v0
	v_and_b32_e32 v28, 0x80000000, v28
	v_lshl_add_u32 v1, v1, 23, v30
	v_or3_b32 v1, v28, v1, v0
.LBB6_14459:                            ;   in Loop: Header=BB6_14344 Depth=3
	s_or_b64 exec, exec, s[50:51]
.LBB6_14460:                            ;   in Loop: Header=BB6_14344 Depth=3
	s_or_b64 exec, exec, s[40:41]
.LBB6_14461:                            ;   in Loop: Header=BB6_14344 Depth=3
	s_or_b64 exec, exec, s[48:49]
	v_and_b32_e32 v0, 0xff, v27
	v_cmp_ne_u16_e32 vcc, 0, v0
	s_and_saveexec_b64 s[40:41], vcc
	s_cbranch_execz .LBB6_14467
; %bb.14462:                            ;   in Loop: Header=BB6_14344 Depth=3
	v_cmp_ne_u16_e32 vcc, s82, v0
	v_bfrev_b32_e32 v2, 1
	s_and_saveexec_b64 s[48:49], vcc
	s_cbranch_execz .LBB6_14466
; %bb.14463:                            ;   in Loop: Header=BB6_14344 Depth=3
	v_and_b32_e32 v28, 0x7f, v27
	v_cmp_ne_u32_e32 vcc, s83, v28
	v_mov_b32_e32 v2, 0x7f800001
	s_and_saveexec_b64 s[50:51], vcc
	s_cbranch_execz .LBB6_14465
; %bb.14464:                            ;   in Loop: Header=BB6_14344 Depth=3
	v_and_b32_e32 v2, 7, v0
	v_lshrrev_b32_e32 v33, 3, v28
	v_cmp_gt_u32_e32 vcc, 8, v28
	v_ffbh_u32_e32 v28, v2
	v_min_u32_e32 v28, 32, v28
	v_subrev_u32_e32 v30, 28, v28
	v_lshlrev_b64 v[30:31], v30, v[0:1]
	v_sub_u32_e32 v0, 29, v28
	v_and_b32_e32 v28, 7, v30
	v_cndmask_b32_e32 v0, v33, v0, vcc
	v_cndmask_b32_e32 v2, v2, v28, vcc
	v_lshlrev_b32_e32 v27, 24, v27
	v_bfrev_b32_e32 v28, 60
	v_lshlrev_b32_e32 v2, 20, v2
	v_and_b32_e32 v27, 0x80000000, v27
	v_lshl_add_u32 v0, v0, 23, v28
	v_or3_b32 v2, v27, v0, v2
.LBB6_14465:                            ;   in Loop: Header=BB6_14344 Depth=3
	s_or_b64 exec, exec, s[50:51]
.LBB6_14466:                            ;   in Loop: Header=BB6_14344 Depth=3
	s_or_b64 exec, exec, s[48:49]
.LBB6_14467:                            ;   in Loop: Header=BB6_14344 Depth=3
	s_or_b64 exec, exec, s[40:41]
	v_max_f32_e32 v0, v2, v2
	v_max_f32_e32 v1, v1, v1
	v_min_f32_e32 v1, v1, v0
.LBB6_14468:                            ;   in Loop: Header=BB6_14344 Depth=3
	v_and_b32_e32 v52, 0x7f800000, v1
	v_cmp_ne_u64_e32 vcc, s[76:77], v[52:53]
                                        ; implicit-def: $vgpr34
	s_and_saveexec_b64 s[40:41], vcc
	s_xor_b64 s[48:49], exec, s[40:41]
	s_cbranch_execz .LBB6_14486
; %bb.14469:                            ;   in Loop: Header=BB6_14344 Depth=3
	v_and_b32_e32 v52, 0x7fffffff, v1
	v_cmp_gt_u64_e32 vcc, s[78:79], v[52:53]
	v_and_b32_sdwa v27, v1, s82 dst_sel:DWORD dst_unused:UNUSED_PAD src0_sel:BYTE_3 src1_sel:DWORD
                                        ; implicit-def: $vgpr34
	s_and_saveexec_b64 s[40:41], vcc
	s_xor_b64 s[50:51], exec, s[40:41]
	s_cbranch_execz .LBB6_14483
; %bb.14470:                            ;   in Loop: Header=BB6_14344 Depth=3
	v_cmp_ne_u32_e32 vcc, 0, v1
	v_mov_b32_e32 v34, 0
	s_and_saveexec_b64 s[52:53], vcc
	s_cbranch_execz .LBB6_14482
; %bb.14471:                            ;   in Loop: Header=BB6_14344 Depth=3
	v_bfe_u32 v28, v1, 23, 8
	v_and_b32_e32 v0, 0x7fffff, v1
	v_cmp_gt_u32_e64 s[40:41], s85, v28
	v_sub_u32_e32 v1, 0x79, v28
	v_cmp_eq_u32_e32 vcc, 0, v28
	v_cndmask_b32_e64 v1, 0, v1, s[40:41]
	v_mov_b32_e32 v30, 0x78
	v_or_b32_e32 v2, 0x800000, v0
	v_cndmask_b32_e32 v30, v1, v30, vcc
	v_cndmask_b32_e32 v52, v2, v0, vcc
	v_add_u32_e32 v0, 20, v30
	v_lshlrev_b64 v[0:1], v0, -1
	v_add_u32_e32 v2, 19, v30
	v_lshlrev_b64 v[33:34], v2, 1
	v_bfi_b32 v1, v1, 0, 0
	v_bfi_b32 v0, v0, 0, v52
	v_cmp_eq_u64_e64 s[40:41], v[0:1], v[33:34]
	v_lshrrev_b64 v[0:1], v30, v[52:53]
	v_mov_b32_e32 v2, v1
	v_mov_b32_e32 v1, v0
	s_and_saveexec_b64 s[54:55], s[40:41]
; %bb.14472:                            ;   in Loop: Header=BB6_14344 Depth=3
	v_bfe_u32 v1, v0, 20, 1
	v_add_co_u32_e64 v1, s[40:41], v0, v1
	v_add_co_u32_e64 v1, s[40:41], -1, v1
; %bb.14473:                            ;   in Loop: Header=BB6_14344 Depth=3
	s_or_b64 exec, exec, s[54:55]
	v_add_u32_e32 v2, 0xffffff81, v28
	v_mov_b32_e32 v28, 0xffffff82
	v_cndmask_b32_e32 v2, v2, v28, vcc
	v_lshrrev_b32_e32 v28, 23, v0
	v_add3_u32 v30, v30, v2, v28
	v_add_u32_e32 v28, 6, v30
	v_and_b32_e32 v1, 0xfffff, v1
	v_add_u32_e32 v52, v1, v0
	v_cmp_ne_u32_e32 vcc, 0, v28
                                        ; implicit-def: $vgpr0_vgpr1
                                        ; implicit-def: $vgpr2
	s_and_saveexec_b64 s[40:41], vcc
	s_xor_b64 s[40:41], exec, s[40:41]
; %bb.14474:                            ;   in Loop: Header=BB6_14344 Depth=3
	v_cmp_lt_u64_e32 vcc, s[88:89], v[52:53]
	v_add_u32_e32 v0, 7, v30
	v_cndmask_b32_e32 v2, v28, v0, vcc
	v_cndmask_b32_e64 v0, 0, 1, vcc
	v_lshrrev_b64 v[0:1], v0, v[52:53]
; %bb.14475:                            ;   in Loop: Header=BB6_14344 Depth=3
	s_andn2_saveexec_b64 s[40:41], s[40:41]
; %bb.14476:                            ;   in Loop: Header=BB6_14344 Depth=3
	v_mov_b32_e32 v0, v52
	v_bfe_u32 v2, v52, 23, 1
	v_mov_b32_e32 v1, v53
; %bb.14477:                            ;   in Loop: Header=BB6_14344 Depth=3
	s_or_b64 exec, exec, s[40:41]
	v_lshrrev_b64 v[0:1], 20, v[0:1]
	v_cmp_gt_i32_e32 vcc, 16, v2
	v_cndmask_b32_e32 v1, 0, v1, vcc
	v_cndmask_b32_e32 v0, 7, v0, vcc
	v_cmp_ne_u64_e32 vcc, 0, v[0:1]
	v_cmp_ne_u32_e64 s[40:41], 0, v2
	s_or_b64 s[40:41], s[40:41], vcc
                                        ; implicit-def: $vgpr34
	s_and_saveexec_b64 vcc, s[40:41]
	s_xor_b64 s[40:41], exec, vcc
; %bb.14478:                            ;   in Loop: Header=BB6_14344 Depth=3
	v_min_i32_e32 v1, 15, v2
	v_lshl_or_b32 v1, v1, 3, v27
	v_and_or_b32 v34, v0, 7, v1
                                        ; implicit-def: $vgpr27
; %bb.14479:                            ;   in Loop: Header=BB6_14344 Depth=3
	s_andn2_saveexec_b64 s[40:41], s[40:41]
; %bb.14480:                            ;   in Loop: Header=BB6_14344 Depth=3
	v_mov_b32_e32 v34, v27
; %bb.14481:                            ;   in Loop: Header=BB6_14344 Depth=3
	s_or_b64 exec, exec, s[40:41]
.LBB6_14482:                            ;   in Loop: Header=BB6_14344 Depth=3
	s_or_b64 exec, exec, s[52:53]
                                        ; implicit-def: $vgpr27
.LBB6_14483:                            ;   in Loop: Header=BB6_14344 Depth=3
	s_andn2_saveexec_b64 s[40:41], s[50:51]
; %bb.14484:                            ;   in Loop: Header=BB6_14344 Depth=3
	v_or_b32_e32 v34, 0x7e, v27
; %bb.14485:                            ;   in Loop: Header=BB6_14344 Depth=3
	s_or_b64 exec, exec, s[40:41]
                                        ; implicit-def: $vgpr1
.LBB6_14486:                            ;   in Loop: Header=BB6_14344 Depth=3
	s_andn2_saveexec_b64 s[40:41], s[48:49]
; %bb.14487:                            ;   in Loop: Header=BB6_14344 Depth=3
	v_or_b32_sdwa v34, v1, s83 dst_sel:DWORD dst_unused:UNUSED_PAD src0_sel:BYTE_3 src1_sel:DWORD
; %bb.14488:                            ;   in Loop: Header=BB6_14344 Depth=3
	s_or_b64 exec, exec, s[40:41]
	v_and_b32_e32 v0, 0xff, v25
	v_cmp_ne_u16_e64 s[40:41], 0, v0
	s_and_b64 vcc, exec, s[28:29]
	s_mov_b64 s[48:49], -1
                                        ; implicit-def: $vgpr1
	s_cbranch_vccnz .LBB6_14502
; %bb.14489:                            ;   in Loop: Header=BB6_14344 Depth=3
	v_mov_b32_e32 v27, 0
	v_mov_b32_e32 v2, 0
	s_and_saveexec_b64 s[48:49], s[40:41]
	s_cbranch_execz .LBB6_14495
; %bb.14490:                            ;   in Loop: Header=BB6_14344 Depth=3
	v_cmp_ne_u16_e32 vcc, s82, v0
	v_bfrev_b32_e32 v2, 1
	s_and_saveexec_b64 s[50:51], vcc
	s_cbranch_execz .LBB6_14494
; %bb.14491:                            ;   in Loop: Header=BB6_14344 Depth=3
	v_and_b32_e32 v1, 0x7f, v25
	v_cmp_ne_u32_e32 vcc, s83, v1
	v_mov_b32_e32 v2, 0x7f800001
	s_and_saveexec_b64 s[52:53], vcc
	s_cbranch_execz .LBB6_14493
; %bb.14492:                            ;   in Loop: Header=BB6_14344 Depth=3
	v_and_b32_e32 v28, 7, v0
	v_lshrrev_b32_e32 v30, 3, v1
	v_cmp_gt_u32_e32 vcc, 8, v1
	v_ffbh_u32_e32 v1, v28
	v_min_u32_e32 v31, 32, v1
	v_subrev_u32_e32 v1, 28, v31
	v_lshlrev_b64 v[1:2], v1, v[0:1]
	v_sub_u32_e32 v2, 29, v31
	v_and_b32_e32 v1, 7, v1
	v_cndmask_b32_e32 v2, v30, v2, vcc
	v_cndmask_b32_e32 v1, v28, v1, vcc
	v_lshlrev_b32_e32 v28, 24, v25
	v_bfrev_b32_e32 v30, 60
	v_lshlrev_b32_e32 v1, 20, v1
	v_and_b32_e32 v28, 0x80000000, v28
	v_lshl_add_u32 v2, v2, 23, v30
	v_or3_b32 v2, v28, v2, v1
.LBB6_14493:                            ;   in Loop: Header=BB6_14344 Depth=3
	s_or_b64 exec, exec, s[52:53]
.LBB6_14494:                            ;   in Loop: Header=BB6_14344 Depth=3
	s_or_b64 exec, exec, s[50:51]
.LBB6_14495:                            ;   in Loop: Header=BB6_14344 Depth=3
	s_or_b64 exec, exec, s[48:49]
	v_and_b32_e32 v1, 0xff, v24
	v_cmp_ne_u16_e32 vcc, 0, v1
	s_and_saveexec_b64 s[48:49], vcc
	s_cbranch_execz .LBB6_14501
; %bb.14496:                            ;   in Loop: Header=BB6_14344 Depth=3
	v_cmp_ne_u16_e32 vcc, s82, v1
	v_bfrev_b32_e32 v27, 1
	s_and_saveexec_b64 s[50:51], vcc
	s_cbranch_execz .LBB6_14500
; %bb.14497:                            ;   in Loop: Header=BB6_14344 Depth=3
	v_and_b32_e32 v28, 0x7f, v24
	v_cmp_ne_u32_e32 vcc, s83, v28
	v_mov_b32_e32 v27, 0x7f800001
	s_and_saveexec_b64 s[52:53], vcc
	s_cbranch_execz .LBB6_14499
; %bb.14498:                            ;   in Loop: Header=BB6_14344 Depth=3
	v_and_b32_e32 v30, 7, v1
	v_ffbh_u32_e32 v27, v30
	v_min_u32_e32 v33, 32, v27
	v_subrev_u32_e32 v27, 28, v33
	v_lshrrev_b32_e32 v31, 3, v28
	v_cmp_gt_u32_e32 vcc, 8, v28
	v_lshlrev_b64 v[27:28], v27, v[1:2]
	v_sub_u32_e32 v1, 29, v33
	v_and_b32_e32 v27, 7, v27
	v_cndmask_b32_e32 v1, v31, v1, vcc
	v_cndmask_b32_e32 v27, v30, v27, vcc
	v_lshlrev_b32_e32 v28, 24, v24
	v_bfrev_b32_e32 v30, 60
	v_lshlrev_b32_e32 v27, 20, v27
	v_and_b32_e32 v28, 0x80000000, v28
	v_lshl_add_u32 v1, v1, 23, v30
	v_or3_b32 v27, v28, v1, v27
.LBB6_14499:                            ;   in Loop: Header=BB6_14344 Depth=3
	s_or_b64 exec, exec, s[52:53]
.LBB6_14500:                            ;   in Loop: Header=BB6_14344 Depth=3
	s_or_b64 exec, exec, s[50:51]
.LBB6_14501:                            ;   in Loop: Header=BB6_14344 Depth=3
	s_or_b64 exec, exec, s[48:49]
	v_max_f32_e32 v1, v27, v27
	v_max_f32_e32 v2, v2, v2
	;; [unrolled: 1-line block ×3, first 2 shown]
	s_mov_b64 s[48:49], 0
.LBB6_14502:                            ;   in Loop: Header=BB6_14344 Depth=3
	s_and_b64 vcc, exec, s[48:49]
	s_cbranch_vccz .LBB6_14516
; %bb.14503:                            ;   in Loop: Header=BB6_14344 Depth=3
	v_mov_b32_e32 v2, 0
	v_mov_b32_e32 v1, 0
	s_and_saveexec_b64 s[48:49], s[40:41]
	s_cbranch_execz .LBB6_14509
; %bb.14504:                            ;   in Loop: Header=BB6_14344 Depth=3
	v_cmp_ne_u16_e32 vcc, s82, v0
	v_bfrev_b32_e32 v1, 1
	s_and_saveexec_b64 s[40:41], vcc
	s_cbranch_execz .LBB6_14508
; %bb.14505:                            ;   in Loop: Header=BB6_14344 Depth=3
	v_and_b32_e32 v27, 0x7f, v25
	v_cmp_ne_u32_e32 vcc, s83, v27
	v_mov_b32_e32 v1, 0x7f800001
	s_and_saveexec_b64 s[50:51], vcc
	s_cbranch_execz .LBB6_14507
; %bb.14506:                            ;   in Loop: Header=BB6_14344 Depth=3
	v_and_b32_e32 v28, 7, v0
	v_ffbh_u32_e32 v1, v28
	v_lshrrev_b32_e32 v30, 3, v27
	v_cmp_gt_u32_e32 vcc, 8, v27
	v_min_u32_e32 v27, 32, v1
	v_subrev_u32_e32 v1, 28, v27
	v_lshlrev_b64 v[0:1], v1, v[0:1]
	v_sub_u32_e32 v1, 29, v27
	v_and_b32_e32 v0, 7, v0
	v_cndmask_b32_e32 v1, v30, v1, vcc
	v_cndmask_b32_e32 v0, v28, v0, vcc
	v_lshlrev_b32_e32 v25, 24, v25
	v_bfrev_b32_e32 v27, 60
	v_lshlrev_b32_e32 v0, 20, v0
	v_and_b32_e32 v25, 0x80000000, v25
	v_lshl_add_u32 v1, v1, 23, v27
	v_or3_b32 v1, v25, v1, v0
.LBB6_14507:                            ;   in Loop: Header=BB6_14344 Depth=3
	s_or_b64 exec, exec, s[50:51]
.LBB6_14508:                            ;   in Loop: Header=BB6_14344 Depth=3
	s_or_b64 exec, exec, s[40:41]
.LBB6_14509:                            ;   in Loop: Header=BB6_14344 Depth=3
	s_or_b64 exec, exec, s[48:49]
	v_and_b32_e32 v0, 0xff, v24
	v_cmp_ne_u16_e32 vcc, 0, v0
	s_and_saveexec_b64 s[40:41], vcc
	s_cbranch_execz .LBB6_14515
; %bb.14510:                            ;   in Loop: Header=BB6_14344 Depth=3
	v_cmp_ne_u16_e32 vcc, s82, v0
	v_bfrev_b32_e32 v2, 1
	s_and_saveexec_b64 s[48:49], vcc
	s_cbranch_execz .LBB6_14514
; %bb.14511:                            ;   in Loop: Header=BB6_14344 Depth=3
	v_and_b32_e32 v25, 0x7f, v24
	v_cmp_ne_u32_e32 vcc, s83, v25
	v_mov_b32_e32 v2, 0x7f800001
	s_and_saveexec_b64 s[50:51], vcc
	s_cbranch_execz .LBB6_14513
; %bb.14512:                            ;   in Loop: Header=BB6_14344 Depth=3
	v_and_b32_e32 v2, 7, v0
	v_lshrrev_b32_e32 v30, 3, v25
	v_cmp_gt_u32_e32 vcc, 8, v25
	v_ffbh_u32_e32 v25, v2
	v_min_u32_e32 v25, 32, v25
	v_subrev_u32_e32 v27, 28, v25
	v_lshlrev_b64 v[27:28], v27, v[0:1]
	v_sub_u32_e32 v0, 29, v25
	v_and_b32_e32 v25, 7, v27
	v_cndmask_b32_e32 v0, v30, v0, vcc
	v_cndmask_b32_e32 v2, v2, v25, vcc
	v_lshlrev_b32_e32 v24, 24, v24
	v_bfrev_b32_e32 v25, 60
	v_lshlrev_b32_e32 v2, 20, v2
	v_and_b32_e32 v24, 0x80000000, v24
	v_lshl_add_u32 v0, v0, 23, v25
	v_or3_b32 v2, v24, v0, v2
.LBB6_14513:                            ;   in Loop: Header=BB6_14344 Depth=3
	s_or_b64 exec, exec, s[50:51]
.LBB6_14514:                            ;   in Loop: Header=BB6_14344 Depth=3
	s_or_b64 exec, exec, s[48:49]
.LBB6_14515:                            ;   in Loop: Header=BB6_14344 Depth=3
	s_or_b64 exec, exec, s[40:41]
	v_max_f32_e32 v0, v2, v2
	v_max_f32_e32 v1, v1, v1
	v_min_f32_e32 v1, v1, v0
.LBB6_14516:                            ;   in Loop: Header=BB6_14344 Depth=3
	v_and_b32_e32 v52, 0x7f800000, v1
	v_cmp_ne_u64_e32 vcc, s[76:77], v[52:53]
                                        ; implicit-def: $vgpr31
	s_and_saveexec_b64 s[40:41], vcc
	s_xor_b64 s[48:49], exec, s[40:41]
	s_cbranch_execz .LBB6_14534
; %bb.14517:                            ;   in Loop: Header=BB6_14344 Depth=3
	v_and_b32_e32 v52, 0x7fffffff, v1
	v_cmp_gt_u64_e32 vcc, s[78:79], v[52:53]
	v_and_b32_sdwa v24, v1, s82 dst_sel:DWORD dst_unused:UNUSED_PAD src0_sel:BYTE_3 src1_sel:DWORD
                                        ; implicit-def: $vgpr31
	s_and_saveexec_b64 s[40:41], vcc
	s_xor_b64 s[50:51], exec, s[40:41]
	s_cbranch_execz .LBB6_14531
; %bb.14518:                            ;   in Loop: Header=BB6_14344 Depth=3
	v_cmp_ne_u32_e32 vcc, 0, v1
	v_mov_b32_e32 v31, 0
	s_and_saveexec_b64 s[52:53], vcc
	s_cbranch_execz .LBB6_14530
; %bb.14519:                            ;   in Loop: Header=BB6_14344 Depth=3
	v_bfe_u32 v25, v1, 23, 8
	v_and_b32_e32 v0, 0x7fffff, v1
	v_cmp_gt_u32_e64 s[40:41], s85, v25
	v_sub_u32_e32 v1, 0x79, v25
	v_cmp_eq_u32_e32 vcc, 0, v25
	v_cndmask_b32_e64 v1, 0, v1, s[40:41]
	v_mov_b32_e32 v27, 0x78
	v_or_b32_e32 v2, 0x800000, v0
	v_cndmask_b32_e32 v27, v1, v27, vcc
	v_cndmask_b32_e32 v52, v2, v0, vcc
	v_add_u32_e32 v0, 20, v27
	v_lshlrev_b64 v[0:1], v0, -1
	v_add_u32_e32 v2, 19, v27
	v_lshlrev_b64 v[30:31], v2, 1
	v_bfi_b32 v1, v1, 0, 0
	v_bfi_b32 v0, v0, 0, v52
	v_cmp_eq_u64_e64 s[40:41], v[0:1], v[30:31]
	v_lshrrev_b64 v[0:1], v27, v[52:53]
	v_mov_b32_e32 v2, v1
	v_mov_b32_e32 v1, v0
	s_and_saveexec_b64 s[54:55], s[40:41]
; %bb.14520:                            ;   in Loop: Header=BB6_14344 Depth=3
	v_bfe_u32 v1, v0, 20, 1
	v_add_co_u32_e64 v1, s[40:41], v0, v1
	v_add_co_u32_e64 v1, s[40:41], -1, v1
; %bb.14521:                            ;   in Loop: Header=BB6_14344 Depth=3
	s_or_b64 exec, exec, s[54:55]
	v_add_u32_e32 v2, 0xffffff81, v25
	v_mov_b32_e32 v25, 0xffffff82
	v_cndmask_b32_e32 v2, v2, v25, vcc
	v_lshrrev_b32_e32 v25, 23, v0
	v_add3_u32 v27, v27, v2, v25
	v_add_u32_e32 v25, 6, v27
	v_and_b32_e32 v1, 0xfffff, v1
	v_add_u32_e32 v52, v1, v0
	v_cmp_ne_u32_e32 vcc, 0, v25
                                        ; implicit-def: $vgpr0_vgpr1
                                        ; implicit-def: $vgpr2
	s_and_saveexec_b64 s[40:41], vcc
	s_xor_b64 s[40:41], exec, s[40:41]
; %bb.14522:                            ;   in Loop: Header=BB6_14344 Depth=3
	v_cmp_lt_u64_e32 vcc, s[88:89], v[52:53]
	v_add_u32_e32 v0, 7, v27
	v_cndmask_b32_e32 v2, v25, v0, vcc
	v_cndmask_b32_e64 v0, 0, 1, vcc
	v_lshrrev_b64 v[0:1], v0, v[52:53]
; %bb.14523:                            ;   in Loop: Header=BB6_14344 Depth=3
	s_andn2_saveexec_b64 s[40:41], s[40:41]
; %bb.14524:                            ;   in Loop: Header=BB6_14344 Depth=3
	v_mov_b32_e32 v0, v52
	v_bfe_u32 v2, v52, 23, 1
	v_mov_b32_e32 v1, v53
; %bb.14525:                            ;   in Loop: Header=BB6_14344 Depth=3
	s_or_b64 exec, exec, s[40:41]
	v_lshrrev_b64 v[0:1], 20, v[0:1]
	v_cmp_gt_i32_e32 vcc, 16, v2
	v_cndmask_b32_e32 v1, 0, v1, vcc
	v_cndmask_b32_e32 v0, 7, v0, vcc
	v_cmp_ne_u64_e32 vcc, 0, v[0:1]
	v_cmp_ne_u32_e64 s[40:41], 0, v2
	s_or_b64 s[40:41], s[40:41], vcc
                                        ; implicit-def: $vgpr31
	s_and_saveexec_b64 vcc, s[40:41]
	s_xor_b64 s[40:41], exec, vcc
; %bb.14526:                            ;   in Loop: Header=BB6_14344 Depth=3
	v_min_i32_e32 v1, 15, v2
	v_lshl_or_b32 v1, v1, 3, v24
	v_and_or_b32 v31, v0, 7, v1
                                        ; implicit-def: $vgpr24
; %bb.14527:                            ;   in Loop: Header=BB6_14344 Depth=3
	s_andn2_saveexec_b64 s[40:41], s[40:41]
; %bb.14528:                            ;   in Loop: Header=BB6_14344 Depth=3
	v_mov_b32_e32 v31, v24
; %bb.14529:                            ;   in Loop: Header=BB6_14344 Depth=3
	s_or_b64 exec, exec, s[40:41]
.LBB6_14530:                            ;   in Loop: Header=BB6_14344 Depth=3
	s_or_b64 exec, exec, s[52:53]
                                        ; implicit-def: $vgpr24
.LBB6_14531:                            ;   in Loop: Header=BB6_14344 Depth=3
	s_andn2_saveexec_b64 s[40:41], s[50:51]
; %bb.14532:                            ;   in Loop: Header=BB6_14344 Depth=3
	v_or_b32_e32 v31, 0x7e, v24
; %bb.14533:                            ;   in Loop: Header=BB6_14344 Depth=3
	s_or_b64 exec, exec, s[40:41]
                                        ; implicit-def: $vgpr1
.LBB6_14534:                            ;   in Loop: Header=BB6_14344 Depth=3
	s_andn2_saveexec_b64 s[40:41], s[48:49]
; %bb.14535:                            ;   in Loop: Header=BB6_14344 Depth=3
	v_or_b32_sdwa v31, v1, s83 dst_sel:DWORD dst_unused:UNUSED_PAD src0_sel:BYTE_3 src1_sel:DWORD
; %bb.14536:                            ;   in Loop: Header=BB6_14344 Depth=3
	s_or_b64 exec, exec, s[40:41]
	v_and_b32_e32 v0, 0xff, v22
	v_cmp_ne_u16_e64 s[40:41], 0, v0
	s_and_b64 vcc, exec, s[28:29]
	s_mov_b64 s[48:49], -1
                                        ; implicit-def: $vgpr1
	s_cbranch_vccnz .LBB6_14550
; %bb.14537:                            ;   in Loop: Header=BB6_14344 Depth=3
	v_mov_b32_e32 v24, 0
	v_mov_b32_e32 v2, 0
	s_and_saveexec_b64 s[48:49], s[40:41]
	s_cbranch_execz .LBB6_14543
; %bb.14538:                            ;   in Loop: Header=BB6_14344 Depth=3
	v_cmp_ne_u16_e32 vcc, s82, v0
	v_bfrev_b32_e32 v2, 1
	s_and_saveexec_b64 s[50:51], vcc
	s_cbranch_execz .LBB6_14542
; %bb.14539:                            ;   in Loop: Header=BB6_14344 Depth=3
	v_and_b32_e32 v1, 0x7f, v22
	v_cmp_ne_u32_e32 vcc, s83, v1
	v_mov_b32_e32 v2, 0x7f800001
	s_and_saveexec_b64 s[52:53], vcc
	s_cbranch_execz .LBB6_14541
; %bb.14540:                            ;   in Loop: Header=BB6_14344 Depth=3
	v_and_b32_e32 v25, 7, v0
	v_lshrrev_b32_e32 v27, 3, v1
	v_cmp_gt_u32_e32 vcc, 8, v1
	v_ffbh_u32_e32 v1, v25
	v_min_u32_e32 v28, 32, v1
	v_subrev_u32_e32 v1, 28, v28
	v_lshlrev_b64 v[1:2], v1, v[0:1]
	v_sub_u32_e32 v2, 29, v28
	v_and_b32_e32 v1, 7, v1
	v_cndmask_b32_e32 v2, v27, v2, vcc
	v_cndmask_b32_e32 v1, v25, v1, vcc
	v_lshlrev_b32_e32 v25, 24, v22
	v_bfrev_b32_e32 v27, 60
	v_lshlrev_b32_e32 v1, 20, v1
	v_and_b32_e32 v25, 0x80000000, v25
	v_lshl_add_u32 v2, v2, 23, v27
	v_or3_b32 v2, v25, v2, v1
.LBB6_14541:                            ;   in Loop: Header=BB6_14344 Depth=3
	s_or_b64 exec, exec, s[52:53]
.LBB6_14542:                            ;   in Loop: Header=BB6_14344 Depth=3
	s_or_b64 exec, exec, s[50:51]
.LBB6_14543:                            ;   in Loop: Header=BB6_14344 Depth=3
	s_or_b64 exec, exec, s[48:49]
	v_and_b32_e32 v1, 0xff, v21
	v_cmp_ne_u16_e32 vcc, 0, v1
	s_and_saveexec_b64 s[48:49], vcc
	s_cbranch_execz .LBB6_14549
; %bb.14544:                            ;   in Loop: Header=BB6_14344 Depth=3
	v_cmp_ne_u16_e32 vcc, s82, v1
	v_bfrev_b32_e32 v24, 1
	s_and_saveexec_b64 s[50:51], vcc
	s_cbranch_execz .LBB6_14548
; %bb.14545:                            ;   in Loop: Header=BB6_14344 Depth=3
	v_and_b32_e32 v25, 0x7f, v21
	v_cmp_ne_u32_e32 vcc, s83, v25
	v_mov_b32_e32 v24, 0x7f800001
	s_and_saveexec_b64 s[52:53], vcc
	s_cbranch_execz .LBB6_14547
; %bb.14546:                            ;   in Loop: Header=BB6_14344 Depth=3
	v_and_b32_e32 v27, 7, v1
	v_ffbh_u32_e32 v24, v27
	v_min_u32_e32 v30, 32, v24
	v_subrev_u32_e32 v24, 28, v30
	v_lshrrev_b32_e32 v28, 3, v25
	v_cmp_gt_u32_e32 vcc, 8, v25
	v_lshlrev_b64 v[24:25], v24, v[1:2]
	v_sub_u32_e32 v1, 29, v30
	v_and_b32_e32 v24, 7, v24
	v_cndmask_b32_e32 v1, v28, v1, vcc
	v_cndmask_b32_e32 v24, v27, v24, vcc
	v_lshlrev_b32_e32 v25, 24, v21
	v_bfrev_b32_e32 v27, 60
	v_lshlrev_b32_e32 v24, 20, v24
	v_and_b32_e32 v25, 0x80000000, v25
	v_lshl_add_u32 v1, v1, 23, v27
	v_or3_b32 v24, v25, v1, v24
.LBB6_14547:                            ;   in Loop: Header=BB6_14344 Depth=3
	s_or_b64 exec, exec, s[52:53]
.LBB6_14548:                            ;   in Loop: Header=BB6_14344 Depth=3
	s_or_b64 exec, exec, s[50:51]
.LBB6_14549:                            ;   in Loop: Header=BB6_14344 Depth=3
	s_or_b64 exec, exec, s[48:49]
	v_max_f32_e32 v1, v24, v24
	v_max_f32_e32 v2, v2, v2
	;; [unrolled: 1-line block ×3, first 2 shown]
	s_mov_b64 s[48:49], 0
.LBB6_14550:                            ;   in Loop: Header=BB6_14344 Depth=3
	s_and_b64 vcc, exec, s[48:49]
	s_cbranch_vccz .LBB6_14564
; %bb.14551:                            ;   in Loop: Header=BB6_14344 Depth=3
	v_mov_b32_e32 v2, 0
	v_mov_b32_e32 v1, 0
	s_and_saveexec_b64 s[48:49], s[40:41]
	s_cbranch_execz .LBB6_14557
; %bb.14552:                            ;   in Loop: Header=BB6_14344 Depth=3
	v_cmp_ne_u16_e32 vcc, s82, v0
	v_bfrev_b32_e32 v1, 1
	s_and_saveexec_b64 s[40:41], vcc
	s_cbranch_execz .LBB6_14556
; %bb.14553:                            ;   in Loop: Header=BB6_14344 Depth=3
	v_and_b32_e32 v24, 0x7f, v22
	v_cmp_ne_u32_e32 vcc, s83, v24
	v_mov_b32_e32 v1, 0x7f800001
	s_and_saveexec_b64 s[50:51], vcc
	s_cbranch_execz .LBB6_14555
; %bb.14554:                            ;   in Loop: Header=BB6_14344 Depth=3
	v_and_b32_e32 v25, 7, v0
	v_ffbh_u32_e32 v1, v25
	v_lshrrev_b32_e32 v27, 3, v24
	v_cmp_gt_u32_e32 vcc, 8, v24
	v_min_u32_e32 v24, 32, v1
	v_subrev_u32_e32 v1, 28, v24
	v_lshlrev_b64 v[0:1], v1, v[0:1]
	v_sub_u32_e32 v1, 29, v24
	v_and_b32_e32 v0, 7, v0
	v_cndmask_b32_e32 v1, v27, v1, vcc
	v_cndmask_b32_e32 v0, v25, v0, vcc
	v_lshlrev_b32_e32 v22, 24, v22
	v_bfrev_b32_e32 v24, 60
	v_lshlrev_b32_e32 v0, 20, v0
	v_and_b32_e32 v22, 0x80000000, v22
	v_lshl_add_u32 v1, v1, 23, v24
	v_or3_b32 v1, v22, v1, v0
.LBB6_14555:                            ;   in Loop: Header=BB6_14344 Depth=3
	s_or_b64 exec, exec, s[50:51]
.LBB6_14556:                            ;   in Loop: Header=BB6_14344 Depth=3
	s_or_b64 exec, exec, s[40:41]
.LBB6_14557:                            ;   in Loop: Header=BB6_14344 Depth=3
	s_or_b64 exec, exec, s[48:49]
	v_and_b32_e32 v0, 0xff, v21
	v_cmp_ne_u16_e32 vcc, 0, v0
	s_and_saveexec_b64 s[40:41], vcc
	s_cbranch_execz .LBB6_14563
; %bb.14558:                            ;   in Loop: Header=BB6_14344 Depth=3
	v_cmp_ne_u16_e32 vcc, s82, v0
	v_bfrev_b32_e32 v2, 1
	s_and_saveexec_b64 s[48:49], vcc
	s_cbranch_execz .LBB6_14562
; %bb.14559:                            ;   in Loop: Header=BB6_14344 Depth=3
	v_and_b32_e32 v22, 0x7f, v21
	v_cmp_ne_u32_e32 vcc, s83, v22
	v_mov_b32_e32 v2, 0x7f800001
	s_and_saveexec_b64 s[50:51], vcc
	s_cbranch_execz .LBB6_14561
; %bb.14560:                            ;   in Loop: Header=BB6_14344 Depth=3
	v_and_b32_e32 v2, 7, v0
	v_lshrrev_b32_e32 v27, 3, v22
	v_cmp_gt_u32_e32 vcc, 8, v22
	v_ffbh_u32_e32 v22, v2
	v_min_u32_e32 v22, 32, v22
	v_subrev_u32_e32 v24, 28, v22
	v_lshlrev_b64 v[24:25], v24, v[0:1]
	v_sub_u32_e32 v0, 29, v22
	v_and_b32_e32 v22, 7, v24
	v_cndmask_b32_e32 v0, v27, v0, vcc
	v_cndmask_b32_e32 v2, v2, v22, vcc
	v_lshlrev_b32_e32 v21, 24, v21
	v_bfrev_b32_e32 v22, 60
	v_lshlrev_b32_e32 v2, 20, v2
	v_and_b32_e32 v21, 0x80000000, v21
	v_lshl_add_u32 v0, v0, 23, v22
	v_or3_b32 v2, v21, v0, v2
.LBB6_14561:                            ;   in Loop: Header=BB6_14344 Depth=3
	s_or_b64 exec, exec, s[50:51]
.LBB6_14562:                            ;   in Loop: Header=BB6_14344 Depth=3
	s_or_b64 exec, exec, s[48:49]
.LBB6_14563:                            ;   in Loop: Header=BB6_14344 Depth=3
	s_or_b64 exec, exec, s[40:41]
	v_max_f32_e32 v0, v2, v2
	v_max_f32_e32 v1, v1, v1
	v_min_f32_e32 v1, v1, v0
.LBB6_14564:                            ;   in Loop: Header=BB6_14344 Depth=3
	v_and_b32_e32 v52, 0x7f800000, v1
	v_cmp_ne_u64_e32 vcc, s[76:77], v[52:53]
                                        ; implicit-def: $vgpr30
	s_and_saveexec_b64 s[40:41], vcc
	s_xor_b64 s[48:49], exec, s[40:41]
	s_cbranch_execz .LBB6_14582
; %bb.14565:                            ;   in Loop: Header=BB6_14344 Depth=3
	v_and_b32_e32 v52, 0x7fffffff, v1
	v_cmp_gt_u64_e32 vcc, s[78:79], v[52:53]
	v_and_b32_sdwa v21, v1, s82 dst_sel:DWORD dst_unused:UNUSED_PAD src0_sel:BYTE_3 src1_sel:DWORD
                                        ; implicit-def: $vgpr30
	s_and_saveexec_b64 s[40:41], vcc
	s_xor_b64 s[50:51], exec, s[40:41]
	s_cbranch_execz .LBB6_14579
; %bb.14566:                            ;   in Loop: Header=BB6_14344 Depth=3
	v_cmp_ne_u32_e32 vcc, 0, v1
	v_mov_b32_e32 v30, 0
	s_and_saveexec_b64 s[52:53], vcc
	s_cbranch_execz .LBB6_14578
; %bb.14567:                            ;   in Loop: Header=BB6_14344 Depth=3
	v_bfe_u32 v22, v1, 23, 8
	v_and_b32_e32 v0, 0x7fffff, v1
	v_cmp_gt_u32_e64 s[40:41], s85, v22
	v_sub_u32_e32 v1, 0x79, v22
	v_cmp_eq_u32_e32 vcc, 0, v22
	v_cndmask_b32_e64 v1, 0, v1, s[40:41]
	v_mov_b32_e32 v24, 0x78
	v_or_b32_e32 v2, 0x800000, v0
	v_cndmask_b32_e32 v24, v1, v24, vcc
	v_cndmask_b32_e32 v52, v2, v0, vcc
	v_add_u32_e32 v0, 20, v24
	v_lshlrev_b64 v[0:1], v0, -1
	v_add_u32_e32 v2, 19, v24
	v_lshlrev_b64 v[27:28], v2, 1
	v_bfi_b32 v1, v1, 0, 0
	v_bfi_b32 v0, v0, 0, v52
	v_cmp_eq_u64_e64 s[40:41], v[0:1], v[27:28]
	v_lshrrev_b64 v[0:1], v24, v[52:53]
	v_mov_b32_e32 v2, v1
	v_mov_b32_e32 v1, v0
	s_and_saveexec_b64 s[54:55], s[40:41]
; %bb.14568:                            ;   in Loop: Header=BB6_14344 Depth=3
	v_bfe_u32 v1, v0, 20, 1
	v_add_co_u32_e64 v1, s[40:41], v0, v1
	v_add_co_u32_e64 v1, s[40:41], -1, v1
; %bb.14569:                            ;   in Loop: Header=BB6_14344 Depth=3
	s_or_b64 exec, exec, s[54:55]
	v_add_u32_e32 v2, 0xffffff81, v22
	v_mov_b32_e32 v22, 0xffffff82
	v_cndmask_b32_e32 v2, v2, v22, vcc
	v_lshrrev_b32_e32 v22, 23, v0
	v_add3_u32 v24, v24, v2, v22
	v_add_u32_e32 v22, 6, v24
	v_and_b32_e32 v1, 0xfffff, v1
	v_add_u32_e32 v52, v1, v0
	v_cmp_ne_u32_e32 vcc, 0, v22
                                        ; implicit-def: $vgpr0_vgpr1
                                        ; implicit-def: $vgpr2
	s_and_saveexec_b64 s[40:41], vcc
	s_xor_b64 s[40:41], exec, s[40:41]
; %bb.14570:                            ;   in Loop: Header=BB6_14344 Depth=3
	v_cmp_lt_u64_e32 vcc, s[88:89], v[52:53]
	v_add_u32_e32 v0, 7, v24
	v_cndmask_b32_e32 v2, v22, v0, vcc
	v_cndmask_b32_e64 v0, 0, 1, vcc
	v_lshrrev_b64 v[0:1], v0, v[52:53]
; %bb.14571:                            ;   in Loop: Header=BB6_14344 Depth=3
	s_andn2_saveexec_b64 s[40:41], s[40:41]
; %bb.14572:                            ;   in Loop: Header=BB6_14344 Depth=3
	v_mov_b32_e32 v0, v52
	v_bfe_u32 v2, v52, 23, 1
	v_mov_b32_e32 v1, v53
; %bb.14573:                            ;   in Loop: Header=BB6_14344 Depth=3
	s_or_b64 exec, exec, s[40:41]
	v_lshrrev_b64 v[0:1], 20, v[0:1]
	v_cmp_gt_i32_e32 vcc, 16, v2
	v_cndmask_b32_e32 v1, 0, v1, vcc
	v_cndmask_b32_e32 v0, 7, v0, vcc
	v_cmp_ne_u64_e32 vcc, 0, v[0:1]
	v_cmp_ne_u32_e64 s[40:41], 0, v2
	s_or_b64 s[40:41], s[40:41], vcc
                                        ; implicit-def: $vgpr30
	s_and_saveexec_b64 vcc, s[40:41]
	s_xor_b64 s[40:41], exec, vcc
; %bb.14574:                            ;   in Loop: Header=BB6_14344 Depth=3
	v_min_i32_e32 v1, 15, v2
	v_lshl_or_b32 v1, v1, 3, v21
	v_and_or_b32 v30, v0, 7, v1
                                        ; implicit-def: $vgpr21
; %bb.14575:                            ;   in Loop: Header=BB6_14344 Depth=3
	s_andn2_saveexec_b64 s[40:41], s[40:41]
; %bb.14576:                            ;   in Loop: Header=BB6_14344 Depth=3
	v_mov_b32_e32 v30, v21
; %bb.14577:                            ;   in Loop: Header=BB6_14344 Depth=3
	s_or_b64 exec, exec, s[40:41]
.LBB6_14578:                            ;   in Loop: Header=BB6_14344 Depth=3
	s_or_b64 exec, exec, s[52:53]
                                        ; implicit-def: $vgpr21
.LBB6_14579:                            ;   in Loop: Header=BB6_14344 Depth=3
	s_andn2_saveexec_b64 s[40:41], s[50:51]
; %bb.14580:                            ;   in Loop: Header=BB6_14344 Depth=3
	v_or_b32_e32 v30, 0x7e, v21
; %bb.14581:                            ;   in Loop: Header=BB6_14344 Depth=3
	s_or_b64 exec, exec, s[40:41]
                                        ; implicit-def: $vgpr1
.LBB6_14582:                            ;   in Loop: Header=BB6_14344 Depth=3
	s_andn2_saveexec_b64 s[40:41], s[48:49]
; %bb.14583:                            ;   in Loop: Header=BB6_14344 Depth=3
	v_or_b32_sdwa v30, v1, s83 dst_sel:DWORD dst_unused:UNUSED_PAD src0_sel:BYTE_3 src1_sel:DWORD
; %bb.14584:                            ;   in Loop: Header=BB6_14344 Depth=3
	s_or_b64 exec, exec, s[40:41]
	v_and_b32_e32 v0, 0xff, v29
	v_cmp_ne_u16_e64 s[40:41], 0, v0
	s_and_b64 vcc, exec, s[28:29]
	s_mov_b64 s[48:49], -1
                                        ; implicit-def: $vgpr1
	s_cbranch_vccnz .LBB6_14598
; %bb.14585:                            ;   in Loop: Header=BB6_14344 Depth=3
	v_mov_b32_e32 v21, 0
	v_mov_b32_e32 v2, 0
	s_and_saveexec_b64 s[48:49], s[40:41]
	s_cbranch_execz .LBB6_14591
; %bb.14586:                            ;   in Loop: Header=BB6_14344 Depth=3
	v_cmp_ne_u16_e32 vcc, s82, v0
	v_bfrev_b32_e32 v2, 1
	s_and_saveexec_b64 s[50:51], vcc
	s_cbranch_execz .LBB6_14590
; %bb.14587:                            ;   in Loop: Header=BB6_14344 Depth=3
	v_and_b32_e32 v1, 0x7f, v29
	v_cmp_ne_u32_e32 vcc, s83, v1
	v_mov_b32_e32 v2, 0x7f800001
	s_and_saveexec_b64 s[52:53], vcc
	s_cbranch_execz .LBB6_14589
; %bb.14588:                            ;   in Loop: Header=BB6_14344 Depth=3
	v_and_b32_e32 v22, 7, v0
	v_lshrrev_b32_e32 v24, 3, v1
	v_cmp_gt_u32_e32 vcc, 8, v1
	v_ffbh_u32_e32 v1, v22
	v_min_u32_e32 v25, 32, v1
	v_subrev_u32_e32 v1, 28, v25
	v_lshlrev_b64 v[1:2], v1, v[0:1]
	v_sub_u32_e32 v2, 29, v25
	v_and_b32_e32 v1, 7, v1
	v_cndmask_b32_e32 v2, v24, v2, vcc
	v_cndmask_b32_e32 v1, v22, v1, vcc
	v_lshlrev_b32_e32 v22, 24, v29
	v_bfrev_b32_e32 v24, 60
	v_lshlrev_b32_e32 v1, 20, v1
	v_and_b32_e32 v22, 0x80000000, v22
	v_lshl_add_u32 v2, v2, 23, v24
	v_or3_b32 v2, v22, v2, v1
.LBB6_14589:                            ;   in Loop: Header=BB6_14344 Depth=3
	s_or_b64 exec, exec, s[52:53]
.LBB6_14590:                            ;   in Loop: Header=BB6_14344 Depth=3
	s_or_b64 exec, exec, s[50:51]
.LBB6_14591:                            ;   in Loop: Header=BB6_14344 Depth=3
	s_or_b64 exec, exec, s[48:49]
	v_and_b32_e32 v1, 0xff, v32
	v_cmp_ne_u16_e32 vcc, 0, v1
	s_and_saveexec_b64 s[48:49], vcc
	s_cbranch_execz .LBB6_14597
; %bb.14592:                            ;   in Loop: Header=BB6_14344 Depth=3
	v_cmp_ne_u16_e32 vcc, s82, v1
	v_bfrev_b32_e32 v21, 1
	s_and_saveexec_b64 s[50:51], vcc
	s_cbranch_execz .LBB6_14596
; %bb.14593:                            ;   in Loop: Header=BB6_14344 Depth=3
	v_and_b32_e32 v22, 0x7f, v32
	v_cmp_ne_u32_e32 vcc, s83, v22
	v_mov_b32_e32 v21, 0x7f800001
	s_and_saveexec_b64 s[52:53], vcc
	s_cbranch_execz .LBB6_14595
; %bb.14594:                            ;   in Loop: Header=BB6_14344 Depth=3
	v_and_b32_e32 v24, 7, v1
	v_ffbh_u32_e32 v21, v24
	v_min_u32_e32 v27, 32, v21
	v_subrev_u32_e32 v21, 28, v27
	v_lshrrev_b32_e32 v25, 3, v22
	v_cmp_gt_u32_e32 vcc, 8, v22
	v_lshlrev_b64 v[21:22], v21, v[1:2]
	v_sub_u32_e32 v1, 29, v27
	v_and_b32_e32 v21, 7, v21
	v_cndmask_b32_e32 v1, v25, v1, vcc
	v_cndmask_b32_e32 v21, v24, v21, vcc
	v_lshlrev_b32_e32 v22, 24, v32
	v_bfrev_b32_e32 v24, 60
	v_lshlrev_b32_e32 v21, 20, v21
	v_and_b32_e32 v22, 0x80000000, v22
	v_lshl_add_u32 v1, v1, 23, v24
	v_or3_b32 v21, v22, v1, v21
.LBB6_14595:                            ;   in Loop: Header=BB6_14344 Depth=3
	s_or_b64 exec, exec, s[52:53]
.LBB6_14596:                            ;   in Loop: Header=BB6_14344 Depth=3
	s_or_b64 exec, exec, s[50:51]
.LBB6_14597:                            ;   in Loop: Header=BB6_14344 Depth=3
	s_or_b64 exec, exec, s[48:49]
	v_max_f32_e32 v1, v21, v21
	v_max_f32_e32 v2, v2, v2
	v_max_f32_e32 v1, v2, v1
	s_mov_b64 s[48:49], 0
.LBB6_14598:                            ;   in Loop: Header=BB6_14344 Depth=3
	s_and_b64 vcc, exec, s[48:49]
	s_cbranch_vccz .LBB6_14612
; %bb.14599:                            ;   in Loop: Header=BB6_14344 Depth=3
	v_mov_b32_e32 v2, 0
	v_mov_b32_e32 v1, 0
	s_and_saveexec_b64 s[48:49], s[40:41]
	s_cbranch_execz .LBB6_14605
; %bb.14600:                            ;   in Loop: Header=BB6_14344 Depth=3
	v_cmp_ne_u16_e32 vcc, s82, v0
	v_bfrev_b32_e32 v1, 1
	s_and_saveexec_b64 s[40:41], vcc
	s_cbranch_execz .LBB6_14604
; %bb.14601:                            ;   in Loop: Header=BB6_14344 Depth=3
	v_and_b32_e32 v21, 0x7f, v29
	v_cmp_ne_u32_e32 vcc, s83, v21
	v_mov_b32_e32 v1, 0x7f800001
	s_and_saveexec_b64 s[50:51], vcc
	s_cbranch_execz .LBB6_14603
; %bb.14602:                            ;   in Loop: Header=BB6_14344 Depth=3
	v_and_b32_e32 v22, 7, v0
	v_ffbh_u32_e32 v1, v22
	v_lshrrev_b32_e32 v24, 3, v21
	v_cmp_gt_u32_e32 vcc, 8, v21
	v_min_u32_e32 v21, 32, v1
	v_subrev_u32_e32 v1, 28, v21
	v_lshlrev_b64 v[0:1], v1, v[0:1]
	v_sub_u32_e32 v1, 29, v21
	v_and_b32_e32 v0, 7, v0
	v_cndmask_b32_e32 v1, v24, v1, vcc
	v_cndmask_b32_e32 v0, v22, v0, vcc
	v_lshlrev_b32_e32 v21, 24, v29
	v_bfrev_b32_e32 v22, 60
	v_lshlrev_b32_e32 v0, 20, v0
	v_and_b32_e32 v21, 0x80000000, v21
	v_lshl_add_u32 v1, v1, 23, v22
	v_or3_b32 v1, v21, v1, v0
.LBB6_14603:                            ;   in Loop: Header=BB6_14344 Depth=3
	s_or_b64 exec, exec, s[50:51]
.LBB6_14604:                            ;   in Loop: Header=BB6_14344 Depth=3
	s_or_b64 exec, exec, s[40:41]
.LBB6_14605:                            ;   in Loop: Header=BB6_14344 Depth=3
	s_or_b64 exec, exec, s[48:49]
	v_and_b32_e32 v0, 0xff, v32
	v_cmp_ne_u16_e32 vcc, 0, v0
	s_and_saveexec_b64 s[40:41], vcc
	s_cbranch_execz .LBB6_14611
; %bb.14606:                            ;   in Loop: Header=BB6_14344 Depth=3
	v_cmp_ne_u16_e32 vcc, s82, v0
	v_bfrev_b32_e32 v2, 1
	s_and_saveexec_b64 s[48:49], vcc
	s_cbranch_execz .LBB6_14610
; %bb.14607:                            ;   in Loop: Header=BB6_14344 Depth=3
	v_and_b32_e32 v21, 0x7f, v32
	v_cmp_ne_u32_e32 vcc, s83, v21
	v_mov_b32_e32 v2, 0x7f800001
	s_and_saveexec_b64 s[50:51], vcc
	s_cbranch_execz .LBB6_14609
; %bb.14608:                            ;   in Loop: Header=BB6_14344 Depth=3
	v_and_b32_e32 v2, 7, v0
	v_lshrrev_b32_e32 v24, 3, v21
	v_cmp_gt_u32_e32 vcc, 8, v21
	v_ffbh_u32_e32 v21, v2
	v_min_u32_e32 v25, 32, v21
	v_subrev_u32_e32 v21, 28, v25
	v_lshlrev_b64 v[21:22], v21, v[0:1]
	v_sub_u32_e32 v0, 29, v25
	v_and_b32_e32 v21, 7, v21
	v_cndmask_b32_e32 v0, v24, v0, vcc
	v_cndmask_b32_e32 v2, v2, v21, vcc
	v_lshlrev_b32_e32 v21, 24, v32
	v_bfrev_b32_e32 v22, 60
	v_lshlrev_b32_e32 v2, 20, v2
	v_and_b32_e32 v21, 0x80000000, v21
	v_lshl_add_u32 v0, v0, 23, v22
	v_or3_b32 v2, v21, v0, v2
.LBB6_14609:                            ;   in Loop: Header=BB6_14344 Depth=3
	s_or_b64 exec, exec, s[50:51]
.LBB6_14610:                            ;   in Loop: Header=BB6_14344 Depth=3
	s_or_b64 exec, exec, s[48:49]
.LBB6_14611:                            ;   in Loop: Header=BB6_14344 Depth=3
	s_or_b64 exec, exec, s[40:41]
	v_max_f32_e32 v0, v2, v2
	v_max_f32_e32 v1, v1, v1
	v_min_f32_e32 v1, v1, v0
.LBB6_14612:                            ;   in Loop: Header=BB6_14344 Depth=3
	v_and_b32_e32 v52, 0x7f800000, v1
	v_cmp_ne_u64_e32 vcc, s[76:77], v[52:53]
                                        ; implicit-def: $vgpr32
	s_mov_b64 s[40:41], exec
	s_and_b64 vcc, s[40:41], vcc
	s_xor_b64 s[48:49], vcc, s[40:41]
	v_mov_b32_e32 v29, v48
	v_mov_b32_e32 v48, v46
	s_mov_b64 exec, vcc
	s_cbranch_execz .LBB6_14630
; %bb.14613:                            ;   in Loop: Header=BB6_14344 Depth=3
	v_and_b32_e32 v52, 0x7fffffff, v1
	v_cmp_gt_u64_e32 vcc, s[78:79], v[52:53]
	v_and_b32_sdwa v21, v1, s82 dst_sel:DWORD dst_unused:UNUSED_PAD src0_sel:BYTE_3 src1_sel:DWORD
                                        ; implicit-def: $vgpr32
	s_and_saveexec_b64 s[40:41], vcc
	s_xor_b64 s[50:51], exec, s[40:41]
	s_cbranch_execz .LBB6_14627
; %bb.14614:                            ;   in Loop: Header=BB6_14344 Depth=3
	v_cmp_ne_u32_e32 vcc, 0, v1
	v_mov_b32_e32 v32, 0
	s_and_saveexec_b64 s[52:53], vcc
	s_cbranch_execz .LBB6_14626
; %bb.14615:                            ;   in Loop: Header=BB6_14344 Depth=3
	v_bfe_u32 v22, v1, 23, 8
	v_and_b32_e32 v0, 0x7fffff, v1
	v_cmp_gt_u32_e64 s[40:41], s85, v22
	v_sub_u32_e32 v1, 0x79, v22
	v_cmp_eq_u32_e32 vcc, 0, v22
	v_cndmask_b32_e64 v1, 0, v1, s[40:41]
	v_mov_b32_e32 v24, 0x78
	v_or_b32_e32 v2, 0x800000, v0
	v_cndmask_b32_e32 v24, v1, v24, vcc
	v_cndmask_b32_e32 v52, v2, v0, vcc
	v_add_u32_e32 v0, 20, v24
	v_lshlrev_b64 v[0:1], v0, -1
	v_add_u32_e32 v2, 19, v24
	v_lshlrev_b64 v[27:28], v2, 1
	v_bfi_b32 v1, v1, 0, 0
	v_bfi_b32 v0, v0, 0, v52
	v_cmp_eq_u64_e64 s[40:41], v[0:1], v[27:28]
	v_lshrrev_b64 v[0:1], v24, v[52:53]
	v_mov_b32_e32 v2, v1
	v_mov_b32_e32 v1, v0
	s_and_saveexec_b64 s[54:55], s[40:41]
; %bb.14616:                            ;   in Loop: Header=BB6_14344 Depth=3
	v_bfe_u32 v1, v0, 20, 1
	v_add_co_u32_e64 v1, s[40:41], v0, v1
	v_add_co_u32_e64 v1, s[40:41], -1, v1
; %bb.14617:                            ;   in Loop: Header=BB6_14344 Depth=3
	s_or_b64 exec, exec, s[54:55]
	v_add_u32_e32 v2, 0xffffff81, v22
	v_mov_b32_e32 v22, 0xffffff82
	v_cndmask_b32_e32 v2, v2, v22, vcc
	v_lshrrev_b32_e32 v22, 23, v0
	v_add3_u32 v24, v24, v2, v22
	v_add_u32_e32 v22, 6, v24
	v_and_b32_e32 v1, 0xfffff, v1
	v_add_u32_e32 v52, v1, v0
	v_cmp_ne_u32_e32 vcc, 0, v22
                                        ; implicit-def: $vgpr0_vgpr1
                                        ; implicit-def: $vgpr2
	s_and_saveexec_b64 s[40:41], vcc
	s_xor_b64 s[40:41], exec, s[40:41]
; %bb.14618:                            ;   in Loop: Header=BB6_14344 Depth=3
	v_cmp_lt_u64_e32 vcc, s[88:89], v[52:53]
	v_add_u32_e32 v0, 7, v24
	v_cndmask_b32_e32 v2, v22, v0, vcc
	v_cndmask_b32_e64 v0, 0, 1, vcc
	v_lshrrev_b64 v[0:1], v0, v[52:53]
; %bb.14619:                            ;   in Loop: Header=BB6_14344 Depth=3
	s_andn2_saveexec_b64 s[40:41], s[40:41]
; %bb.14620:                            ;   in Loop: Header=BB6_14344 Depth=3
	v_mov_b32_e32 v0, v52
	v_bfe_u32 v2, v52, 23, 1
	v_mov_b32_e32 v1, v53
; %bb.14621:                            ;   in Loop: Header=BB6_14344 Depth=3
	s_or_b64 exec, exec, s[40:41]
	v_lshrrev_b64 v[0:1], 20, v[0:1]
	v_cmp_gt_i32_e32 vcc, 16, v2
	v_cndmask_b32_e32 v1, 0, v1, vcc
	v_cndmask_b32_e32 v0, 7, v0, vcc
	v_cmp_ne_u64_e32 vcc, 0, v[0:1]
	v_cmp_ne_u32_e64 s[40:41], 0, v2
	s_or_b64 s[40:41], s[40:41], vcc
                                        ; implicit-def: $vgpr32
	s_and_saveexec_b64 vcc, s[40:41]
	s_xor_b64 s[40:41], exec, vcc
; %bb.14622:                            ;   in Loop: Header=BB6_14344 Depth=3
	v_min_i32_e32 v1, 15, v2
	v_lshl_or_b32 v1, v1, 3, v21
	v_and_or_b32 v32, v0, 7, v1
                                        ; implicit-def: $vgpr21
; %bb.14623:                            ;   in Loop: Header=BB6_14344 Depth=3
	s_andn2_saveexec_b64 s[40:41], s[40:41]
; %bb.14624:                            ;   in Loop: Header=BB6_14344 Depth=3
	v_mov_b32_e32 v32, v21
; %bb.14625:                            ;   in Loop: Header=BB6_14344 Depth=3
	s_or_b64 exec, exec, s[40:41]
.LBB6_14626:                            ;   in Loop: Header=BB6_14344 Depth=3
	s_or_b64 exec, exec, s[52:53]
                                        ; implicit-def: $vgpr21
.LBB6_14627:                            ;   in Loop: Header=BB6_14344 Depth=3
	s_andn2_saveexec_b64 s[40:41], s[50:51]
; %bb.14628:                            ;   in Loop: Header=BB6_14344 Depth=3
	v_or_b32_e32 v32, 0x7e, v21
; %bb.14629:                            ;   in Loop: Header=BB6_14344 Depth=3
	s_or_b64 exec, exec, s[40:41]
                                        ; implicit-def: $vgpr1
.LBB6_14630:                            ;   in Loop: Header=BB6_14344 Depth=3
	s_andn2_saveexec_b64 s[40:41], s[48:49]
; %bb.14631:                            ;   in Loop: Header=BB6_14344 Depth=3
	v_or_b32_sdwa v32, v1, s83 dst_sel:DWORD dst_unused:UNUSED_PAD src0_sel:BYTE_3 src1_sel:DWORD
; %bb.14632:                            ;   in Loop: Header=BB6_14344 Depth=3
	s_or_b64 exec, exec, s[40:41]
	v_and_b32_e32 v0, 0xff, v19
	v_cmp_ne_u16_e64 s[40:41], 0, v0
	s_and_b64 vcc, exec, s[28:29]
	s_mov_b64 s[48:49], -1
                                        ; implicit-def: $vgpr1
	s_cbranch_vccnz .LBB6_14646
; %bb.14633:                            ;   in Loop: Header=BB6_14344 Depth=3
	v_mov_b32_e32 v21, 0
	v_mov_b32_e32 v2, 0
	s_and_saveexec_b64 s[48:49], s[40:41]
	s_cbranch_execz .LBB6_14639
; %bb.14634:                            ;   in Loop: Header=BB6_14344 Depth=3
	v_cmp_ne_u16_e32 vcc, s82, v0
	v_bfrev_b32_e32 v2, 1
	s_and_saveexec_b64 s[50:51], vcc
	s_cbranch_execz .LBB6_14638
; %bb.14635:                            ;   in Loop: Header=BB6_14344 Depth=3
	v_and_b32_e32 v1, 0x7f, v19
	v_cmp_ne_u32_e32 vcc, s83, v1
	v_mov_b32_e32 v2, 0x7f800001
	s_and_saveexec_b64 s[52:53], vcc
	s_cbranch_execz .LBB6_14637
; %bb.14636:                            ;   in Loop: Header=BB6_14344 Depth=3
	v_and_b32_e32 v22, 7, v0
	v_lshrrev_b32_e32 v24, 3, v1
	v_cmp_gt_u32_e32 vcc, 8, v1
	v_ffbh_u32_e32 v1, v22
	v_min_u32_e32 v25, 32, v1
	v_subrev_u32_e32 v1, 28, v25
	v_lshlrev_b64 v[1:2], v1, v[0:1]
	v_sub_u32_e32 v2, 29, v25
	v_and_b32_e32 v1, 7, v1
	v_cndmask_b32_e32 v2, v24, v2, vcc
	v_cndmask_b32_e32 v1, v22, v1, vcc
	v_lshlrev_b32_e32 v22, 24, v19
	v_bfrev_b32_e32 v24, 60
	v_lshlrev_b32_e32 v1, 20, v1
	v_and_b32_e32 v22, 0x80000000, v22
	v_lshl_add_u32 v2, v2, 23, v24
	v_or3_b32 v2, v22, v2, v1
.LBB6_14637:                            ;   in Loop: Header=BB6_14344 Depth=3
	s_or_b64 exec, exec, s[52:53]
.LBB6_14638:                            ;   in Loop: Header=BB6_14344 Depth=3
	s_or_b64 exec, exec, s[50:51]
.LBB6_14639:                            ;   in Loop: Header=BB6_14344 Depth=3
	s_or_b64 exec, exec, s[48:49]
	v_and_b32_e32 v1, 0xff, v35
	v_cmp_ne_u16_e32 vcc, 0, v1
	s_and_saveexec_b64 s[48:49], vcc
	s_cbranch_execz .LBB6_14645
; %bb.14640:                            ;   in Loop: Header=BB6_14344 Depth=3
	v_cmp_ne_u16_e32 vcc, s82, v1
	v_bfrev_b32_e32 v21, 1
	s_and_saveexec_b64 s[50:51], vcc
	s_cbranch_execz .LBB6_14644
; %bb.14641:                            ;   in Loop: Header=BB6_14344 Depth=3
	v_and_b32_e32 v22, 0x7f, v35
	v_cmp_ne_u32_e32 vcc, s83, v22
	v_mov_b32_e32 v21, 0x7f800001
	s_and_saveexec_b64 s[52:53], vcc
	s_cbranch_execz .LBB6_14643
; %bb.14642:                            ;   in Loop: Header=BB6_14344 Depth=3
	v_and_b32_e32 v24, 7, v1
	v_ffbh_u32_e32 v21, v24
	v_min_u32_e32 v27, 32, v21
	v_subrev_u32_e32 v21, 28, v27
	v_lshrrev_b32_e32 v25, 3, v22
	v_cmp_gt_u32_e32 vcc, 8, v22
	v_lshlrev_b64 v[21:22], v21, v[1:2]
	v_sub_u32_e32 v1, 29, v27
	v_and_b32_e32 v21, 7, v21
	v_cndmask_b32_e32 v1, v25, v1, vcc
	v_cndmask_b32_e32 v21, v24, v21, vcc
	v_lshlrev_b32_e32 v22, 24, v35
	v_bfrev_b32_e32 v24, 60
	v_lshlrev_b32_e32 v21, 20, v21
	v_and_b32_e32 v22, 0x80000000, v22
	v_lshl_add_u32 v1, v1, 23, v24
	v_or3_b32 v21, v22, v1, v21
.LBB6_14643:                            ;   in Loop: Header=BB6_14344 Depth=3
	s_or_b64 exec, exec, s[52:53]
.LBB6_14644:                            ;   in Loop: Header=BB6_14344 Depth=3
	s_or_b64 exec, exec, s[50:51]
.LBB6_14645:                            ;   in Loop: Header=BB6_14344 Depth=3
	s_or_b64 exec, exec, s[48:49]
	v_max_f32_e32 v1, v21, v21
	v_max_f32_e32 v2, v2, v2
	;; [unrolled: 1-line block ×3, first 2 shown]
	s_mov_b64 s[48:49], 0
.LBB6_14646:                            ;   in Loop: Header=BB6_14344 Depth=3
	s_and_b64 vcc, exec, s[48:49]
	s_cbranch_vccz .LBB6_14660
; %bb.14647:                            ;   in Loop: Header=BB6_14344 Depth=3
	v_mov_b32_e32 v2, 0
	v_mov_b32_e32 v1, 0
	s_and_saveexec_b64 s[48:49], s[40:41]
	s_cbranch_execz .LBB6_14653
; %bb.14648:                            ;   in Loop: Header=BB6_14344 Depth=3
	v_cmp_ne_u16_e32 vcc, s82, v0
	v_bfrev_b32_e32 v1, 1
	s_and_saveexec_b64 s[40:41], vcc
	s_cbranch_execz .LBB6_14652
; %bb.14649:                            ;   in Loop: Header=BB6_14344 Depth=3
	v_and_b32_e32 v21, 0x7f, v19
	v_cmp_ne_u32_e32 vcc, s83, v21
	v_mov_b32_e32 v1, 0x7f800001
	s_and_saveexec_b64 s[50:51], vcc
	s_cbranch_execz .LBB6_14651
; %bb.14650:                            ;   in Loop: Header=BB6_14344 Depth=3
	v_and_b32_e32 v22, 7, v0
	v_ffbh_u32_e32 v1, v22
	v_lshrrev_b32_e32 v24, 3, v21
	v_cmp_gt_u32_e32 vcc, 8, v21
	v_min_u32_e32 v21, 32, v1
	v_subrev_u32_e32 v1, 28, v21
	v_lshlrev_b64 v[0:1], v1, v[0:1]
	v_sub_u32_e32 v1, 29, v21
	v_and_b32_e32 v0, 7, v0
	v_cndmask_b32_e32 v1, v24, v1, vcc
	v_cndmask_b32_e32 v0, v22, v0, vcc
	v_lshlrev_b32_e32 v19, 24, v19
	v_bfrev_b32_e32 v21, 60
	v_lshlrev_b32_e32 v0, 20, v0
	v_and_b32_e32 v19, 0x80000000, v19
	v_lshl_add_u32 v1, v1, 23, v21
	v_or3_b32 v1, v19, v1, v0
.LBB6_14651:                            ;   in Loop: Header=BB6_14344 Depth=3
	s_or_b64 exec, exec, s[50:51]
.LBB6_14652:                            ;   in Loop: Header=BB6_14344 Depth=3
	s_or_b64 exec, exec, s[40:41]
.LBB6_14653:                            ;   in Loop: Header=BB6_14344 Depth=3
	s_or_b64 exec, exec, s[48:49]
	v_and_b32_e32 v0, 0xff, v35
	v_cmp_ne_u16_e32 vcc, 0, v0
	s_and_saveexec_b64 s[40:41], vcc
	s_cbranch_execz .LBB6_14659
; %bb.14654:                            ;   in Loop: Header=BB6_14344 Depth=3
	v_cmp_ne_u16_e32 vcc, s82, v0
	v_bfrev_b32_e32 v2, 1
	s_and_saveexec_b64 s[48:49], vcc
	s_cbranch_execz .LBB6_14658
; %bb.14655:                            ;   in Loop: Header=BB6_14344 Depth=3
	v_and_b32_e32 v19, 0x7f, v35
	v_cmp_ne_u32_e32 vcc, s83, v19
	v_mov_b32_e32 v2, 0x7f800001
	s_and_saveexec_b64 s[50:51], vcc
	s_cbranch_execz .LBB6_14657
; %bb.14656:                            ;   in Loop: Header=BB6_14344 Depth=3
	v_and_b32_e32 v2, 7, v0
	v_lshrrev_b32_e32 v24, 3, v19
	v_cmp_gt_u32_e32 vcc, 8, v19
	v_ffbh_u32_e32 v19, v2
	v_min_u32_e32 v19, 32, v19
	v_subrev_u32_e32 v21, 28, v19
	v_lshlrev_b64 v[21:22], v21, v[0:1]
	v_sub_u32_e32 v0, 29, v19
	v_and_b32_e32 v19, 7, v21
	v_cndmask_b32_e32 v0, v24, v0, vcc
	v_cndmask_b32_e32 v2, v2, v19, vcc
	v_lshlrev_b32_e32 v19, 24, v35
	v_bfrev_b32_e32 v21, 60
	v_lshlrev_b32_e32 v2, 20, v2
	v_and_b32_e32 v19, 0x80000000, v19
	v_lshl_add_u32 v0, v0, 23, v21
	v_or3_b32 v2, v19, v0, v2
.LBB6_14657:                            ;   in Loop: Header=BB6_14344 Depth=3
	s_or_b64 exec, exec, s[50:51]
.LBB6_14658:                            ;   in Loop: Header=BB6_14344 Depth=3
	s_or_b64 exec, exec, s[48:49]
.LBB6_14659:                            ;   in Loop: Header=BB6_14344 Depth=3
	s_or_b64 exec, exec, s[40:41]
	v_max_f32_e32 v0, v2, v2
	v_max_f32_e32 v1, v1, v1
	v_min_f32_e32 v1, v1, v0
.LBB6_14660:                            ;   in Loop: Header=BB6_14344 Depth=3
	v_and_b32_e32 v52, 0x7f800000, v1
	v_cmp_ne_u64_e32 vcc, s[76:77], v[52:53]
                                        ; implicit-def: $vgpr35
	s_and_saveexec_b64 s[40:41], vcc
	s_xor_b64 s[48:49], exec, s[40:41]
	s_cbranch_execz .LBB6_14678
; %bb.14661:                            ;   in Loop: Header=BB6_14344 Depth=3
	v_and_b32_e32 v52, 0x7fffffff, v1
	v_cmp_gt_u64_e32 vcc, s[78:79], v[52:53]
	v_and_b32_sdwa v19, v1, s82 dst_sel:DWORD dst_unused:UNUSED_PAD src0_sel:BYTE_3 src1_sel:DWORD
                                        ; implicit-def: $vgpr35
	s_and_saveexec_b64 s[40:41], vcc
	s_xor_b64 s[50:51], exec, s[40:41]
	s_cbranch_execz .LBB6_14675
; %bb.14662:                            ;   in Loop: Header=BB6_14344 Depth=3
	v_cmp_ne_u32_e32 vcc, 0, v1
	v_mov_b32_e32 v35, 0
	s_and_saveexec_b64 s[52:53], vcc
	s_cbranch_execz .LBB6_14674
; %bb.14663:                            ;   in Loop: Header=BB6_14344 Depth=3
	v_bfe_u32 v21, v1, 23, 8
	v_and_b32_e32 v0, 0x7fffff, v1
	v_cmp_gt_u32_e64 s[40:41], s85, v21
	v_sub_u32_e32 v1, 0x79, v21
	v_cmp_eq_u32_e32 vcc, 0, v21
	v_cndmask_b32_e64 v1, 0, v1, s[40:41]
	v_mov_b32_e32 v22, 0x78
	v_or_b32_e32 v2, 0x800000, v0
	v_cndmask_b32_e32 v22, v1, v22, vcc
	v_cndmask_b32_e32 v52, v2, v0, vcc
	v_add_u32_e32 v0, 20, v22
	v_lshlrev_b64 v[0:1], v0, -1
	v_add_u32_e32 v2, 19, v22
	v_lshlrev_b64 v[24:25], v2, 1
	v_bfi_b32 v1, v1, 0, 0
	v_bfi_b32 v0, v0, 0, v52
	v_cmp_eq_u64_e64 s[40:41], v[0:1], v[24:25]
	v_lshrrev_b64 v[0:1], v22, v[52:53]
	v_mov_b32_e32 v2, v1
	v_mov_b32_e32 v1, v0
	s_and_saveexec_b64 s[54:55], s[40:41]
; %bb.14664:                            ;   in Loop: Header=BB6_14344 Depth=3
	v_bfe_u32 v1, v0, 20, 1
	v_add_co_u32_e64 v1, s[40:41], v0, v1
	v_add_co_u32_e64 v1, s[40:41], -1, v1
; %bb.14665:                            ;   in Loop: Header=BB6_14344 Depth=3
	s_or_b64 exec, exec, s[54:55]
	v_add_u32_e32 v2, 0xffffff81, v21
	v_mov_b32_e32 v21, 0xffffff82
	v_cndmask_b32_e32 v2, v2, v21, vcc
	v_lshrrev_b32_e32 v21, 23, v0
	v_add3_u32 v22, v22, v2, v21
	v_add_u32_e32 v21, 6, v22
	v_and_b32_e32 v1, 0xfffff, v1
	v_add_u32_e32 v52, v1, v0
	v_cmp_ne_u32_e32 vcc, 0, v21
                                        ; implicit-def: $vgpr0_vgpr1
                                        ; implicit-def: $vgpr2
	s_and_saveexec_b64 s[40:41], vcc
	s_xor_b64 s[40:41], exec, s[40:41]
; %bb.14666:                            ;   in Loop: Header=BB6_14344 Depth=3
	v_cmp_lt_u64_e32 vcc, s[88:89], v[52:53]
	v_add_u32_e32 v0, 7, v22
	v_cndmask_b32_e32 v2, v21, v0, vcc
	v_cndmask_b32_e64 v0, 0, 1, vcc
	v_lshrrev_b64 v[0:1], v0, v[52:53]
; %bb.14667:                            ;   in Loop: Header=BB6_14344 Depth=3
	s_andn2_saveexec_b64 s[40:41], s[40:41]
; %bb.14668:                            ;   in Loop: Header=BB6_14344 Depth=3
	v_mov_b32_e32 v0, v52
	v_bfe_u32 v2, v52, 23, 1
	v_mov_b32_e32 v1, v53
; %bb.14669:                            ;   in Loop: Header=BB6_14344 Depth=3
	s_or_b64 exec, exec, s[40:41]
	v_lshrrev_b64 v[0:1], 20, v[0:1]
	v_cmp_gt_i32_e32 vcc, 16, v2
	v_cndmask_b32_e32 v1, 0, v1, vcc
	v_cndmask_b32_e32 v0, 7, v0, vcc
	v_cmp_ne_u64_e32 vcc, 0, v[0:1]
	v_cmp_ne_u32_e64 s[40:41], 0, v2
	s_or_b64 s[40:41], s[40:41], vcc
                                        ; implicit-def: $vgpr35
	s_and_saveexec_b64 vcc, s[40:41]
	s_xor_b64 s[40:41], exec, vcc
; %bb.14670:                            ;   in Loop: Header=BB6_14344 Depth=3
	v_min_i32_e32 v1, 15, v2
	v_lshl_or_b32 v1, v1, 3, v19
	v_and_or_b32 v35, v0, 7, v1
                                        ; implicit-def: $vgpr19
; %bb.14671:                            ;   in Loop: Header=BB6_14344 Depth=3
	s_andn2_saveexec_b64 s[40:41], s[40:41]
; %bb.14672:                            ;   in Loop: Header=BB6_14344 Depth=3
	v_mov_b32_e32 v35, v19
; %bb.14673:                            ;   in Loop: Header=BB6_14344 Depth=3
	s_or_b64 exec, exec, s[40:41]
.LBB6_14674:                            ;   in Loop: Header=BB6_14344 Depth=3
	s_or_b64 exec, exec, s[52:53]
                                        ; implicit-def: $vgpr19
.LBB6_14675:                            ;   in Loop: Header=BB6_14344 Depth=3
	s_andn2_saveexec_b64 s[40:41], s[50:51]
; %bb.14676:                            ;   in Loop: Header=BB6_14344 Depth=3
	v_or_b32_e32 v35, 0x7e, v19
; %bb.14677:                            ;   in Loop: Header=BB6_14344 Depth=3
	s_or_b64 exec, exec, s[40:41]
                                        ; implicit-def: $vgpr1
.LBB6_14678:                            ;   in Loop: Header=BB6_14344 Depth=3
	s_andn2_saveexec_b64 s[40:41], s[48:49]
; %bb.14679:                            ;   in Loop: Header=BB6_14344 Depth=3
	v_or_b32_sdwa v35, v1, s83 dst_sel:DWORD dst_unused:UNUSED_PAD src0_sel:BYTE_3 src1_sel:DWORD
; %bb.14680:                            ;   in Loop: Header=BB6_14344 Depth=3
	s_or_b64 exec, exec, s[40:41]
	v_and_b32_e32 v0, 0xff, v18
	v_cmp_ne_u16_e64 s[40:41], 0, v0
	s_and_b64 vcc, exec, s[28:29]
	s_mov_b64 s[48:49], -1
                                        ; implicit-def: $vgpr1
	s_cbranch_vccnz .LBB6_14694
; %bb.14681:                            ;   in Loop: Header=BB6_14344 Depth=3
	v_mov_b32_e32 v19, 0
	v_mov_b32_e32 v2, 0
	s_and_saveexec_b64 s[48:49], s[40:41]
	s_cbranch_execz .LBB6_14687
; %bb.14682:                            ;   in Loop: Header=BB6_14344 Depth=3
	v_cmp_ne_u16_e32 vcc, s82, v0
	v_bfrev_b32_e32 v2, 1
	s_and_saveexec_b64 s[50:51], vcc
	s_cbranch_execz .LBB6_14686
; %bb.14683:                            ;   in Loop: Header=BB6_14344 Depth=3
	v_and_b32_e32 v1, 0x7f, v18
	v_cmp_ne_u32_e32 vcc, s83, v1
	v_mov_b32_e32 v2, 0x7f800001
	s_and_saveexec_b64 s[52:53], vcc
	s_cbranch_execz .LBB6_14685
; %bb.14684:                            ;   in Loop: Header=BB6_14344 Depth=3
	v_and_b32_e32 v21, 7, v0
	v_lshrrev_b32_e32 v22, 3, v1
	v_cmp_gt_u32_e32 vcc, 8, v1
	v_ffbh_u32_e32 v1, v21
	v_min_u32_e32 v24, 32, v1
	v_subrev_u32_e32 v1, 28, v24
	v_lshlrev_b64 v[1:2], v1, v[0:1]
	v_sub_u32_e32 v2, 29, v24
	v_and_b32_e32 v1, 7, v1
	v_cndmask_b32_e32 v2, v22, v2, vcc
	v_cndmask_b32_e32 v1, v21, v1, vcc
	v_lshlrev_b32_e32 v21, 24, v18
	v_bfrev_b32_e32 v22, 60
	v_lshlrev_b32_e32 v1, 20, v1
	v_and_b32_e32 v21, 0x80000000, v21
	v_lshl_add_u32 v2, v2, 23, v22
	v_or3_b32 v2, v21, v2, v1
.LBB6_14685:                            ;   in Loop: Header=BB6_14344 Depth=3
	s_or_b64 exec, exec, s[52:53]
.LBB6_14686:                            ;   in Loop: Header=BB6_14344 Depth=3
	s_or_b64 exec, exec, s[50:51]
.LBB6_14687:                            ;   in Loop: Header=BB6_14344 Depth=3
	s_or_b64 exec, exec, s[48:49]
	v_and_b32_e32 v1, 0xff, v38
	v_cmp_ne_u16_e32 vcc, 0, v1
	s_and_saveexec_b64 s[48:49], vcc
	s_cbranch_execz .LBB6_14693
; %bb.14688:                            ;   in Loop: Header=BB6_14344 Depth=3
	v_cmp_ne_u16_e32 vcc, s82, v1
	v_bfrev_b32_e32 v19, 1
	s_and_saveexec_b64 s[50:51], vcc
	s_cbranch_execz .LBB6_14692
; %bb.14689:                            ;   in Loop: Header=BB6_14344 Depth=3
	v_and_b32_e32 v21, 0x7f, v38
	v_cmp_ne_u32_e32 vcc, s83, v21
	v_mov_b32_e32 v19, 0x7f800001
	s_and_saveexec_b64 s[52:53], vcc
	s_cbranch_execz .LBB6_14691
; %bb.14690:                            ;   in Loop: Header=BB6_14344 Depth=3
	v_and_b32_e32 v19, 7, v1
	v_lshrrev_b32_e32 v24, 3, v21
	v_cmp_gt_u32_e32 vcc, 8, v21
	v_ffbh_u32_e32 v21, v19
	v_min_u32_e32 v25, 32, v21
	v_subrev_u32_e32 v21, 28, v25
	v_lshlrev_b64 v[21:22], v21, v[1:2]
	v_sub_u32_e32 v1, 29, v25
	v_and_b32_e32 v21, 7, v21
	v_cndmask_b32_e32 v1, v24, v1, vcc
	v_cndmask_b32_e32 v19, v19, v21, vcc
	v_lshlrev_b32_e32 v21, 24, v38
	v_bfrev_b32_e32 v22, 60
	v_lshlrev_b32_e32 v19, 20, v19
	v_and_b32_e32 v21, 0x80000000, v21
	v_lshl_add_u32 v1, v1, 23, v22
	v_or3_b32 v19, v21, v1, v19
.LBB6_14691:                            ;   in Loop: Header=BB6_14344 Depth=3
	s_or_b64 exec, exec, s[52:53]
.LBB6_14692:                            ;   in Loop: Header=BB6_14344 Depth=3
	s_or_b64 exec, exec, s[50:51]
.LBB6_14693:                            ;   in Loop: Header=BB6_14344 Depth=3
	s_or_b64 exec, exec, s[48:49]
	v_max_f32_e32 v1, v19, v19
	v_max_f32_e32 v2, v2, v2
	;; [unrolled: 1-line block ×3, first 2 shown]
	s_mov_b64 s[48:49], 0
.LBB6_14694:                            ;   in Loop: Header=BB6_14344 Depth=3
	s_and_b64 vcc, exec, s[48:49]
	s_cbranch_vccz .LBB6_14708
; %bb.14695:                            ;   in Loop: Header=BB6_14344 Depth=3
	v_mov_b32_e32 v2, 0
	v_mov_b32_e32 v1, 0
	s_and_saveexec_b64 s[48:49], s[40:41]
	s_cbranch_execz .LBB6_14701
; %bb.14696:                            ;   in Loop: Header=BB6_14344 Depth=3
	v_cmp_ne_u16_e32 vcc, s82, v0
	v_bfrev_b32_e32 v1, 1
	s_and_saveexec_b64 s[40:41], vcc
	s_cbranch_execz .LBB6_14700
; %bb.14697:                            ;   in Loop: Header=BB6_14344 Depth=3
	v_and_b32_e32 v19, 0x7f, v18
	v_cmp_ne_u32_e32 vcc, s83, v19
	v_mov_b32_e32 v1, 0x7f800001
	s_and_saveexec_b64 s[50:51], vcc
	s_cbranch_execz .LBB6_14699
; %bb.14698:                            ;   in Loop: Header=BB6_14344 Depth=3
	v_and_b32_e32 v21, 7, v0
	v_ffbh_u32_e32 v1, v21
	v_lshrrev_b32_e32 v22, 3, v19
	v_cmp_gt_u32_e32 vcc, 8, v19
	v_min_u32_e32 v19, 32, v1
	v_subrev_u32_e32 v1, 28, v19
	v_lshlrev_b64 v[0:1], v1, v[0:1]
	v_sub_u32_e32 v1, 29, v19
	v_and_b32_e32 v0, 7, v0
	v_cndmask_b32_e32 v1, v22, v1, vcc
	v_cndmask_b32_e32 v0, v21, v0, vcc
	v_lshlrev_b32_e32 v18, 24, v18
	v_bfrev_b32_e32 v19, 60
	v_lshlrev_b32_e32 v0, 20, v0
	v_and_b32_e32 v18, 0x80000000, v18
	v_lshl_add_u32 v1, v1, 23, v19
	v_or3_b32 v1, v18, v1, v0
.LBB6_14699:                            ;   in Loop: Header=BB6_14344 Depth=3
	s_or_b64 exec, exec, s[50:51]
.LBB6_14700:                            ;   in Loop: Header=BB6_14344 Depth=3
	s_or_b64 exec, exec, s[40:41]
.LBB6_14701:                            ;   in Loop: Header=BB6_14344 Depth=3
	s_or_b64 exec, exec, s[48:49]
	v_and_b32_e32 v0, 0xff, v38
	v_cmp_ne_u16_e32 vcc, 0, v0
	s_and_saveexec_b64 s[40:41], vcc
	s_cbranch_execz .LBB6_14707
; %bb.14702:                            ;   in Loop: Header=BB6_14344 Depth=3
	v_cmp_ne_u16_e32 vcc, s82, v0
	v_bfrev_b32_e32 v2, 1
	s_and_saveexec_b64 s[48:49], vcc
	s_cbranch_execz .LBB6_14706
; %bb.14703:                            ;   in Loop: Header=BB6_14344 Depth=3
	v_and_b32_e32 v18, 0x7f, v38
	v_cmp_ne_u32_e32 vcc, s83, v18
	v_mov_b32_e32 v2, 0x7f800001
	s_and_saveexec_b64 s[50:51], vcc
	s_cbranch_execz .LBB6_14705
; %bb.14704:                            ;   in Loop: Header=BB6_14344 Depth=3
	v_and_b32_e32 v2, 7, v0
	v_lshrrev_b32_e32 v21, 3, v18
	v_cmp_gt_u32_e32 vcc, 8, v18
	v_ffbh_u32_e32 v18, v2
	v_min_u32_e32 v22, 32, v18
	v_subrev_u32_e32 v18, 28, v22
	v_lshlrev_b64 v[18:19], v18, v[0:1]
	v_sub_u32_e32 v0, 29, v22
	v_and_b32_e32 v18, 7, v18
	v_cndmask_b32_e32 v0, v21, v0, vcc
	v_cndmask_b32_e32 v2, v2, v18, vcc
	v_lshlrev_b32_e32 v18, 24, v38
	v_bfrev_b32_e32 v19, 60
	v_lshlrev_b32_e32 v2, 20, v2
	v_and_b32_e32 v18, 0x80000000, v18
	v_lshl_add_u32 v0, v0, 23, v19
	v_or3_b32 v2, v18, v0, v2
.LBB6_14705:                            ;   in Loop: Header=BB6_14344 Depth=3
	s_or_b64 exec, exec, s[50:51]
.LBB6_14706:                            ;   in Loop: Header=BB6_14344 Depth=3
	s_or_b64 exec, exec, s[48:49]
.LBB6_14707:                            ;   in Loop: Header=BB6_14344 Depth=3
	s_or_b64 exec, exec, s[40:41]
	v_max_f32_e32 v0, v2, v2
	v_max_f32_e32 v1, v1, v1
	v_min_f32_e32 v1, v1, v0
.LBB6_14708:                            ;   in Loop: Header=BB6_14344 Depth=3
	v_and_b32_e32 v52, 0x7f800000, v1
	v_cmp_ne_u64_e32 vcc, s[76:77], v[52:53]
                                        ; implicit-def: $vgpr38
	s_and_saveexec_b64 s[40:41], vcc
	s_xor_b64 s[48:49], exec, s[40:41]
	s_cbranch_execz .LBB6_14726
; %bb.14709:                            ;   in Loop: Header=BB6_14344 Depth=3
	v_and_b32_e32 v52, 0x7fffffff, v1
	v_cmp_gt_u64_e32 vcc, s[78:79], v[52:53]
	v_and_b32_sdwa v18, v1, s82 dst_sel:DWORD dst_unused:UNUSED_PAD src0_sel:BYTE_3 src1_sel:DWORD
                                        ; implicit-def: $vgpr38
	s_and_saveexec_b64 s[40:41], vcc
	s_xor_b64 s[50:51], exec, s[40:41]
	s_cbranch_execz .LBB6_14723
; %bb.14710:                            ;   in Loop: Header=BB6_14344 Depth=3
	v_cmp_ne_u32_e32 vcc, 0, v1
	v_mov_b32_e32 v38, 0
	s_and_saveexec_b64 s[52:53], vcc
	s_cbranch_execz .LBB6_14722
; %bb.14711:                            ;   in Loop: Header=BB6_14344 Depth=3
	v_bfe_u32 v19, v1, 23, 8
	v_and_b32_e32 v0, 0x7fffff, v1
	v_cmp_gt_u32_e64 s[40:41], s85, v19
	v_sub_u32_e32 v1, 0x79, v19
	v_cmp_eq_u32_e32 vcc, 0, v19
	v_cndmask_b32_e64 v1, 0, v1, s[40:41]
	v_mov_b32_e32 v21, 0x78
	v_or_b32_e32 v2, 0x800000, v0
	v_cndmask_b32_e32 v21, v1, v21, vcc
	v_cndmask_b32_e32 v52, v2, v0, vcc
	v_add_u32_e32 v0, 20, v21
	v_lshlrev_b64 v[0:1], v0, -1
	v_add_u32_e32 v2, 19, v21
	v_lshlrev_b64 v[24:25], v2, 1
	v_bfi_b32 v1, v1, 0, 0
	v_bfi_b32 v0, v0, 0, v52
	v_cmp_eq_u64_e64 s[40:41], v[0:1], v[24:25]
	v_lshrrev_b64 v[0:1], v21, v[52:53]
	v_mov_b32_e32 v2, v1
	v_mov_b32_e32 v1, v0
	s_and_saveexec_b64 s[54:55], s[40:41]
; %bb.14712:                            ;   in Loop: Header=BB6_14344 Depth=3
	v_bfe_u32 v1, v0, 20, 1
	v_add_co_u32_e64 v1, s[40:41], v0, v1
	v_add_co_u32_e64 v1, s[40:41], -1, v1
; %bb.14713:                            ;   in Loop: Header=BB6_14344 Depth=3
	s_or_b64 exec, exec, s[54:55]
	v_add_u32_e32 v2, 0xffffff81, v19
	v_mov_b32_e32 v19, 0xffffff82
	v_cndmask_b32_e32 v2, v2, v19, vcc
	v_lshrrev_b32_e32 v19, 23, v0
	v_add3_u32 v21, v21, v2, v19
	v_add_u32_e32 v19, 6, v21
	v_and_b32_e32 v1, 0xfffff, v1
	v_add_u32_e32 v52, v1, v0
	v_cmp_ne_u32_e32 vcc, 0, v19
                                        ; implicit-def: $vgpr0_vgpr1
                                        ; implicit-def: $vgpr2
	s_and_saveexec_b64 s[40:41], vcc
	s_xor_b64 s[40:41], exec, s[40:41]
; %bb.14714:                            ;   in Loop: Header=BB6_14344 Depth=3
	v_cmp_lt_u64_e32 vcc, s[88:89], v[52:53]
	v_add_u32_e32 v0, 7, v21
	v_cndmask_b32_e32 v2, v19, v0, vcc
	v_cndmask_b32_e64 v0, 0, 1, vcc
	v_lshrrev_b64 v[0:1], v0, v[52:53]
; %bb.14715:                            ;   in Loop: Header=BB6_14344 Depth=3
	s_andn2_saveexec_b64 s[40:41], s[40:41]
; %bb.14716:                            ;   in Loop: Header=BB6_14344 Depth=3
	v_mov_b32_e32 v0, v52
	v_bfe_u32 v2, v52, 23, 1
	v_mov_b32_e32 v1, v53
; %bb.14717:                            ;   in Loop: Header=BB6_14344 Depth=3
	s_or_b64 exec, exec, s[40:41]
	v_lshrrev_b64 v[0:1], 20, v[0:1]
	v_cmp_gt_i32_e32 vcc, 16, v2
	v_cndmask_b32_e32 v1, 0, v1, vcc
	v_cndmask_b32_e32 v0, 7, v0, vcc
	v_cmp_ne_u64_e32 vcc, 0, v[0:1]
	v_cmp_ne_u32_e64 s[40:41], 0, v2
	s_or_b64 s[40:41], s[40:41], vcc
                                        ; implicit-def: $vgpr38
	s_and_saveexec_b64 vcc, s[40:41]
	s_xor_b64 s[40:41], exec, vcc
; %bb.14718:                            ;   in Loop: Header=BB6_14344 Depth=3
	v_min_i32_e32 v1, 15, v2
	v_lshl_or_b32 v1, v1, 3, v18
	v_and_or_b32 v38, v0, 7, v1
                                        ; implicit-def: $vgpr18
; %bb.14719:                            ;   in Loop: Header=BB6_14344 Depth=3
	s_andn2_saveexec_b64 s[40:41], s[40:41]
; %bb.14720:                            ;   in Loop: Header=BB6_14344 Depth=3
	v_mov_b32_e32 v38, v18
; %bb.14721:                            ;   in Loop: Header=BB6_14344 Depth=3
	s_or_b64 exec, exec, s[40:41]
.LBB6_14722:                            ;   in Loop: Header=BB6_14344 Depth=3
	s_or_b64 exec, exec, s[52:53]
                                        ; implicit-def: $vgpr18
.LBB6_14723:                            ;   in Loop: Header=BB6_14344 Depth=3
	s_andn2_saveexec_b64 s[40:41], s[50:51]
; %bb.14724:                            ;   in Loop: Header=BB6_14344 Depth=3
	v_or_b32_e32 v38, 0x7e, v18
; %bb.14725:                            ;   in Loop: Header=BB6_14344 Depth=3
	s_or_b64 exec, exec, s[40:41]
                                        ; implicit-def: $vgpr1
.LBB6_14726:                            ;   in Loop: Header=BB6_14344 Depth=3
	s_andn2_saveexec_b64 s[40:41], s[48:49]
; %bb.14727:                            ;   in Loop: Header=BB6_14344 Depth=3
	v_or_b32_sdwa v38, v1, s83 dst_sel:DWORD dst_unused:UNUSED_PAD src0_sel:BYTE_3 src1_sel:DWORD
; %bb.14728:                            ;   in Loop: Header=BB6_14344 Depth=3
	s_or_b64 exec, exec, s[40:41]
	v_and_b32_e32 v0, 0xff, v26
	v_cmp_ne_u16_e64 s[40:41], 0, v0
	s_and_b64 vcc, exec, s[28:29]
	s_mov_b64 s[48:49], -1
                                        ; implicit-def: $vgpr1
	s_cbranch_vccnz .LBB6_14742
; %bb.14729:                            ;   in Loop: Header=BB6_14344 Depth=3
	v_mov_b32_e32 v18, 0
	v_mov_b32_e32 v2, 0
	s_and_saveexec_b64 s[48:49], s[40:41]
	s_cbranch_execz .LBB6_14735
; %bb.14730:                            ;   in Loop: Header=BB6_14344 Depth=3
	v_cmp_ne_u16_e32 vcc, s82, v0
	v_bfrev_b32_e32 v2, 1
	s_and_saveexec_b64 s[50:51], vcc
	s_cbranch_execz .LBB6_14734
; %bb.14731:                            ;   in Loop: Header=BB6_14344 Depth=3
	v_and_b32_e32 v1, 0x7f, v26
	v_cmp_ne_u32_e32 vcc, s83, v1
	v_mov_b32_e32 v2, 0x7f800001
	s_and_saveexec_b64 s[52:53], vcc
	s_cbranch_execz .LBB6_14733
; %bb.14732:                            ;   in Loop: Header=BB6_14344 Depth=3
	v_and_b32_e32 v19, 7, v0
	v_lshrrev_b32_e32 v21, 3, v1
	v_cmp_gt_u32_e32 vcc, 8, v1
	v_ffbh_u32_e32 v1, v19
	v_min_u32_e32 v22, 32, v1
	v_subrev_u32_e32 v1, 28, v22
	v_lshlrev_b64 v[1:2], v1, v[0:1]
	v_sub_u32_e32 v2, 29, v22
	v_and_b32_e32 v1, 7, v1
	v_cndmask_b32_e32 v2, v21, v2, vcc
	v_cndmask_b32_e32 v1, v19, v1, vcc
	v_lshlrev_b32_e32 v19, 24, v26
	v_bfrev_b32_e32 v21, 60
	v_lshlrev_b32_e32 v1, 20, v1
	v_and_b32_e32 v19, 0x80000000, v19
	v_lshl_add_u32 v2, v2, 23, v21
	v_or3_b32 v2, v19, v2, v1
.LBB6_14733:                            ;   in Loop: Header=BB6_14344 Depth=3
	s_or_b64 exec, exec, s[52:53]
.LBB6_14734:                            ;   in Loop: Header=BB6_14344 Depth=3
	s_or_b64 exec, exec, s[50:51]
.LBB6_14735:                            ;   in Loop: Header=BB6_14344 Depth=3
	s_or_b64 exec, exec, s[48:49]
	v_and_b32_e32 v1, 0xff, v49
	v_cmp_ne_u16_e32 vcc, 0, v1
	s_and_saveexec_b64 s[48:49], vcc
	s_cbranch_execz .LBB6_14741
; %bb.14736:                            ;   in Loop: Header=BB6_14344 Depth=3
	v_cmp_ne_u16_e32 vcc, s82, v1
	v_bfrev_b32_e32 v18, 1
	s_and_saveexec_b64 s[50:51], vcc
	s_cbranch_execz .LBB6_14740
; %bb.14737:                            ;   in Loop: Header=BB6_14344 Depth=3
	v_and_b32_e32 v19, 0x7f, v49
	v_cmp_ne_u32_e32 vcc, s83, v19
	v_mov_b32_e32 v18, 0x7f800001
	s_and_saveexec_b64 s[52:53], vcc
	s_cbranch_execz .LBB6_14739
; %bb.14738:                            ;   in Loop: Header=BB6_14344 Depth=3
	v_and_b32_e32 v21, 7, v1
	v_ffbh_u32_e32 v18, v21
	v_min_u32_e32 v24, 32, v18
	v_subrev_u32_e32 v18, 28, v24
	v_lshrrev_b32_e32 v22, 3, v19
	v_cmp_gt_u32_e32 vcc, 8, v19
	v_lshlrev_b64 v[18:19], v18, v[1:2]
	v_sub_u32_e32 v1, 29, v24
	v_and_b32_e32 v18, 7, v18
	v_cndmask_b32_e32 v1, v22, v1, vcc
	v_cndmask_b32_e32 v18, v21, v18, vcc
	v_lshlrev_b32_e32 v19, 24, v49
	v_bfrev_b32_e32 v21, 60
	v_lshlrev_b32_e32 v18, 20, v18
	v_and_b32_e32 v19, 0x80000000, v19
	v_lshl_add_u32 v1, v1, 23, v21
	v_or3_b32 v18, v19, v1, v18
.LBB6_14739:                            ;   in Loop: Header=BB6_14344 Depth=3
	s_or_b64 exec, exec, s[52:53]
.LBB6_14740:                            ;   in Loop: Header=BB6_14344 Depth=3
	s_or_b64 exec, exec, s[50:51]
.LBB6_14741:                            ;   in Loop: Header=BB6_14344 Depth=3
	s_or_b64 exec, exec, s[48:49]
	v_max_f32_e32 v1, v18, v18
	v_max_f32_e32 v2, v2, v2
	;; [unrolled: 1-line block ×3, first 2 shown]
	s_mov_b64 s[48:49], 0
.LBB6_14742:                            ;   in Loop: Header=BB6_14344 Depth=3
	s_and_b64 vcc, exec, s[48:49]
	s_cbranch_vccz .LBB6_14756
; %bb.14743:                            ;   in Loop: Header=BB6_14344 Depth=3
	v_mov_b32_e32 v2, 0
	v_mov_b32_e32 v1, 0
	s_and_saveexec_b64 s[48:49], s[40:41]
	s_cbranch_execz .LBB6_14749
; %bb.14744:                            ;   in Loop: Header=BB6_14344 Depth=3
	v_cmp_ne_u16_e32 vcc, s82, v0
	v_bfrev_b32_e32 v1, 1
	s_and_saveexec_b64 s[40:41], vcc
	s_cbranch_execz .LBB6_14748
; %bb.14745:                            ;   in Loop: Header=BB6_14344 Depth=3
	v_and_b32_e32 v18, 0x7f, v26
	v_cmp_ne_u32_e32 vcc, s83, v18
	v_mov_b32_e32 v1, 0x7f800001
	s_and_saveexec_b64 s[50:51], vcc
	s_cbranch_execz .LBB6_14747
; %bb.14746:                            ;   in Loop: Header=BB6_14344 Depth=3
	v_and_b32_e32 v19, 7, v0
	v_ffbh_u32_e32 v1, v19
	v_lshrrev_b32_e32 v21, 3, v18
	v_cmp_gt_u32_e32 vcc, 8, v18
	v_min_u32_e32 v18, 32, v1
	v_subrev_u32_e32 v1, 28, v18
	v_lshlrev_b64 v[0:1], v1, v[0:1]
	v_sub_u32_e32 v1, 29, v18
	v_and_b32_e32 v0, 7, v0
	v_cndmask_b32_e32 v1, v21, v1, vcc
	v_cndmask_b32_e32 v0, v19, v0, vcc
	v_lshlrev_b32_e32 v18, 24, v26
	v_bfrev_b32_e32 v19, 60
	v_lshlrev_b32_e32 v0, 20, v0
	v_and_b32_e32 v18, 0x80000000, v18
	v_lshl_add_u32 v1, v1, 23, v19
	v_or3_b32 v1, v18, v1, v0
.LBB6_14747:                            ;   in Loop: Header=BB6_14344 Depth=3
	s_or_b64 exec, exec, s[50:51]
.LBB6_14748:                            ;   in Loop: Header=BB6_14344 Depth=3
	s_or_b64 exec, exec, s[40:41]
.LBB6_14749:                            ;   in Loop: Header=BB6_14344 Depth=3
	s_or_b64 exec, exec, s[48:49]
	v_and_b32_e32 v0, 0xff, v49
	v_cmp_ne_u16_e32 vcc, 0, v0
	s_and_saveexec_b64 s[40:41], vcc
	s_cbranch_execz .LBB6_14755
; %bb.14750:                            ;   in Loop: Header=BB6_14344 Depth=3
	v_cmp_ne_u16_e32 vcc, s82, v0
	v_bfrev_b32_e32 v2, 1
	s_and_saveexec_b64 s[48:49], vcc
	s_cbranch_execz .LBB6_14754
; %bb.14751:                            ;   in Loop: Header=BB6_14344 Depth=3
	v_and_b32_e32 v18, 0x7f, v49
	v_cmp_ne_u32_e32 vcc, s83, v18
	v_mov_b32_e32 v2, 0x7f800001
	s_and_saveexec_b64 s[50:51], vcc
	s_cbranch_execz .LBB6_14753
; %bb.14752:                            ;   in Loop: Header=BB6_14344 Depth=3
	v_and_b32_e32 v2, 7, v0
	v_lshrrev_b32_e32 v21, 3, v18
	v_cmp_gt_u32_e32 vcc, 8, v18
	v_ffbh_u32_e32 v18, v2
	v_min_u32_e32 v22, 32, v18
	v_subrev_u32_e32 v18, 28, v22
	v_lshlrev_b64 v[18:19], v18, v[0:1]
	v_sub_u32_e32 v0, 29, v22
	v_and_b32_e32 v18, 7, v18
	v_cndmask_b32_e32 v0, v21, v0, vcc
	v_cndmask_b32_e32 v2, v2, v18, vcc
	v_lshlrev_b32_e32 v18, 24, v49
	v_bfrev_b32_e32 v19, 60
	v_lshlrev_b32_e32 v2, 20, v2
	v_and_b32_e32 v18, 0x80000000, v18
	v_lshl_add_u32 v0, v0, 23, v19
	v_or3_b32 v2, v18, v0, v2
.LBB6_14753:                            ;   in Loop: Header=BB6_14344 Depth=3
	s_or_b64 exec, exec, s[50:51]
.LBB6_14754:                            ;   in Loop: Header=BB6_14344 Depth=3
	s_or_b64 exec, exec, s[48:49]
.LBB6_14755:                            ;   in Loop: Header=BB6_14344 Depth=3
	s_or_b64 exec, exec, s[40:41]
	v_max_f32_e32 v0, v2, v2
	v_max_f32_e32 v1, v1, v1
	v_min_f32_e32 v1, v1, v0
.LBB6_14756:                            ;   in Loop: Header=BB6_14344 Depth=3
	v_and_b32_e32 v52, 0x7f800000, v1
	v_cmp_ne_u64_e32 vcc, s[76:77], v[52:53]
                                        ; implicit-def: $vgpr49
	s_mov_b64 s[40:41], exec
	s_and_b64 vcc, s[40:41], vcc
	s_xor_b64 s[48:49], vcc, s[40:41]
	v_mov_b32_e32 v26, v55
	v_mov_b32_e32 v55, v40
	v_mov_b32_e32 v33, v7
	v_mov_b32_e32 v36, v14
	v_mov_b32_e32 v14, v6
	v_mov_b32_e32 v7, v58
	v_mov_b32_e32 v6, v17
	v_mov_b32_e32 v17, v56
	s_mov_b64 exec, vcc
	s_cbranch_execz .LBB6_14774
; %bb.14757:                            ;   in Loop: Header=BB6_14344 Depth=3
	v_and_b32_e32 v52, 0x7fffffff, v1
	v_cmp_gt_u64_e32 vcc, s[78:79], v[52:53]
	v_and_b32_sdwa v18, v1, s82 dst_sel:DWORD dst_unused:UNUSED_PAD src0_sel:BYTE_3 src1_sel:DWORD
                                        ; implicit-def: $vgpr49
	s_and_saveexec_b64 s[40:41], vcc
	s_xor_b64 s[50:51], exec, s[40:41]
	s_cbranch_execz .LBB6_14771
; %bb.14758:                            ;   in Loop: Header=BB6_14344 Depth=3
	v_cmp_ne_u32_e32 vcc, 0, v1
	v_mov_b32_e32 v49, 0
	s_and_saveexec_b64 s[52:53], vcc
	s_cbranch_execz .LBB6_14770
; %bb.14759:                            ;   in Loop: Header=BB6_14344 Depth=3
	v_bfe_u32 v19, v1, 23, 8
	v_and_b32_e32 v0, 0x7fffff, v1
	v_cmp_gt_u32_e64 s[40:41], s85, v19
	v_sub_u32_e32 v1, 0x79, v19
	v_cmp_eq_u32_e32 vcc, 0, v19
	v_cndmask_b32_e64 v1, 0, v1, s[40:41]
	v_mov_b32_e32 v21, 0x78
	v_or_b32_e32 v2, 0x800000, v0
	v_cndmask_b32_e32 v21, v1, v21, vcc
	v_cndmask_b32_e32 v52, v2, v0, vcc
	v_add_u32_e32 v0, 20, v21
	v_lshlrev_b64 v[0:1], v0, -1
	v_add_u32_e32 v2, 19, v21
	v_lshlrev_b64 v[24:25], v2, 1
	v_bfi_b32 v1, v1, 0, 0
	v_bfi_b32 v0, v0, 0, v52
	v_cmp_eq_u64_e64 s[40:41], v[0:1], v[24:25]
	v_lshrrev_b64 v[0:1], v21, v[52:53]
	v_mov_b32_e32 v2, v1
	v_mov_b32_e32 v1, v0
	s_and_saveexec_b64 s[54:55], s[40:41]
; %bb.14760:                            ;   in Loop: Header=BB6_14344 Depth=3
	v_bfe_u32 v1, v0, 20, 1
	v_add_co_u32_e64 v1, s[40:41], v0, v1
	v_add_co_u32_e64 v1, s[40:41], -1, v1
; %bb.14761:                            ;   in Loop: Header=BB6_14344 Depth=3
	s_or_b64 exec, exec, s[54:55]
	v_add_u32_e32 v2, 0xffffff81, v19
	v_mov_b32_e32 v19, 0xffffff82
	v_cndmask_b32_e32 v2, v2, v19, vcc
	v_lshrrev_b32_e32 v19, 23, v0
	v_add3_u32 v21, v21, v2, v19
	v_add_u32_e32 v19, 6, v21
	v_and_b32_e32 v1, 0xfffff, v1
	v_add_u32_e32 v52, v1, v0
	v_cmp_ne_u32_e32 vcc, 0, v19
                                        ; implicit-def: $vgpr0_vgpr1
                                        ; implicit-def: $vgpr2
	s_and_saveexec_b64 s[40:41], vcc
	s_xor_b64 s[40:41], exec, s[40:41]
; %bb.14762:                            ;   in Loop: Header=BB6_14344 Depth=3
	v_cmp_lt_u64_e32 vcc, s[88:89], v[52:53]
	v_add_u32_e32 v0, 7, v21
	v_cndmask_b32_e32 v2, v19, v0, vcc
	v_cndmask_b32_e64 v0, 0, 1, vcc
	v_lshrrev_b64 v[0:1], v0, v[52:53]
; %bb.14763:                            ;   in Loop: Header=BB6_14344 Depth=3
	s_andn2_saveexec_b64 s[40:41], s[40:41]
; %bb.14764:                            ;   in Loop: Header=BB6_14344 Depth=3
	v_mov_b32_e32 v0, v52
	v_bfe_u32 v2, v52, 23, 1
	v_mov_b32_e32 v1, v53
; %bb.14765:                            ;   in Loop: Header=BB6_14344 Depth=3
	s_or_b64 exec, exec, s[40:41]
	v_lshrrev_b64 v[0:1], 20, v[0:1]
	v_cmp_gt_i32_e32 vcc, 16, v2
	v_cndmask_b32_e32 v1, 0, v1, vcc
	v_cndmask_b32_e32 v0, 7, v0, vcc
	v_cmp_ne_u64_e32 vcc, 0, v[0:1]
	v_cmp_ne_u32_e64 s[40:41], 0, v2
	s_or_b64 s[40:41], s[40:41], vcc
                                        ; implicit-def: $vgpr49
	s_and_saveexec_b64 vcc, s[40:41]
	s_xor_b64 s[40:41], exec, vcc
; %bb.14766:                            ;   in Loop: Header=BB6_14344 Depth=3
	v_min_i32_e32 v1, 15, v2
	v_lshl_or_b32 v1, v1, 3, v18
	v_and_or_b32 v49, v0, 7, v1
                                        ; implicit-def: $vgpr18
; %bb.14767:                            ;   in Loop: Header=BB6_14344 Depth=3
	s_andn2_saveexec_b64 s[40:41], s[40:41]
; %bb.14768:                            ;   in Loop: Header=BB6_14344 Depth=3
	v_mov_b32_e32 v49, v18
; %bb.14769:                            ;   in Loop: Header=BB6_14344 Depth=3
	s_or_b64 exec, exec, s[40:41]
.LBB6_14770:                            ;   in Loop: Header=BB6_14344 Depth=3
	s_or_b64 exec, exec, s[52:53]
                                        ; implicit-def: $vgpr18
.LBB6_14771:                            ;   in Loop: Header=BB6_14344 Depth=3
	s_andn2_saveexec_b64 s[40:41], s[50:51]
; %bb.14772:                            ;   in Loop: Header=BB6_14344 Depth=3
	v_or_b32_e32 v49, 0x7e, v18
; %bb.14773:                            ;   in Loop: Header=BB6_14344 Depth=3
	s_or_b64 exec, exec, s[40:41]
                                        ; implicit-def: $vgpr1
.LBB6_14774:                            ;   in Loop: Header=BB6_14344 Depth=3
	s_andn2_saveexec_b64 s[40:41], s[48:49]
; %bb.14775:                            ;   in Loop: Header=BB6_14344 Depth=3
	v_or_b32_sdwa v49, v1, s83 dst_sel:DWORD dst_unused:UNUSED_PAD src0_sel:BYTE_3 src1_sel:DWORD
; %bb.14776:                            ;   in Loop: Header=BB6_14344 Depth=3
	s_or_b64 exec, exec, s[40:41]
	v_and_b32_e32 v0, 0xff, v16
	v_cmp_ne_u16_e64 s[40:41], 0, v0
	s_and_b64 vcc, exec, s[28:29]
	s_mov_b64 s[48:49], -1
                                        ; implicit-def: $vgpr1
	s_cbranch_vccnz .LBB6_14790
; %bb.14777:                            ;   in Loop: Header=BB6_14344 Depth=3
	v_mov_b32_e32 v18, 0
	v_mov_b32_e32 v2, 0
	s_and_saveexec_b64 s[48:49], s[40:41]
	s_cbranch_execz .LBB6_14783
; %bb.14778:                            ;   in Loop: Header=BB6_14344 Depth=3
	v_cmp_ne_u16_e32 vcc, s82, v0
	v_bfrev_b32_e32 v2, 1
	s_and_saveexec_b64 s[50:51], vcc
	s_cbranch_execz .LBB6_14782
; %bb.14779:                            ;   in Loop: Header=BB6_14344 Depth=3
	v_and_b32_e32 v1, 0x7f, v16
	v_cmp_ne_u32_e32 vcc, s83, v1
	v_mov_b32_e32 v2, 0x7f800001
	s_and_saveexec_b64 s[52:53], vcc
	s_cbranch_execz .LBB6_14781
; %bb.14780:                            ;   in Loop: Header=BB6_14344 Depth=3
	v_and_b32_e32 v19, 7, v0
	v_lshrrev_b32_e32 v21, 3, v1
	v_cmp_gt_u32_e32 vcc, 8, v1
	v_ffbh_u32_e32 v1, v19
	v_min_u32_e32 v22, 32, v1
	v_subrev_u32_e32 v1, 28, v22
	v_lshlrev_b64 v[1:2], v1, v[0:1]
	v_sub_u32_e32 v2, 29, v22
	v_and_b32_e32 v1, 7, v1
	v_cndmask_b32_e32 v2, v21, v2, vcc
	v_cndmask_b32_e32 v1, v19, v1, vcc
	v_lshlrev_b32_e32 v19, 24, v16
	v_bfrev_b32_e32 v21, 60
	v_lshlrev_b32_e32 v1, 20, v1
	v_and_b32_e32 v19, 0x80000000, v19
	v_lshl_add_u32 v2, v2, 23, v21
	v_or3_b32 v2, v19, v2, v1
.LBB6_14781:                            ;   in Loop: Header=BB6_14344 Depth=3
	s_or_b64 exec, exec, s[52:53]
.LBB6_14782:                            ;   in Loop: Header=BB6_14344 Depth=3
	s_or_b64 exec, exec, s[50:51]
.LBB6_14783:                            ;   in Loop: Header=BB6_14344 Depth=3
	s_or_b64 exec, exec, s[48:49]
	v_and_b32_e32 v1, 0xff, v54
	v_cmp_ne_u16_e32 vcc, 0, v1
	s_and_saveexec_b64 s[48:49], vcc
	s_cbranch_execz .LBB6_14789
; %bb.14784:                            ;   in Loop: Header=BB6_14344 Depth=3
	v_cmp_ne_u16_e32 vcc, s82, v1
	v_bfrev_b32_e32 v18, 1
	s_and_saveexec_b64 s[50:51], vcc
	s_cbranch_execz .LBB6_14788
; %bb.14785:                            ;   in Loop: Header=BB6_14344 Depth=3
	v_and_b32_e32 v19, 0x7f, v54
	v_cmp_ne_u32_e32 vcc, s83, v19
	v_mov_b32_e32 v18, 0x7f800001
	s_and_saveexec_b64 s[52:53], vcc
	s_cbranch_execz .LBB6_14787
; %bb.14786:                            ;   in Loop: Header=BB6_14344 Depth=3
	v_and_b32_e32 v21, 7, v1
	v_ffbh_u32_e32 v18, v21
	v_min_u32_e32 v24, 32, v18
	v_subrev_u32_e32 v18, 28, v24
	v_lshrrev_b32_e32 v22, 3, v19
	v_cmp_gt_u32_e32 vcc, 8, v19
	v_lshlrev_b64 v[18:19], v18, v[1:2]
	v_sub_u32_e32 v1, 29, v24
	v_and_b32_e32 v18, 7, v18
	v_cndmask_b32_e32 v1, v22, v1, vcc
	v_cndmask_b32_e32 v18, v21, v18, vcc
	v_lshlrev_b32_e32 v19, 24, v54
	v_bfrev_b32_e32 v21, 60
	v_lshlrev_b32_e32 v18, 20, v18
	v_and_b32_e32 v19, 0x80000000, v19
	v_lshl_add_u32 v1, v1, 23, v21
	v_or3_b32 v18, v19, v1, v18
.LBB6_14787:                            ;   in Loop: Header=BB6_14344 Depth=3
	s_or_b64 exec, exec, s[52:53]
.LBB6_14788:                            ;   in Loop: Header=BB6_14344 Depth=3
	s_or_b64 exec, exec, s[50:51]
.LBB6_14789:                            ;   in Loop: Header=BB6_14344 Depth=3
	s_or_b64 exec, exec, s[48:49]
	v_max_f32_e32 v1, v18, v18
	v_max_f32_e32 v2, v2, v2
	v_max_f32_e32 v1, v2, v1
	s_mov_b64 s[48:49], 0
.LBB6_14790:                            ;   in Loop: Header=BB6_14344 Depth=3
	s_and_b64 vcc, exec, s[48:49]
	s_cbranch_vccz .LBB6_14804
; %bb.14791:                            ;   in Loop: Header=BB6_14344 Depth=3
	v_mov_b32_e32 v2, 0
	v_mov_b32_e32 v1, 0
	s_and_saveexec_b64 s[48:49], s[40:41]
	s_cbranch_execz .LBB6_14797
; %bb.14792:                            ;   in Loop: Header=BB6_14344 Depth=3
	v_cmp_ne_u16_e32 vcc, s82, v0
	v_bfrev_b32_e32 v1, 1
	s_and_saveexec_b64 s[40:41], vcc
	s_cbranch_execz .LBB6_14796
; %bb.14793:                            ;   in Loop: Header=BB6_14344 Depth=3
	v_and_b32_e32 v18, 0x7f, v16
	v_cmp_ne_u32_e32 vcc, s83, v18
	v_mov_b32_e32 v1, 0x7f800001
	s_and_saveexec_b64 s[50:51], vcc
	s_cbranch_execz .LBB6_14795
; %bb.14794:                            ;   in Loop: Header=BB6_14344 Depth=3
	v_and_b32_e32 v19, 7, v0
	v_ffbh_u32_e32 v1, v19
	v_lshrrev_b32_e32 v21, 3, v18
	v_cmp_gt_u32_e32 vcc, 8, v18
	v_min_u32_e32 v18, 32, v1
	v_subrev_u32_e32 v1, 28, v18
	v_lshlrev_b64 v[0:1], v1, v[0:1]
	v_sub_u32_e32 v1, 29, v18
	v_and_b32_e32 v0, 7, v0
	v_cndmask_b32_e32 v1, v21, v1, vcc
	v_cndmask_b32_e32 v0, v19, v0, vcc
	v_lshlrev_b32_e32 v16, 24, v16
	v_bfrev_b32_e32 v18, 60
	v_lshlrev_b32_e32 v0, 20, v0
	v_and_b32_e32 v16, 0x80000000, v16
	v_lshl_add_u32 v1, v1, 23, v18
	v_or3_b32 v1, v16, v1, v0
.LBB6_14795:                            ;   in Loop: Header=BB6_14344 Depth=3
	s_or_b64 exec, exec, s[50:51]
.LBB6_14796:                            ;   in Loop: Header=BB6_14344 Depth=3
	s_or_b64 exec, exec, s[40:41]
.LBB6_14797:                            ;   in Loop: Header=BB6_14344 Depth=3
	s_or_b64 exec, exec, s[48:49]
	v_and_b32_e32 v0, 0xff, v54
	v_cmp_ne_u16_e32 vcc, 0, v0
	s_and_saveexec_b64 s[40:41], vcc
	s_cbranch_execz .LBB6_14803
; %bb.14798:                            ;   in Loop: Header=BB6_14344 Depth=3
	v_cmp_ne_u16_e32 vcc, s82, v0
	v_bfrev_b32_e32 v2, 1
	s_and_saveexec_b64 s[48:49], vcc
	s_cbranch_execz .LBB6_14802
; %bb.14799:                            ;   in Loop: Header=BB6_14344 Depth=3
	v_and_b32_e32 v16, 0x7f, v54
	v_cmp_ne_u32_e32 vcc, s83, v16
	v_mov_b32_e32 v2, 0x7f800001
	s_and_saveexec_b64 s[50:51], vcc
	s_cbranch_execz .LBB6_14801
; %bb.14800:                            ;   in Loop: Header=BB6_14344 Depth=3
	v_and_b32_e32 v2, 7, v0
	v_lshrrev_b32_e32 v21, 3, v16
	v_cmp_gt_u32_e32 vcc, 8, v16
	v_ffbh_u32_e32 v16, v2
	v_min_u32_e32 v16, 32, v16
	v_subrev_u32_e32 v18, 28, v16
	v_lshlrev_b64 v[18:19], v18, v[0:1]
	v_sub_u32_e32 v0, 29, v16
	v_and_b32_e32 v16, 7, v18
	v_cndmask_b32_e32 v0, v21, v0, vcc
	v_cndmask_b32_e32 v2, v2, v16, vcc
	v_lshlrev_b32_e32 v16, 24, v54
	v_bfrev_b32_e32 v18, 60
	v_lshlrev_b32_e32 v2, 20, v2
	v_and_b32_e32 v16, 0x80000000, v16
	v_lshl_add_u32 v0, v0, 23, v18
	v_or3_b32 v2, v16, v0, v2
.LBB6_14801:                            ;   in Loop: Header=BB6_14344 Depth=3
	s_or_b64 exec, exec, s[50:51]
.LBB6_14802:                            ;   in Loop: Header=BB6_14344 Depth=3
	s_or_b64 exec, exec, s[48:49]
.LBB6_14803:                            ;   in Loop: Header=BB6_14344 Depth=3
	s_or_b64 exec, exec, s[40:41]
	v_max_f32_e32 v0, v2, v2
	v_max_f32_e32 v1, v1, v1
	v_min_f32_e32 v1, v1, v0
.LBB6_14804:                            ;   in Loop: Header=BB6_14344 Depth=3
	v_and_b32_e32 v52, 0x7f800000, v1
	v_cmp_ne_u64_e32 vcc, s[76:77], v[52:53]
                                        ; implicit-def: $vgpr54
	s_and_saveexec_b64 s[40:41], vcc
	s_xor_b64 s[48:49], exec, s[40:41]
	s_cbranch_execz .LBB6_14822
; %bb.14805:                            ;   in Loop: Header=BB6_14344 Depth=3
	v_and_b32_e32 v52, 0x7fffffff, v1
	v_cmp_gt_u64_e32 vcc, s[78:79], v[52:53]
	v_and_b32_sdwa v16, v1, s82 dst_sel:DWORD dst_unused:UNUSED_PAD src0_sel:BYTE_3 src1_sel:DWORD
                                        ; implicit-def: $vgpr54
	s_and_saveexec_b64 s[40:41], vcc
	s_xor_b64 s[50:51], exec, s[40:41]
	s_cbranch_execz .LBB6_14819
; %bb.14806:                            ;   in Loop: Header=BB6_14344 Depth=3
	v_cmp_ne_u32_e32 vcc, 0, v1
	v_mov_b32_e32 v54, 0
	s_and_saveexec_b64 s[52:53], vcc
	s_cbranch_execz .LBB6_14818
; %bb.14807:                            ;   in Loop: Header=BB6_14344 Depth=3
	v_bfe_u32 v18, v1, 23, 8
	v_and_b32_e32 v0, 0x7fffff, v1
	v_cmp_gt_u32_e64 s[40:41], s85, v18
	v_sub_u32_e32 v1, 0x79, v18
	v_cmp_eq_u32_e32 vcc, 0, v18
	v_cndmask_b32_e64 v1, 0, v1, s[40:41]
	v_mov_b32_e32 v19, 0x78
	v_or_b32_e32 v2, 0x800000, v0
	v_cndmask_b32_e32 v19, v1, v19, vcc
	v_cndmask_b32_e32 v52, v2, v0, vcc
	v_add_u32_e32 v0, 20, v19
	v_lshlrev_b64 v[0:1], v0, -1
	v_add_u32_e32 v2, 19, v19
	v_lshlrev_b64 v[21:22], v2, 1
	v_bfi_b32 v1, v1, 0, 0
	v_bfi_b32 v0, v0, 0, v52
	v_cmp_eq_u64_e64 s[40:41], v[0:1], v[21:22]
	v_lshrrev_b64 v[0:1], v19, v[52:53]
	v_mov_b32_e32 v2, v1
	v_mov_b32_e32 v1, v0
	s_and_saveexec_b64 s[54:55], s[40:41]
; %bb.14808:                            ;   in Loop: Header=BB6_14344 Depth=3
	v_bfe_u32 v1, v0, 20, 1
	v_add_co_u32_e64 v1, s[40:41], v0, v1
	v_add_co_u32_e64 v1, s[40:41], -1, v1
; %bb.14809:                            ;   in Loop: Header=BB6_14344 Depth=3
	s_or_b64 exec, exec, s[54:55]
	v_add_u32_e32 v2, 0xffffff81, v18
	v_mov_b32_e32 v18, 0xffffff82
	v_cndmask_b32_e32 v2, v2, v18, vcc
	v_lshrrev_b32_e32 v18, 23, v0
	v_add3_u32 v19, v19, v2, v18
	v_add_u32_e32 v18, 6, v19
	v_and_b32_e32 v1, 0xfffff, v1
	v_add_u32_e32 v52, v1, v0
	v_cmp_ne_u32_e32 vcc, 0, v18
                                        ; implicit-def: $vgpr0_vgpr1
                                        ; implicit-def: $vgpr2
	s_and_saveexec_b64 s[40:41], vcc
	s_xor_b64 s[40:41], exec, s[40:41]
; %bb.14810:                            ;   in Loop: Header=BB6_14344 Depth=3
	v_cmp_lt_u64_e32 vcc, s[88:89], v[52:53]
	v_add_u32_e32 v0, 7, v19
	v_cndmask_b32_e32 v2, v18, v0, vcc
	v_cndmask_b32_e64 v0, 0, 1, vcc
	v_lshrrev_b64 v[0:1], v0, v[52:53]
; %bb.14811:                            ;   in Loop: Header=BB6_14344 Depth=3
	s_andn2_saveexec_b64 s[40:41], s[40:41]
; %bb.14812:                            ;   in Loop: Header=BB6_14344 Depth=3
	v_mov_b32_e32 v0, v52
	v_bfe_u32 v2, v52, 23, 1
	v_mov_b32_e32 v1, v53
; %bb.14813:                            ;   in Loop: Header=BB6_14344 Depth=3
	s_or_b64 exec, exec, s[40:41]
	v_lshrrev_b64 v[0:1], 20, v[0:1]
	v_cmp_gt_i32_e32 vcc, 16, v2
	v_cndmask_b32_e32 v1, 0, v1, vcc
	v_cndmask_b32_e32 v0, 7, v0, vcc
	v_cmp_ne_u64_e32 vcc, 0, v[0:1]
	v_cmp_ne_u32_e64 s[40:41], 0, v2
	s_or_b64 s[40:41], s[40:41], vcc
                                        ; implicit-def: $vgpr54
	s_and_saveexec_b64 vcc, s[40:41]
	s_xor_b64 s[40:41], exec, vcc
; %bb.14814:                            ;   in Loop: Header=BB6_14344 Depth=3
	v_min_i32_e32 v1, 15, v2
	v_lshl_or_b32 v1, v1, 3, v16
	v_and_or_b32 v54, v0, 7, v1
                                        ; implicit-def: $vgpr16
; %bb.14815:                            ;   in Loop: Header=BB6_14344 Depth=3
	s_andn2_saveexec_b64 s[40:41], s[40:41]
; %bb.14816:                            ;   in Loop: Header=BB6_14344 Depth=3
	v_mov_b32_e32 v54, v16
; %bb.14817:                            ;   in Loop: Header=BB6_14344 Depth=3
	s_or_b64 exec, exec, s[40:41]
.LBB6_14818:                            ;   in Loop: Header=BB6_14344 Depth=3
	s_or_b64 exec, exec, s[52:53]
                                        ; implicit-def: $vgpr16
.LBB6_14819:                            ;   in Loop: Header=BB6_14344 Depth=3
	s_andn2_saveexec_b64 s[40:41], s[50:51]
; %bb.14820:                            ;   in Loop: Header=BB6_14344 Depth=3
	v_or_b32_e32 v54, 0x7e, v16
; %bb.14821:                            ;   in Loop: Header=BB6_14344 Depth=3
	s_or_b64 exec, exec, s[40:41]
                                        ; implicit-def: $vgpr1
.LBB6_14822:                            ;   in Loop: Header=BB6_14344 Depth=3
	s_andn2_saveexec_b64 s[40:41], s[48:49]
; %bb.14823:                            ;   in Loop: Header=BB6_14344 Depth=3
	v_or_b32_sdwa v54, v1, s83 dst_sel:DWORD dst_unused:UNUSED_PAD src0_sel:BYTE_3 src1_sel:DWORD
; %bb.14824:                            ;   in Loop: Header=BB6_14344 Depth=3
	s_or_b64 exec, exec, s[40:41]
	v_and_b32_e32 v0, 0xff, v15
	v_cmp_ne_u16_e64 s[40:41], 0, v0
	s_and_b64 vcc, exec, s[28:29]
	s_mov_b64 s[48:49], -1
                                        ; implicit-def: $vgpr1
	s_cbranch_vccnz .LBB6_14838
; %bb.14825:                            ;   in Loop: Header=BB6_14344 Depth=3
	v_mov_b32_e32 v16, 0
	v_mov_b32_e32 v2, 0
	s_and_saveexec_b64 s[48:49], s[40:41]
	s_cbranch_execz .LBB6_14831
; %bb.14826:                            ;   in Loop: Header=BB6_14344 Depth=3
	v_cmp_ne_u16_e32 vcc, s82, v0
	v_bfrev_b32_e32 v2, 1
	s_and_saveexec_b64 s[50:51], vcc
	s_cbranch_execz .LBB6_14830
; %bb.14827:                            ;   in Loop: Header=BB6_14344 Depth=3
	v_and_b32_e32 v1, 0x7f, v15
	v_cmp_ne_u32_e32 vcc, s83, v1
	v_mov_b32_e32 v2, 0x7f800001
	s_and_saveexec_b64 s[52:53], vcc
	s_cbranch_execz .LBB6_14829
; %bb.14828:                            ;   in Loop: Header=BB6_14344 Depth=3
	v_and_b32_e32 v18, 7, v0
	v_lshrrev_b32_e32 v19, 3, v1
	v_cmp_gt_u32_e32 vcc, 8, v1
	v_ffbh_u32_e32 v1, v18
	v_min_u32_e32 v21, 32, v1
	v_subrev_u32_e32 v1, 28, v21
	v_lshlrev_b64 v[1:2], v1, v[0:1]
	v_sub_u32_e32 v2, 29, v21
	v_and_b32_e32 v1, 7, v1
	v_cndmask_b32_e32 v2, v19, v2, vcc
	v_cndmask_b32_e32 v1, v18, v1, vcc
	v_lshlrev_b32_e32 v18, 24, v15
	v_bfrev_b32_e32 v19, 60
	v_lshlrev_b32_e32 v1, 20, v1
	v_and_b32_e32 v18, 0x80000000, v18
	v_lshl_add_u32 v2, v2, 23, v19
	v_or3_b32 v2, v18, v2, v1
.LBB6_14829:                            ;   in Loop: Header=BB6_14344 Depth=3
	s_or_b64 exec, exec, s[52:53]
.LBB6_14830:                            ;   in Loop: Header=BB6_14344 Depth=3
	s_or_b64 exec, exec, s[50:51]
.LBB6_14831:                            ;   in Loop: Header=BB6_14344 Depth=3
	s_or_b64 exec, exec, s[48:49]
	v_and_b32_e32 v1, 0xff, v43
	v_cmp_ne_u16_e32 vcc, 0, v1
	s_and_saveexec_b64 s[48:49], vcc
	s_cbranch_execz .LBB6_14837
; %bb.14832:                            ;   in Loop: Header=BB6_14344 Depth=3
	v_cmp_ne_u16_e32 vcc, s82, v1
	v_bfrev_b32_e32 v16, 1
	s_and_saveexec_b64 s[50:51], vcc
	s_cbranch_execz .LBB6_14836
; %bb.14833:                            ;   in Loop: Header=BB6_14344 Depth=3
	v_and_b32_e32 v18, 0x7f, v43
	v_cmp_ne_u32_e32 vcc, s83, v18
	v_mov_b32_e32 v16, 0x7f800001
	s_and_saveexec_b64 s[52:53], vcc
	s_cbranch_execz .LBB6_14835
; %bb.14834:                            ;   in Loop: Header=BB6_14344 Depth=3
	v_and_b32_e32 v16, 7, v1
	v_lshrrev_b32_e32 v21, 3, v18
	v_cmp_gt_u32_e32 vcc, 8, v18
	v_ffbh_u32_e32 v18, v16
	v_min_u32_e32 v22, 32, v18
	v_subrev_u32_e32 v18, 28, v22
	v_lshlrev_b64 v[18:19], v18, v[1:2]
	v_sub_u32_e32 v1, 29, v22
	v_and_b32_e32 v18, 7, v18
	v_cndmask_b32_e32 v1, v21, v1, vcc
	v_cndmask_b32_e32 v16, v16, v18, vcc
	v_lshlrev_b32_e32 v18, 24, v43
	v_bfrev_b32_e32 v19, 60
	v_lshlrev_b32_e32 v16, 20, v16
	v_and_b32_e32 v18, 0x80000000, v18
	v_lshl_add_u32 v1, v1, 23, v19
	v_or3_b32 v16, v18, v1, v16
.LBB6_14835:                            ;   in Loop: Header=BB6_14344 Depth=3
	s_or_b64 exec, exec, s[52:53]
.LBB6_14836:                            ;   in Loop: Header=BB6_14344 Depth=3
	s_or_b64 exec, exec, s[50:51]
.LBB6_14837:                            ;   in Loop: Header=BB6_14344 Depth=3
	s_or_b64 exec, exec, s[48:49]
	v_max_f32_e32 v1, v16, v16
	v_max_f32_e32 v2, v2, v2
	;; [unrolled: 1-line block ×3, first 2 shown]
	s_mov_b64 s[48:49], 0
.LBB6_14838:                            ;   in Loop: Header=BB6_14344 Depth=3
	s_and_b64 vcc, exec, s[48:49]
	s_cbranch_vccz .LBB6_14852
; %bb.14839:                            ;   in Loop: Header=BB6_14344 Depth=3
	v_mov_b32_e32 v2, 0
	v_mov_b32_e32 v1, 0
	s_and_saveexec_b64 s[48:49], s[40:41]
	s_cbranch_execz .LBB6_14845
; %bb.14840:                            ;   in Loop: Header=BB6_14344 Depth=3
	v_cmp_ne_u16_e32 vcc, s82, v0
	v_bfrev_b32_e32 v1, 1
	s_and_saveexec_b64 s[40:41], vcc
	s_cbranch_execz .LBB6_14844
; %bb.14841:                            ;   in Loop: Header=BB6_14344 Depth=3
	v_and_b32_e32 v16, 0x7f, v15
	v_cmp_ne_u32_e32 vcc, s83, v16
	v_mov_b32_e32 v1, 0x7f800001
	s_and_saveexec_b64 s[50:51], vcc
	s_cbranch_execz .LBB6_14843
; %bb.14842:                            ;   in Loop: Header=BB6_14344 Depth=3
	v_and_b32_e32 v18, 7, v0
	v_ffbh_u32_e32 v1, v18
	v_lshrrev_b32_e32 v19, 3, v16
	v_cmp_gt_u32_e32 vcc, 8, v16
	v_min_u32_e32 v16, 32, v1
	v_subrev_u32_e32 v1, 28, v16
	v_lshlrev_b64 v[0:1], v1, v[0:1]
	v_sub_u32_e32 v1, 29, v16
	v_and_b32_e32 v0, 7, v0
	v_cndmask_b32_e32 v1, v19, v1, vcc
	v_cndmask_b32_e32 v0, v18, v0, vcc
	v_lshlrev_b32_e32 v15, 24, v15
	v_bfrev_b32_e32 v16, 60
	v_lshlrev_b32_e32 v0, 20, v0
	v_and_b32_e32 v15, 0x80000000, v15
	v_lshl_add_u32 v1, v1, 23, v16
	v_or3_b32 v1, v15, v1, v0
.LBB6_14843:                            ;   in Loop: Header=BB6_14344 Depth=3
	s_or_b64 exec, exec, s[50:51]
.LBB6_14844:                            ;   in Loop: Header=BB6_14344 Depth=3
	s_or_b64 exec, exec, s[40:41]
.LBB6_14845:                            ;   in Loop: Header=BB6_14344 Depth=3
	s_or_b64 exec, exec, s[48:49]
	v_and_b32_e32 v0, 0xff, v43
	v_cmp_ne_u16_e32 vcc, 0, v0
	s_and_saveexec_b64 s[40:41], vcc
	s_cbranch_execz .LBB6_14851
; %bb.14846:                            ;   in Loop: Header=BB6_14344 Depth=3
	v_cmp_ne_u16_e32 vcc, s82, v0
	v_bfrev_b32_e32 v2, 1
	s_and_saveexec_b64 s[48:49], vcc
	s_cbranch_execz .LBB6_14850
; %bb.14847:                            ;   in Loop: Header=BB6_14344 Depth=3
	v_and_b32_e32 v15, 0x7f, v43
	v_cmp_ne_u32_e32 vcc, s83, v15
	v_mov_b32_e32 v2, 0x7f800001
	s_and_saveexec_b64 s[50:51], vcc
	s_cbranch_execz .LBB6_14849
; %bb.14848:                            ;   in Loop: Header=BB6_14344 Depth=3
	v_and_b32_e32 v2, 7, v0
	v_lshrrev_b32_e32 v18, 3, v15
	v_cmp_gt_u32_e32 vcc, 8, v15
	v_ffbh_u32_e32 v15, v2
	v_min_u32_e32 v19, 32, v15
	v_subrev_u32_e32 v15, 28, v19
	v_lshlrev_b64 v[15:16], v15, v[0:1]
	v_sub_u32_e32 v0, 29, v19
	v_and_b32_e32 v15, 7, v15
	v_cndmask_b32_e32 v0, v18, v0, vcc
	v_cndmask_b32_e32 v2, v2, v15, vcc
	v_lshlrev_b32_e32 v15, 24, v43
	v_bfrev_b32_e32 v16, 60
	v_lshlrev_b32_e32 v2, 20, v2
	v_and_b32_e32 v15, 0x80000000, v15
	v_lshl_add_u32 v0, v0, 23, v16
	v_or3_b32 v2, v15, v0, v2
.LBB6_14849:                            ;   in Loop: Header=BB6_14344 Depth=3
	s_or_b64 exec, exec, s[50:51]
.LBB6_14850:                            ;   in Loop: Header=BB6_14344 Depth=3
	s_or_b64 exec, exec, s[48:49]
.LBB6_14851:                            ;   in Loop: Header=BB6_14344 Depth=3
	s_or_b64 exec, exec, s[40:41]
	v_max_f32_e32 v0, v2, v2
	v_max_f32_e32 v1, v1, v1
	v_min_f32_e32 v1, v1, v0
.LBB6_14852:                            ;   in Loop: Header=BB6_14344 Depth=3
	v_and_b32_e32 v52, 0x7f800000, v1
	v_cmp_ne_u64_e32 vcc, s[76:77], v[52:53]
                                        ; implicit-def: $vgpr43
	s_and_saveexec_b64 s[40:41], vcc
	s_xor_b64 s[48:49], exec, s[40:41]
	s_cbranch_execz .LBB6_14870
; %bb.14853:                            ;   in Loop: Header=BB6_14344 Depth=3
	v_and_b32_e32 v52, 0x7fffffff, v1
	v_cmp_gt_u64_e32 vcc, s[78:79], v[52:53]
	v_and_b32_sdwa v15, v1, s82 dst_sel:DWORD dst_unused:UNUSED_PAD src0_sel:BYTE_3 src1_sel:DWORD
                                        ; implicit-def: $vgpr43
	s_and_saveexec_b64 s[40:41], vcc
	s_xor_b64 s[50:51], exec, s[40:41]
	s_cbranch_execz .LBB6_14867
; %bb.14854:                            ;   in Loop: Header=BB6_14344 Depth=3
	v_cmp_ne_u32_e32 vcc, 0, v1
	v_mov_b32_e32 v43, 0
	s_and_saveexec_b64 s[52:53], vcc
	s_cbranch_execz .LBB6_14866
; %bb.14855:                            ;   in Loop: Header=BB6_14344 Depth=3
	v_bfe_u32 v16, v1, 23, 8
	v_and_b32_e32 v0, 0x7fffff, v1
	v_cmp_gt_u32_e64 s[40:41], s85, v16
	v_sub_u32_e32 v1, 0x79, v16
	v_cmp_eq_u32_e32 vcc, 0, v16
	v_cndmask_b32_e64 v1, 0, v1, s[40:41]
	v_mov_b32_e32 v18, 0x78
	v_or_b32_e32 v2, 0x800000, v0
	v_cndmask_b32_e32 v18, v1, v18, vcc
	v_cndmask_b32_e32 v52, v2, v0, vcc
	v_add_u32_e32 v0, 20, v18
	v_lshlrev_b64 v[0:1], v0, -1
	v_add_u32_e32 v2, 19, v18
	v_lshlrev_b64 v[21:22], v2, 1
	v_bfi_b32 v1, v1, 0, 0
	v_bfi_b32 v0, v0, 0, v52
	v_cmp_eq_u64_e64 s[40:41], v[0:1], v[21:22]
	v_lshrrev_b64 v[0:1], v18, v[52:53]
	v_mov_b32_e32 v2, v1
	v_mov_b32_e32 v1, v0
	s_and_saveexec_b64 s[54:55], s[40:41]
; %bb.14856:                            ;   in Loop: Header=BB6_14344 Depth=3
	v_bfe_u32 v1, v0, 20, 1
	v_add_co_u32_e64 v1, s[40:41], v0, v1
	v_add_co_u32_e64 v1, s[40:41], -1, v1
; %bb.14857:                            ;   in Loop: Header=BB6_14344 Depth=3
	s_or_b64 exec, exec, s[54:55]
	v_add_u32_e32 v2, 0xffffff81, v16
	v_mov_b32_e32 v16, 0xffffff82
	v_cndmask_b32_e32 v2, v2, v16, vcc
	v_lshrrev_b32_e32 v16, 23, v0
	v_add3_u32 v18, v18, v2, v16
	v_add_u32_e32 v16, 6, v18
	v_and_b32_e32 v1, 0xfffff, v1
	v_add_u32_e32 v52, v1, v0
	v_cmp_ne_u32_e32 vcc, 0, v16
                                        ; implicit-def: $vgpr0_vgpr1
                                        ; implicit-def: $vgpr2
	s_and_saveexec_b64 s[40:41], vcc
	s_xor_b64 s[40:41], exec, s[40:41]
; %bb.14858:                            ;   in Loop: Header=BB6_14344 Depth=3
	v_cmp_lt_u64_e32 vcc, s[88:89], v[52:53]
	v_add_u32_e32 v0, 7, v18
	v_cndmask_b32_e32 v2, v16, v0, vcc
	v_cndmask_b32_e64 v0, 0, 1, vcc
	v_lshrrev_b64 v[0:1], v0, v[52:53]
; %bb.14859:                            ;   in Loop: Header=BB6_14344 Depth=3
	s_andn2_saveexec_b64 s[40:41], s[40:41]
; %bb.14860:                            ;   in Loop: Header=BB6_14344 Depth=3
	v_mov_b32_e32 v0, v52
	v_bfe_u32 v2, v52, 23, 1
	v_mov_b32_e32 v1, v53
; %bb.14861:                            ;   in Loop: Header=BB6_14344 Depth=3
	s_or_b64 exec, exec, s[40:41]
	v_lshrrev_b64 v[0:1], 20, v[0:1]
	v_cmp_gt_i32_e32 vcc, 16, v2
	v_cndmask_b32_e32 v1, 0, v1, vcc
	v_cndmask_b32_e32 v0, 7, v0, vcc
	v_cmp_ne_u64_e32 vcc, 0, v[0:1]
	v_cmp_ne_u32_e64 s[40:41], 0, v2
	s_or_b64 s[40:41], s[40:41], vcc
                                        ; implicit-def: $vgpr43
	s_and_saveexec_b64 vcc, s[40:41]
	s_xor_b64 s[40:41], exec, vcc
; %bb.14862:                            ;   in Loop: Header=BB6_14344 Depth=3
	v_min_i32_e32 v1, 15, v2
	v_lshl_or_b32 v1, v1, 3, v15
	v_and_or_b32 v43, v0, 7, v1
                                        ; implicit-def: $vgpr15
; %bb.14863:                            ;   in Loop: Header=BB6_14344 Depth=3
	s_andn2_saveexec_b64 s[40:41], s[40:41]
; %bb.14864:                            ;   in Loop: Header=BB6_14344 Depth=3
	v_mov_b32_e32 v43, v15
; %bb.14865:                            ;   in Loop: Header=BB6_14344 Depth=3
	s_or_b64 exec, exec, s[40:41]
.LBB6_14866:                            ;   in Loop: Header=BB6_14344 Depth=3
	s_or_b64 exec, exec, s[52:53]
                                        ; implicit-def: $vgpr15
.LBB6_14867:                            ;   in Loop: Header=BB6_14344 Depth=3
	s_andn2_saveexec_b64 s[40:41], s[50:51]
; %bb.14868:                            ;   in Loop: Header=BB6_14344 Depth=3
	v_or_b32_e32 v43, 0x7e, v15
; %bb.14869:                            ;   in Loop: Header=BB6_14344 Depth=3
	s_or_b64 exec, exec, s[40:41]
                                        ; implicit-def: $vgpr1
.LBB6_14870:                            ;   in Loop: Header=BB6_14344 Depth=3
	s_andn2_saveexec_b64 s[40:41], s[48:49]
; %bb.14871:                            ;   in Loop: Header=BB6_14344 Depth=3
	v_or_b32_sdwa v43, v1, s83 dst_sel:DWORD dst_unused:UNUSED_PAD src0_sel:BYTE_3 src1_sel:DWORD
; %bb.14872:                            ;   in Loop: Header=BB6_14344 Depth=3
	s_or_b64 exec, exec, s[40:41]
	v_and_b32_e32 v0, 0xff, v23
	v_cmp_ne_u16_e64 s[40:41], 0, v0
	s_and_b64 vcc, exec, s[28:29]
	s_mov_b64 s[48:49], -1
                                        ; implicit-def: $vgpr1
	s_cbranch_vccnz .LBB6_14886
; %bb.14873:                            ;   in Loop: Header=BB6_14344 Depth=3
	v_mov_b32_e32 v15, 0
	v_mov_b32_e32 v2, 0
	s_and_saveexec_b64 s[48:49], s[40:41]
	s_cbranch_execz .LBB6_14879
; %bb.14874:                            ;   in Loop: Header=BB6_14344 Depth=3
	v_cmp_ne_u16_e32 vcc, s82, v0
	v_bfrev_b32_e32 v2, 1
	s_and_saveexec_b64 s[50:51], vcc
	s_cbranch_execz .LBB6_14878
; %bb.14875:                            ;   in Loop: Header=BB6_14344 Depth=3
	v_and_b32_e32 v1, 0x7f, v23
	v_cmp_ne_u32_e32 vcc, s83, v1
	v_mov_b32_e32 v2, 0x7f800001
	s_and_saveexec_b64 s[52:53], vcc
	s_cbranch_execz .LBB6_14877
; %bb.14876:                            ;   in Loop: Header=BB6_14344 Depth=3
	v_and_b32_e32 v16, 7, v0
	v_lshrrev_b32_e32 v18, 3, v1
	v_cmp_gt_u32_e32 vcc, 8, v1
	v_ffbh_u32_e32 v1, v16
	v_min_u32_e32 v19, 32, v1
	v_subrev_u32_e32 v1, 28, v19
	v_lshlrev_b64 v[1:2], v1, v[0:1]
	v_sub_u32_e32 v2, 29, v19
	v_and_b32_e32 v1, 7, v1
	v_cndmask_b32_e32 v2, v18, v2, vcc
	v_cndmask_b32_e32 v1, v16, v1, vcc
	v_lshlrev_b32_e32 v16, 24, v23
	v_bfrev_b32_e32 v18, 60
	v_lshlrev_b32_e32 v1, 20, v1
	v_and_b32_e32 v16, 0x80000000, v16
	v_lshl_add_u32 v2, v2, 23, v18
	v_or3_b32 v2, v16, v2, v1
.LBB6_14877:                            ;   in Loop: Header=BB6_14344 Depth=3
	s_or_b64 exec, exec, s[52:53]
.LBB6_14878:                            ;   in Loop: Header=BB6_14344 Depth=3
	s_or_b64 exec, exec, s[50:51]
.LBB6_14879:                            ;   in Loop: Header=BB6_14344 Depth=3
	s_or_b64 exec, exec, s[48:49]
	v_and_b32_e32 v1, 0xff, v44
	v_cmp_ne_u16_e32 vcc, 0, v1
	s_and_saveexec_b64 s[48:49], vcc
	s_cbranch_execz .LBB6_14885
; %bb.14880:                            ;   in Loop: Header=BB6_14344 Depth=3
	v_cmp_ne_u16_e32 vcc, s82, v1
	v_bfrev_b32_e32 v15, 1
	s_and_saveexec_b64 s[50:51], vcc
	s_cbranch_execz .LBB6_14884
; %bb.14881:                            ;   in Loop: Header=BB6_14344 Depth=3
	v_and_b32_e32 v16, 0x7f, v44
	v_cmp_ne_u32_e32 vcc, s83, v16
	v_mov_b32_e32 v15, 0x7f800001
	s_and_saveexec_b64 s[52:53], vcc
	s_cbranch_execz .LBB6_14883
; %bb.14882:                            ;   in Loop: Header=BB6_14344 Depth=3
	v_and_b32_e32 v18, 7, v1
	v_ffbh_u32_e32 v15, v18
	v_min_u32_e32 v21, 32, v15
	v_subrev_u32_e32 v15, 28, v21
	v_lshrrev_b32_e32 v19, 3, v16
	v_cmp_gt_u32_e32 vcc, 8, v16
	v_lshlrev_b64 v[15:16], v15, v[1:2]
	v_sub_u32_e32 v1, 29, v21
	v_and_b32_e32 v15, 7, v15
	v_cndmask_b32_e32 v1, v19, v1, vcc
	v_cndmask_b32_e32 v15, v18, v15, vcc
	v_lshlrev_b32_e32 v16, 24, v44
	v_bfrev_b32_e32 v18, 60
	v_lshlrev_b32_e32 v15, 20, v15
	v_and_b32_e32 v16, 0x80000000, v16
	v_lshl_add_u32 v1, v1, 23, v18
	v_or3_b32 v15, v16, v1, v15
.LBB6_14883:                            ;   in Loop: Header=BB6_14344 Depth=3
	s_or_b64 exec, exec, s[52:53]
.LBB6_14884:                            ;   in Loop: Header=BB6_14344 Depth=3
	s_or_b64 exec, exec, s[50:51]
.LBB6_14885:                            ;   in Loop: Header=BB6_14344 Depth=3
	s_or_b64 exec, exec, s[48:49]
	v_max_f32_e32 v1, v15, v15
	v_max_f32_e32 v2, v2, v2
	;; [unrolled: 1-line block ×3, first 2 shown]
	s_mov_b64 s[48:49], 0
.LBB6_14886:                            ;   in Loop: Header=BB6_14344 Depth=3
	s_and_b64 vcc, exec, s[48:49]
	s_cbranch_vccz .LBB6_14900
; %bb.14887:                            ;   in Loop: Header=BB6_14344 Depth=3
	v_mov_b32_e32 v2, 0
	v_mov_b32_e32 v1, 0
	s_and_saveexec_b64 s[48:49], s[40:41]
	s_cbranch_execz .LBB6_14893
; %bb.14888:                            ;   in Loop: Header=BB6_14344 Depth=3
	v_cmp_ne_u16_e32 vcc, s82, v0
	v_bfrev_b32_e32 v1, 1
	s_and_saveexec_b64 s[40:41], vcc
	s_cbranch_execz .LBB6_14892
; %bb.14889:                            ;   in Loop: Header=BB6_14344 Depth=3
	v_and_b32_e32 v15, 0x7f, v23
	v_cmp_ne_u32_e32 vcc, s83, v15
	v_mov_b32_e32 v1, 0x7f800001
	s_and_saveexec_b64 s[50:51], vcc
	s_cbranch_execz .LBB6_14891
; %bb.14890:                            ;   in Loop: Header=BB6_14344 Depth=3
	v_and_b32_e32 v16, 7, v0
	v_ffbh_u32_e32 v1, v16
	v_lshrrev_b32_e32 v18, 3, v15
	v_cmp_gt_u32_e32 vcc, 8, v15
	v_min_u32_e32 v15, 32, v1
	v_subrev_u32_e32 v1, 28, v15
	v_lshlrev_b64 v[0:1], v1, v[0:1]
	v_sub_u32_e32 v1, 29, v15
	v_and_b32_e32 v0, 7, v0
	v_cndmask_b32_e32 v1, v18, v1, vcc
	v_cndmask_b32_e32 v0, v16, v0, vcc
	v_lshlrev_b32_e32 v15, 24, v23
	v_bfrev_b32_e32 v16, 60
	v_lshlrev_b32_e32 v0, 20, v0
	v_and_b32_e32 v15, 0x80000000, v15
	v_lshl_add_u32 v1, v1, 23, v16
	v_or3_b32 v1, v15, v1, v0
.LBB6_14891:                            ;   in Loop: Header=BB6_14344 Depth=3
	s_or_b64 exec, exec, s[50:51]
.LBB6_14892:                            ;   in Loop: Header=BB6_14344 Depth=3
	s_or_b64 exec, exec, s[40:41]
.LBB6_14893:                            ;   in Loop: Header=BB6_14344 Depth=3
	s_or_b64 exec, exec, s[48:49]
	v_and_b32_e32 v0, 0xff, v44
	v_cmp_ne_u16_e32 vcc, 0, v0
	s_and_saveexec_b64 s[40:41], vcc
	s_cbranch_execz .LBB6_14899
; %bb.14894:                            ;   in Loop: Header=BB6_14344 Depth=3
	v_cmp_ne_u16_e32 vcc, s82, v0
	v_bfrev_b32_e32 v2, 1
	s_and_saveexec_b64 s[48:49], vcc
	s_cbranch_execz .LBB6_14898
; %bb.14895:                            ;   in Loop: Header=BB6_14344 Depth=3
	v_and_b32_e32 v15, 0x7f, v44
	v_cmp_ne_u32_e32 vcc, s83, v15
	v_mov_b32_e32 v2, 0x7f800001
	s_and_saveexec_b64 s[50:51], vcc
	s_cbranch_execz .LBB6_14897
; %bb.14896:                            ;   in Loop: Header=BB6_14344 Depth=3
	v_and_b32_e32 v2, 7, v0
	v_lshrrev_b32_e32 v18, 3, v15
	v_cmp_gt_u32_e32 vcc, 8, v15
	v_ffbh_u32_e32 v15, v2
	v_min_u32_e32 v19, 32, v15
	v_subrev_u32_e32 v15, 28, v19
	v_lshlrev_b64 v[15:16], v15, v[0:1]
	v_sub_u32_e32 v0, 29, v19
	v_and_b32_e32 v15, 7, v15
	v_cndmask_b32_e32 v0, v18, v0, vcc
	v_cndmask_b32_e32 v2, v2, v15, vcc
	v_lshlrev_b32_e32 v15, 24, v44
	v_bfrev_b32_e32 v16, 60
	v_lshlrev_b32_e32 v2, 20, v2
	v_and_b32_e32 v15, 0x80000000, v15
	v_lshl_add_u32 v0, v0, 23, v16
	v_or3_b32 v2, v15, v0, v2
.LBB6_14897:                            ;   in Loop: Header=BB6_14344 Depth=3
	s_or_b64 exec, exec, s[50:51]
.LBB6_14898:                            ;   in Loop: Header=BB6_14344 Depth=3
	s_or_b64 exec, exec, s[48:49]
.LBB6_14899:                            ;   in Loop: Header=BB6_14344 Depth=3
	s_or_b64 exec, exec, s[40:41]
	v_max_f32_e32 v0, v2, v2
	v_max_f32_e32 v1, v1, v1
	v_min_f32_e32 v1, v1, v0
.LBB6_14900:                            ;   in Loop: Header=BB6_14344 Depth=3
	v_and_b32_e32 v52, 0x7f800000, v1
	v_cmp_ne_u64_e32 vcc, s[76:77], v[52:53]
                                        ; implicit-def: $vgpr44
	s_mov_b64 s[40:41], exec
	v_mov_b32_e32 v24, v3
	buffer_load_dword v3, off, s[0:3], s33 offset:164 ; 4-byte Folded Reload
	buffer_load_dword v25, off, s[0:3], s33 offset:168 ; 4-byte Folded Reload
	s_and_b64 vcc, s[40:41], vcc
	s_xor_b64 s[48:49], vcc, s[40:41]
	v_mov_b32_e32 v23, v41
	s_mov_b64 exec, vcc
	s_cbranch_execz .LBB6_14918
; %bb.14901:                            ;   in Loop: Header=BB6_14344 Depth=3
	v_and_b32_e32 v52, 0x7fffffff, v1
	v_cmp_gt_u64_e32 vcc, s[78:79], v[52:53]
	v_and_b32_sdwa v15, v1, s82 dst_sel:DWORD dst_unused:UNUSED_PAD src0_sel:BYTE_3 src1_sel:DWORD
                                        ; implicit-def: $vgpr44
	s_and_saveexec_b64 s[40:41], vcc
	s_xor_b64 s[50:51], exec, s[40:41]
	s_cbranch_execz .LBB6_14915
; %bb.14902:                            ;   in Loop: Header=BB6_14344 Depth=3
	v_cmp_ne_u32_e32 vcc, 0, v1
	v_mov_b32_e32 v44, 0
	s_and_saveexec_b64 s[52:53], vcc
	s_cbranch_execz .LBB6_14914
; %bb.14903:                            ;   in Loop: Header=BB6_14344 Depth=3
	v_bfe_u32 v16, v1, 23, 8
	v_and_b32_e32 v0, 0x7fffff, v1
	v_cmp_gt_u32_e64 s[40:41], s85, v16
	v_sub_u32_e32 v1, 0x79, v16
	v_cmp_eq_u32_e32 vcc, 0, v16
	v_cndmask_b32_e64 v1, 0, v1, s[40:41]
	v_mov_b32_e32 v18, 0x78
	v_or_b32_e32 v2, 0x800000, v0
	v_cndmask_b32_e32 v18, v1, v18, vcc
	v_cndmask_b32_e32 v52, v2, v0, vcc
	v_add_u32_e32 v0, 20, v18
	v_lshlrev_b64 v[0:1], v0, -1
	v_add_u32_e32 v2, 19, v18
	v_lshlrev_b64 v[21:22], v2, 1
	v_bfi_b32 v1, v1, 0, 0
	v_bfi_b32 v0, v0, 0, v52
	v_cmp_eq_u64_e64 s[40:41], v[0:1], v[21:22]
	v_lshrrev_b64 v[0:1], v18, v[52:53]
	v_mov_b32_e32 v2, v1
	v_mov_b32_e32 v1, v0
	s_and_saveexec_b64 s[54:55], s[40:41]
; %bb.14904:                            ;   in Loop: Header=BB6_14344 Depth=3
	v_bfe_u32 v1, v0, 20, 1
	v_add_co_u32_e64 v1, s[40:41], v0, v1
	v_add_co_u32_e64 v1, s[40:41], -1, v1
; %bb.14905:                            ;   in Loop: Header=BB6_14344 Depth=3
	s_or_b64 exec, exec, s[54:55]
	v_add_u32_e32 v2, 0xffffff81, v16
	v_mov_b32_e32 v16, 0xffffff82
	v_cndmask_b32_e32 v2, v2, v16, vcc
	v_lshrrev_b32_e32 v16, 23, v0
	v_add3_u32 v18, v18, v2, v16
	v_add_u32_e32 v16, 6, v18
	v_and_b32_e32 v1, 0xfffff, v1
	v_add_u32_e32 v52, v1, v0
	v_cmp_ne_u32_e32 vcc, 0, v16
                                        ; implicit-def: $vgpr0_vgpr1
                                        ; implicit-def: $vgpr2
	s_and_saveexec_b64 s[40:41], vcc
	s_xor_b64 s[40:41], exec, s[40:41]
; %bb.14906:                            ;   in Loop: Header=BB6_14344 Depth=3
	v_cmp_lt_u64_e32 vcc, s[88:89], v[52:53]
	v_add_u32_e32 v0, 7, v18
	v_cndmask_b32_e32 v2, v16, v0, vcc
	v_cndmask_b32_e64 v0, 0, 1, vcc
	v_lshrrev_b64 v[0:1], v0, v[52:53]
; %bb.14907:                            ;   in Loop: Header=BB6_14344 Depth=3
	s_andn2_saveexec_b64 s[40:41], s[40:41]
; %bb.14908:                            ;   in Loop: Header=BB6_14344 Depth=3
	v_mov_b32_e32 v0, v52
	v_bfe_u32 v2, v52, 23, 1
	v_mov_b32_e32 v1, v53
; %bb.14909:                            ;   in Loop: Header=BB6_14344 Depth=3
	s_or_b64 exec, exec, s[40:41]
	v_lshrrev_b64 v[0:1], 20, v[0:1]
	v_cmp_gt_i32_e32 vcc, 16, v2
	v_cndmask_b32_e32 v1, 0, v1, vcc
	v_cndmask_b32_e32 v0, 7, v0, vcc
	v_cmp_ne_u64_e32 vcc, 0, v[0:1]
	v_cmp_ne_u32_e64 s[40:41], 0, v2
	s_or_b64 s[40:41], s[40:41], vcc
                                        ; implicit-def: $vgpr44
	s_and_saveexec_b64 vcc, s[40:41]
	s_xor_b64 s[40:41], exec, vcc
; %bb.14910:                            ;   in Loop: Header=BB6_14344 Depth=3
	v_min_i32_e32 v1, 15, v2
	v_lshl_or_b32 v1, v1, 3, v15
	v_and_or_b32 v44, v0, 7, v1
                                        ; implicit-def: $vgpr15
; %bb.14911:                            ;   in Loop: Header=BB6_14344 Depth=3
	s_andn2_saveexec_b64 s[40:41], s[40:41]
; %bb.14912:                            ;   in Loop: Header=BB6_14344 Depth=3
	v_mov_b32_e32 v44, v15
; %bb.14913:                            ;   in Loop: Header=BB6_14344 Depth=3
	s_or_b64 exec, exec, s[40:41]
.LBB6_14914:                            ;   in Loop: Header=BB6_14344 Depth=3
	s_or_b64 exec, exec, s[52:53]
                                        ; implicit-def: $vgpr15
.LBB6_14915:                            ;   in Loop: Header=BB6_14344 Depth=3
	s_andn2_saveexec_b64 s[40:41], s[50:51]
; %bb.14916:                            ;   in Loop: Header=BB6_14344 Depth=3
	v_or_b32_e32 v44, 0x7e, v15
; %bb.14917:                            ;   in Loop: Header=BB6_14344 Depth=3
	s_or_b64 exec, exec, s[40:41]
                                        ; implicit-def: $vgpr1
.LBB6_14918:                            ;   in Loop: Header=BB6_14344 Depth=3
	s_andn2_saveexec_b64 s[40:41], s[48:49]
; %bb.14919:                            ;   in Loop: Header=BB6_14344 Depth=3
	v_or_b32_sdwa v44, v1, s83 dst_sel:DWORD dst_unused:UNUSED_PAD src0_sel:BYTE_3 src1_sel:DWORD
; %bb.14920:                            ;   in Loop: Header=BB6_14344 Depth=3
	s_or_b64 exec, exec, s[40:41]
	v_and_b32_e32 v0, 0xff, v20
	v_cmp_ne_u16_e64 s[40:41], 0, v0
	s_and_b64 vcc, exec, s[28:29]
	s_mov_b64 s[48:49], -1
                                        ; implicit-def: $vgpr1
	s_cbranch_vccnz .LBB6_14934
; %bb.14921:                            ;   in Loop: Header=BB6_14344 Depth=3
	v_mov_b32_e32 v15, 0
	v_mov_b32_e32 v2, 0
	s_and_saveexec_b64 s[48:49], s[40:41]
	s_cbranch_execz .LBB6_14927
; %bb.14922:                            ;   in Loop: Header=BB6_14344 Depth=3
	v_cmp_ne_u16_e32 vcc, s82, v0
	v_bfrev_b32_e32 v2, 1
	s_and_saveexec_b64 s[50:51], vcc
	s_cbranch_execz .LBB6_14926
; %bb.14923:                            ;   in Loop: Header=BB6_14344 Depth=3
	v_and_b32_e32 v1, 0x7f, v20
	v_cmp_ne_u32_e32 vcc, s83, v1
	v_mov_b32_e32 v2, 0x7f800001
	s_and_saveexec_b64 s[52:53], vcc
	s_cbranch_execz .LBB6_14925
; %bb.14924:                            ;   in Loop: Header=BB6_14344 Depth=3
	v_and_b32_e32 v16, 7, v0
	v_lshrrev_b32_e32 v18, 3, v1
	v_cmp_gt_u32_e32 vcc, 8, v1
	v_ffbh_u32_e32 v1, v16
	v_min_u32_e32 v19, 32, v1
	v_subrev_u32_e32 v1, 28, v19
	v_lshlrev_b64 v[1:2], v1, v[0:1]
	v_sub_u32_e32 v2, 29, v19
	v_and_b32_e32 v1, 7, v1
	v_cndmask_b32_e32 v2, v18, v2, vcc
	v_cndmask_b32_e32 v1, v16, v1, vcc
	v_lshlrev_b32_e32 v16, 24, v20
	v_bfrev_b32_e32 v18, 60
	v_lshlrev_b32_e32 v1, 20, v1
	v_and_b32_e32 v16, 0x80000000, v16
	v_lshl_add_u32 v2, v2, 23, v18
	v_or3_b32 v2, v16, v2, v1
.LBB6_14925:                            ;   in Loop: Header=BB6_14344 Depth=3
	s_or_b64 exec, exec, s[52:53]
.LBB6_14926:                            ;   in Loop: Header=BB6_14344 Depth=3
	s_or_b64 exec, exec, s[50:51]
.LBB6_14927:                            ;   in Loop: Header=BB6_14344 Depth=3
	s_or_b64 exec, exec, s[48:49]
	v_and_b32_e32 v1, 0xff, v47
	v_cmp_ne_u16_e32 vcc, 0, v1
	s_and_saveexec_b64 s[48:49], vcc
	s_cbranch_execz .LBB6_14933
; %bb.14928:                            ;   in Loop: Header=BB6_14344 Depth=3
	v_cmp_ne_u16_e32 vcc, s82, v1
	v_bfrev_b32_e32 v15, 1
	s_and_saveexec_b64 s[50:51], vcc
	s_cbranch_execz .LBB6_14932
; %bb.14929:                            ;   in Loop: Header=BB6_14344 Depth=3
	v_and_b32_e32 v16, 0x7f, v47
	v_cmp_ne_u32_e32 vcc, s83, v16
	v_mov_b32_e32 v15, 0x7f800001
	s_and_saveexec_b64 s[52:53], vcc
	s_cbranch_execz .LBB6_14931
; %bb.14930:                            ;   in Loop: Header=BB6_14344 Depth=3
	v_and_b32_e32 v18, 7, v1
	v_ffbh_u32_e32 v15, v18
	v_min_u32_e32 v21, 32, v15
	v_subrev_u32_e32 v15, 28, v21
	v_lshrrev_b32_e32 v19, 3, v16
	v_cmp_gt_u32_e32 vcc, 8, v16
	v_lshlrev_b64 v[15:16], v15, v[1:2]
	v_sub_u32_e32 v1, 29, v21
	v_and_b32_e32 v15, 7, v15
	v_cndmask_b32_e32 v1, v19, v1, vcc
	v_cndmask_b32_e32 v15, v18, v15, vcc
	v_lshlrev_b32_e32 v16, 24, v47
	v_bfrev_b32_e32 v18, 60
	v_lshlrev_b32_e32 v15, 20, v15
	v_and_b32_e32 v16, 0x80000000, v16
	v_lshl_add_u32 v1, v1, 23, v18
	v_or3_b32 v15, v16, v1, v15
.LBB6_14931:                            ;   in Loop: Header=BB6_14344 Depth=3
	s_or_b64 exec, exec, s[52:53]
.LBB6_14932:                            ;   in Loop: Header=BB6_14344 Depth=3
	s_or_b64 exec, exec, s[50:51]
.LBB6_14933:                            ;   in Loop: Header=BB6_14344 Depth=3
	s_or_b64 exec, exec, s[48:49]
	v_max_f32_e32 v1, v15, v15
	v_max_f32_e32 v2, v2, v2
	;; [unrolled: 1-line block ×3, first 2 shown]
	s_mov_b64 s[48:49], 0
.LBB6_14934:                            ;   in Loop: Header=BB6_14344 Depth=3
	s_and_b64 vcc, exec, s[48:49]
	s_cbranch_vccz .LBB6_14948
; %bb.14935:                            ;   in Loop: Header=BB6_14344 Depth=3
	v_mov_b32_e32 v2, 0
	v_mov_b32_e32 v1, 0
	s_and_saveexec_b64 s[48:49], s[40:41]
	s_cbranch_execz .LBB6_14941
; %bb.14936:                            ;   in Loop: Header=BB6_14344 Depth=3
	v_cmp_ne_u16_e32 vcc, s82, v0
	v_bfrev_b32_e32 v1, 1
	s_and_saveexec_b64 s[40:41], vcc
	s_cbranch_execz .LBB6_14940
; %bb.14937:                            ;   in Loop: Header=BB6_14344 Depth=3
	v_and_b32_e32 v15, 0x7f, v20
	v_cmp_ne_u32_e32 vcc, s83, v15
	v_mov_b32_e32 v1, 0x7f800001
	s_and_saveexec_b64 s[50:51], vcc
	s_cbranch_execz .LBB6_14939
; %bb.14938:                            ;   in Loop: Header=BB6_14344 Depth=3
	v_and_b32_e32 v16, 7, v0
	v_ffbh_u32_e32 v1, v16
	v_lshrrev_b32_e32 v18, 3, v15
	v_cmp_gt_u32_e32 vcc, 8, v15
	v_min_u32_e32 v15, 32, v1
	v_subrev_u32_e32 v1, 28, v15
	v_lshlrev_b64 v[0:1], v1, v[0:1]
	v_sub_u32_e32 v1, 29, v15
	v_and_b32_e32 v0, 7, v0
	v_cndmask_b32_e32 v1, v18, v1, vcc
	v_cndmask_b32_e32 v0, v16, v0, vcc
	v_lshlrev_b32_e32 v15, 24, v20
	v_bfrev_b32_e32 v16, 60
	v_lshlrev_b32_e32 v0, 20, v0
	v_and_b32_e32 v15, 0x80000000, v15
	v_lshl_add_u32 v1, v1, 23, v16
	v_or3_b32 v1, v15, v1, v0
.LBB6_14939:                            ;   in Loop: Header=BB6_14344 Depth=3
	s_or_b64 exec, exec, s[50:51]
.LBB6_14940:                            ;   in Loop: Header=BB6_14344 Depth=3
	s_or_b64 exec, exec, s[40:41]
.LBB6_14941:                            ;   in Loop: Header=BB6_14344 Depth=3
	s_or_b64 exec, exec, s[48:49]
	v_and_b32_e32 v0, 0xff, v47
	v_cmp_ne_u16_e32 vcc, 0, v0
	s_and_saveexec_b64 s[40:41], vcc
	s_cbranch_execz .LBB6_14947
; %bb.14942:                            ;   in Loop: Header=BB6_14344 Depth=3
	v_cmp_ne_u16_e32 vcc, s82, v0
	v_bfrev_b32_e32 v2, 1
	s_and_saveexec_b64 s[48:49], vcc
	s_cbranch_execz .LBB6_14946
; %bb.14943:                            ;   in Loop: Header=BB6_14344 Depth=3
	v_and_b32_e32 v15, 0x7f, v47
	v_cmp_ne_u32_e32 vcc, s83, v15
	v_mov_b32_e32 v2, 0x7f800001
	s_and_saveexec_b64 s[50:51], vcc
	s_cbranch_execz .LBB6_14945
; %bb.14944:                            ;   in Loop: Header=BB6_14344 Depth=3
	v_and_b32_e32 v2, 7, v0
	v_lshrrev_b32_e32 v18, 3, v15
	v_cmp_gt_u32_e32 vcc, 8, v15
	v_ffbh_u32_e32 v15, v2
	v_min_u32_e32 v19, 32, v15
	v_subrev_u32_e32 v15, 28, v19
	v_lshlrev_b64 v[15:16], v15, v[0:1]
	v_sub_u32_e32 v0, 29, v19
	v_and_b32_e32 v15, 7, v15
	v_cndmask_b32_e32 v0, v18, v0, vcc
	v_cndmask_b32_e32 v2, v2, v15, vcc
	v_lshlrev_b32_e32 v15, 24, v47
	v_bfrev_b32_e32 v16, 60
	v_lshlrev_b32_e32 v2, 20, v2
	v_and_b32_e32 v15, 0x80000000, v15
	v_lshl_add_u32 v0, v0, 23, v16
	v_or3_b32 v2, v15, v0, v2
.LBB6_14945:                            ;   in Loop: Header=BB6_14344 Depth=3
	s_or_b64 exec, exec, s[50:51]
.LBB6_14946:                            ;   in Loop: Header=BB6_14344 Depth=3
	s_or_b64 exec, exec, s[48:49]
.LBB6_14947:                            ;   in Loop: Header=BB6_14344 Depth=3
	s_or_b64 exec, exec, s[40:41]
	v_max_f32_e32 v0, v2, v2
	v_max_f32_e32 v1, v1, v1
	v_min_f32_e32 v1, v1, v0
.LBB6_14948:                            ;   in Loop: Header=BB6_14344 Depth=3
	v_and_b32_e32 v52, 0x7f800000, v1
	v_cmp_ne_u64_e32 vcc, s[76:77], v[52:53]
                                        ; implicit-def: $vgpr47
	s_and_saveexec_b64 s[40:41], vcc
	s_xor_b64 s[48:49], exec, s[40:41]
	s_cbranch_execz .LBB6_14966
; %bb.14949:                            ;   in Loop: Header=BB6_14344 Depth=3
	v_and_b32_e32 v52, 0x7fffffff, v1
	v_cmp_gt_u64_e32 vcc, s[78:79], v[52:53]
	v_and_b32_sdwa v15, v1, s82 dst_sel:DWORD dst_unused:UNUSED_PAD src0_sel:BYTE_3 src1_sel:DWORD
                                        ; implicit-def: $vgpr47
	s_and_saveexec_b64 s[40:41], vcc
	s_xor_b64 s[50:51], exec, s[40:41]
	s_cbranch_execz .LBB6_14963
; %bb.14950:                            ;   in Loop: Header=BB6_14344 Depth=3
	v_cmp_ne_u32_e32 vcc, 0, v1
	v_mov_b32_e32 v47, 0
	s_and_saveexec_b64 s[52:53], vcc
	s_cbranch_execz .LBB6_14962
; %bb.14951:                            ;   in Loop: Header=BB6_14344 Depth=3
	v_bfe_u32 v16, v1, 23, 8
	v_and_b32_e32 v0, 0x7fffff, v1
	v_cmp_gt_u32_e64 s[40:41], s85, v16
	v_sub_u32_e32 v1, 0x79, v16
	v_cmp_eq_u32_e32 vcc, 0, v16
	v_cndmask_b32_e64 v1, 0, v1, s[40:41]
	v_mov_b32_e32 v18, 0x78
	v_or_b32_e32 v2, 0x800000, v0
	v_cndmask_b32_e32 v18, v1, v18, vcc
	v_cndmask_b32_e32 v52, v2, v0, vcc
	v_add_u32_e32 v0, 20, v18
	v_lshlrev_b64 v[0:1], v0, -1
	v_add_u32_e32 v2, 19, v18
	v_lshlrev_b64 v[19:20], v2, 1
	v_bfi_b32 v1, v1, 0, 0
	v_bfi_b32 v0, v0, 0, v52
	v_cmp_eq_u64_e64 s[40:41], v[0:1], v[19:20]
	v_lshrrev_b64 v[0:1], v18, v[52:53]
	v_mov_b32_e32 v2, v1
	v_mov_b32_e32 v1, v0
	s_and_saveexec_b64 s[54:55], s[40:41]
; %bb.14952:                            ;   in Loop: Header=BB6_14344 Depth=3
	v_bfe_u32 v1, v0, 20, 1
	v_add_co_u32_e64 v1, s[40:41], v0, v1
	v_add_co_u32_e64 v1, s[40:41], -1, v1
; %bb.14953:                            ;   in Loop: Header=BB6_14344 Depth=3
	s_or_b64 exec, exec, s[54:55]
	v_add_u32_e32 v2, 0xffffff81, v16
	v_mov_b32_e32 v16, 0xffffff82
	v_cndmask_b32_e32 v2, v2, v16, vcc
	v_lshrrev_b32_e32 v16, 23, v0
	v_add3_u32 v18, v18, v2, v16
	v_add_u32_e32 v16, 6, v18
	v_and_b32_e32 v1, 0xfffff, v1
	v_add_u32_e32 v52, v1, v0
	v_cmp_ne_u32_e32 vcc, 0, v16
                                        ; implicit-def: $vgpr0_vgpr1
                                        ; implicit-def: $vgpr2
	s_and_saveexec_b64 s[40:41], vcc
	s_xor_b64 s[40:41], exec, s[40:41]
; %bb.14954:                            ;   in Loop: Header=BB6_14344 Depth=3
	v_cmp_lt_u64_e32 vcc, s[88:89], v[52:53]
	v_add_u32_e32 v0, 7, v18
	v_cndmask_b32_e32 v2, v16, v0, vcc
	v_cndmask_b32_e64 v0, 0, 1, vcc
	v_lshrrev_b64 v[0:1], v0, v[52:53]
; %bb.14955:                            ;   in Loop: Header=BB6_14344 Depth=3
	s_andn2_saveexec_b64 s[40:41], s[40:41]
; %bb.14956:                            ;   in Loop: Header=BB6_14344 Depth=3
	v_mov_b32_e32 v0, v52
	v_bfe_u32 v2, v52, 23, 1
	v_mov_b32_e32 v1, v53
; %bb.14957:                            ;   in Loop: Header=BB6_14344 Depth=3
	s_or_b64 exec, exec, s[40:41]
	v_lshrrev_b64 v[0:1], 20, v[0:1]
	v_cmp_gt_i32_e32 vcc, 16, v2
	v_cndmask_b32_e32 v1, 0, v1, vcc
	v_cndmask_b32_e32 v0, 7, v0, vcc
	v_cmp_ne_u64_e32 vcc, 0, v[0:1]
	v_cmp_ne_u32_e64 s[40:41], 0, v2
	s_or_b64 s[40:41], s[40:41], vcc
                                        ; implicit-def: $vgpr47
	s_and_saveexec_b64 vcc, s[40:41]
	s_xor_b64 s[40:41], exec, vcc
; %bb.14958:                            ;   in Loop: Header=BB6_14344 Depth=3
	v_min_i32_e32 v1, 15, v2
	v_lshl_or_b32 v1, v1, 3, v15
	v_and_or_b32 v47, v0, 7, v1
                                        ; implicit-def: $vgpr15
; %bb.14959:                            ;   in Loop: Header=BB6_14344 Depth=3
	s_andn2_saveexec_b64 s[40:41], s[40:41]
; %bb.14960:                            ;   in Loop: Header=BB6_14344 Depth=3
	v_mov_b32_e32 v47, v15
; %bb.14961:                            ;   in Loop: Header=BB6_14344 Depth=3
	s_or_b64 exec, exec, s[40:41]
.LBB6_14962:                            ;   in Loop: Header=BB6_14344 Depth=3
	s_or_b64 exec, exec, s[52:53]
                                        ; implicit-def: $vgpr15
.LBB6_14963:                            ;   in Loop: Header=BB6_14344 Depth=3
	s_andn2_saveexec_b64 s[40:41], s[50:51]
; %bb.14964:                            ;   in Loop: Header=BB6_14344 Depth=3
	v_or_b32_e32 v47, 0x7e, v15
; %bb.14965:                            ;   in Loop: Header=BB6_14344 Depth=3
	s_or_b64 exec, exec, s[40:41]
                                        ; implicit-def: $vgpr1
.LBB6_14966:                            ;   in Loop: Header=BB6_14344 Depth=3
	s_andn2_saveexec_b64 s[40:41], s[48:49]
; %bb.14967:                            ;   in Loop: Header=BB6_14344 Depth=3
	v_or_b32_sdwa v47, v1, s83 dst_sel:DWORD dst_unused:UNUSED_PAD src0_sel:BYTE_3 src1_sel:DWORD
; %bb.14968:                            ;   in Loop: Header=BB6_14344 Depth=3
	s_or_b64 exec, exec, s[40:41]
	v_and_b32_e32 v0, 0xff, v61
	v_cmp_ne_u16_e64 s[40:41], 0, v0
	s_and_b64 vcc, exec, s[28:29]
	s_mov_b64 s[48:49], -1
                                        ; implicit-def: $vgpr1
	s_cbranch_vccnz .LBB6_14982
; %bb.14969:                            ;   in Loop: Header=BB6_14344 Depth=3
	v_mov_b32_e32 v15, 0
	v_mov_b32_e32 v2, 0
	s_and_saveexec_b64 s[48:49], s[40:41]
	s_cbranch_execz .LBB6_14975
; %bb.14970:                            ;   in Loop: Header=BB6_14344 Depth=3
	v_cmp_ne_u16_e32 vcc, s82, v0
	v_bfrev_b32_e32 v2, 1
	s_and_saveexec_b64 s[50:51], vcc
	s_cbranch_execz .LBB6_14974
; %bb.14971:                            ;   in Loop: Header=BB6_14344 Depth=3
	v_and_b32_e32 v1, 0x7f, v61
	v_cmp_ne_u32_e32 vcc, s83, v1
	v_mov_b32_e32 v2, 0x7f800001
	s_and_saveexec_b64 s[52:53], vcc
	s_cbranch_execz .LBB6_14973
; %bb.14972:                            ;   in Loop: Header=BB6_14344 Depth=3
	v_and_b32_e32 v16, 7, v0
	v_lshrrev_b32_e32 v18, 3, v1
	v_cmp_gt_u32_e32 vcc, 8, v1
	v_ffbh_u32_e32 v1, v16
	v_min_u32_e32 v19, 32, v1
	v_subrev_u32_e32 v1, 28, v19
	v_lshlrev_b64 v[1:2], v1, v[0:1]
	v_sub_u32_e32 v2, 29, v19
	v_and_b32_e32 v1, 7, v1
	v_cndmask_b32_e32 v2, v18, v2, vcc
	v_cndmask_b32_e32 v1, v16, v1, vcc
	v_lshlrev_b32_e32 v16, 24, v61
	v_bfrev_b32_e32 v18, 60
	v_lshlrev_b32_e32 v1, 20, v1
	v_and_b32_e32 v16, 0x80000000, v16
	v_lshl_add_u32 v2, v2, 23, v18
	v_or3_b32 v2, v16, v2, v1
.LBB6_14973:                            ;   in Loop: Header=BB6_14344 Depth=3
	s_or_b64 exec, exec, s[52:53]
.LBB6_14974:                            ;   in Loop: Header=BB6_14344 Depth=3
	s_or_b64 exec, exec, s[50:51]
.LBB6_14975:                            ;   in Loop: Header=BB6_14344 Depth=3
	s_or_b64 exec, exec, s[48:49]
	v_and_b32_e32 v1, 0xff, v57
	v_cmp_ne_u16_e32 vcc, 0, v1
	s_and_saveexec_b64 s[48:49], vcc
	s_cbranch_execz .LBB6_14981
; %bb.14976:                            ;   in Loop: Header=BB6_14344 Depth=3
	v_cmp_ne_u16_e32 vcc, s82, v1
	v_bfrev_b32_e32 v15, 1
	s_and_saveexec_b64 s[50:51], vcc
	s_cbranch_execz .LBB6_14980
; %bb.14977:                            ;   in Loop: Header=BB6_14344 Depth=3
	v_and_b32_e32 v16, 0x7f, v57
	v_cmp_ne_u32_e32 vcc, s83, v16
	v_mov_b32_e32 v15, 0x7f800001
	s_and_saveexec_b64 s[52:53], vcc
	s_cbranch_execz .LBB6_14979
; %bb.14978:                            ;   in Loop: Header=BB6_14344 Depth=3
	v_and_b32_e32 v18, 7, v1
	v_ffbh_u32_e32 v15, v18
	v_min_u32_e32 v20, 32, v15
	v_subrev_u32_e32 v15, 28, v20
	v_lshrrev_b32_e32 v19, 3, v16
	v_cmp_gt_u32_e32 vcc, 8, v16
	v_lshlrev_b64 v[15:16], v15, v[1:2]
	v_sub_u32_e32 v1, 29, v20
	v_and_b32_e32 v15, 7, v15
	v_cndmask_b32_e32 v1, v19, v1, vcc
	v_cndmask_b32_e32 v15, v18, v15, vcc
	v_lshlrev_b32_e32 v16, 24, v57
	v_bfrev_b32_e32 v18, 60
	v_lshlrev_b32_e32 v15, 20, v15
	v_and_b32_e32 v16, 0x80000000, v16
	v_lshl_add_u32 v1, v1, 23, v18
	v_or3_b32 v15, v16, v1, v15
.LBB6_14979:                            ;   in Loop: Header=BB6_14344 Depth=3
	s_or_b64 exec, exec, s[52:53]
.LBB6_14980:                            ;   in Loop: Header=BB6_14344 Depth=3
	s_or_b64 exec, exec, s[50:51]
.LBB6_14981:                            ;   in Loop: Header=BB6_14344 Depth=3
	s_or_b64 exec, exec, s[48:49]
	v_max_f32_e32 v1, v15, v15
	v_max_f32_e32 v2, v2, v2
	;; [unrolled: 1-line block ×3, first 2 shown]
	s_mov_b64 s[48:49], 0
.LBB6_14982:                            ;   in Loop: Header=BB6_14344 Depth=3
	s_and_b64 vcc, exec, s[48:49]
	s_cbranch_vccz .LBB6_14996
; %bb.14983:                            ;   in Loop: Header=BB6_14344 Depth=3
	v_mov_b32_e32 v2, 0
	v_mov_b32_e32 v1, 0
	s_and_saveexec_b64 s[48:49], s[40:41]
	s_cbranch_execz .LBB6_14989
; %bb.14984:                            ;   in Loop: Header=BB6_14344 Depth=3
	v_cmp_ne_u16_e32 vcc, s82, v0
	v_bfrev_b32_e32 v1, 1
	s_and_saveexec_b64 s[40:41], vcc
	s_cbranch_execz .LBB6_14988
; %bb.14985:                            ;   in Loop: Header=BB6_14344 Depth=3
	v_and_b32_e32 v15, 0x7f, v61
	v_cmp_ne_u32_e32 vcc, s83, v15
	v_mov_b32_e32 v1, 0x7f800001
	s_and_saveexec_b64 s[50:51], vcc
	s_cbranch_execz .LBB6_14987
; %bb.14986:                            ;   in Loop: Header=BB6_14344 Depth=3
	v_and_b32_e32 v16, 7, v0
	v_ffbh_u32_e32 v1, v16
	v_lshrrev_b32_e32 v18, 3, v15
	v_cmp_gt_u32_e32 vcc, 8, v15
	v_min_u32_e32 v15, 32, v1
	v_subrev_u32_e32 v1, 28, v15
	v_lshlrev_b64 v[0:1], v1, v[0:1]
	v_sub_u32_e32 v1, 29, v15
	v_and_b32_e32 v0, 7, v0
	v_cndmask_b32_e32 v1, v18, v1, vcc
	v_cndmask_b32_e32 v0, v16, v0, vcc
	v_lshlrev_b32_e32 v15, 24, v61
	v_bfrev_b32_e32 v16, 60
	v_lshlrev_b32_e32 v0, 20, v0
	v_and_b32_e32 v15, 0x80000000, v15
	v_lshl_add_u32 v1, v1, 23, v16
	v_or3_b32 v1, v15, v1, v0
.LBB6_14987:                            ;   in Loop: Header=BB6_14344 Depth=3
	s_or_b64 exec, exec, s[50:51]
.LBB6_14988:                            ;   in Loop: Header=BB6_14344 Depth=3
	s_or_b64 exec, exec, s[40:41]
.LBB6_14989:                            ;   in Loop: Header=BB6_14344 Depth=3
	s_or_b64 exec, exec, s[48:49]
	v_and_b32_e32 v0, 0xff, v57
	v_cmp_ne_u16_e32 vcc, 0, v0
	s_and_saveexec_b64 s[40:41], vcc
	s_cbranch_execz .LBB6_14995
; %bb.14990:                            ;   in Loop: Header=BB6_14344 Depth=3
	v_cmp_ne_u16_e32 vcc, s82, v0
	v_bfrev_b32_e32 v2, 1
	s_and_saveexec_b64 s[48:49], vcc
	s_cbranch_execz .LBB6_14994
; %bb.14991:                            ;   in Loop: Header=BB6_14344 Depth=3
	v_and_b32_e32 v15, 0x7f, v57
	v_cmp_ne_u32_e32 vcc, s83, v15
	v_mov_b32_e32 v2, 0x7f800001
	s_and_saveexec_b64 s[50:51], vcc
	s_cbranch_execz .LBB6_14993
; %bb.14992:                            ;   in Loop: Header=BB6_14344 Depth=3
	v_and_b32_e32 v2, 7, v0
	v_lshrrev_b32_e32 v18, 3, v15
	v_cmp_gt_u32_e32 vcc, 8, v15
	v_ffbh_u32_e32 v15, v2
	v_min_u32_e32 v19, 32, v15
	v_subrev_u32_e32 v15, 28, v19
	v_lshlrev_b64 v[15:16], v15, v[0:1]
	v_sub_u32_e32 v0, 29, v19
	v_and_b32_e32 v15, 7, v15
	v_cndmask_b32_e32 v0, v18, v0, vcc
	v_cndmask_b32_e32 v2, v2, v15, vcc
	v_lshlrev_b32_e32 v15, 24, v57
	v_bfrev_b32_e32 v16, 60
	v_lshlrev_b32_e32 v2, 20, v2
	v_and_b32_e32 v15, 0x80000000, v15
	v_lshl_add_u32 v0, v0, 23, v16
	v_or3_b32 v2, v15, v0, v2
.LBB6_14993:                            ;   in Loop: Header=BB6_14344 Depth=3
	s_or_b64 exec, exec, s[50:51]
.LBB6_14994:                            ;   in Loop: Header=BB6_14344 Depth=3
	s_or_b64 exec, exec, s[48:49]
.LBB6_14995:                            ;   in Loop: Header=BB6_14344 Depth=3
	s_or_b64 exec, exec, s[40:41]
	v_max_f32_e32 v0, v2, v2
	v_max_f32_e32 v1, v1, v1
	v_min_f32_e32 v1, v1, v0
.LBB6_14996:                            ;   in Loop: Header=BB6_14344 Depth=3
	v_and_b32_e32 v52, 0x7f800000, v1
	v_cmp_ne_u64_e32 vcc, s[76:77], v[52:53]
                                        ; implicit-def: $vgpr61
	s_and_saveexec_b64 s[40:41], vcc
	s_xor_b64 s[48:49], exec, s[40:41]
	s_cbranch_execz .LBB6_15014
; %bb.14997:                            ;   in Loop: Header=BB6_14344 Depth=3
	v_and_b32_e32 v52, 0x7fffffff, v1
	v_cmp_gt_u64_e32 vcc, s[78:79], v[52:53]
	v_and_b32_sdwa v15, v1, s82 dst_sel:DWORD dst_unused:UNUSED_PAD src0_sel:BYTE_3 src1_sel:DWORD
                                        ; implicit-def: $vgpr61
	s_and_saveexec_b64 s[40:41], vcc
	s_xor_b64 s[50:51], exec, s[40:41]
	s_cbranch_execz .LBB6_15011
; %bb.14998:                            ;   in Loop: Header=BB6_14344 Depth=3
	v_cmp_ne_u32_e32 vcc, 0, v1
	v_mov_b32_e32 v61, 0
	s_and_saveexec_b64 s[52:53], vcc
	s_cbranch_execz .LBB6_15010
; %bb.14999:                            ;   in Loop: Header=BB6_14344 Depth=3
	v_bfe_u32 v16, v1, 23, 8
	v_and_b32_e32 v0, 0x7fffff, v1
	v_cmp_gt_u32_e64 s[40:41], s85, v16
	v_sub_u32_e32 v1, 0x79, v16
	v_cmp_eq_u32_e32 vcc, 0, v16
	v_cndmask_b32_e64 v1, 0, v1, s[40:41]
	v_mov_b32_e32 v18, 0x78
	v_or_b32_e32 v2, 0x800000, v0
	v_cndmask_b32_e32 v18, v1, v18, vcc
	v_cndmask_b32_e32 v52, v2, v0, vcc
	v_add_u32_e32 v0, 20, v18
	v_lshlrev_b64 v[0:1], v0, -1
	v_add_u32_e32 v2, 19, v18
	v_lshlrev_b64 v[19:20], v2, 1
	v_bfi_b32 v1, v1, 0, 0
	v_bfi_b32 v0, v0, 0, v52
	v_cmp_eq_u64_e64 s[40:41], v[0:1], v[19:20]
	v_lshrrev_b64 v[0:1], v18, v[52:53]
	v_mov_b32_e32 v2, v1
	v_mov_b32_e32 v1, v0
	s_and_saveexec_b64 s[54:55], s[40:41]
; %bb.15000:                            ;   in Loop: Header=BB6_14344 Depth=3
	v_bfe_u32 v1, v0, 20, 1
	v_add_co_u32_e64 v1, s[40:41], v0, v1
	v_add_co_u32_e64 v1, s[40:41], -1, v1
; %bb.15001:                            ;   in Loop: Header=BB6_14344 Depth=3
	s_or_b64 exec, exec, s[54:55]
	v_add_u32_e32 v2, 0xffffff81, v16
	v_mov_b32_e32 v16, 0xffffff82
	v_cndmask_b32_e32 v2, v2, v16, vcc
	v_lshrrev_b32_e32 v16, 23, v0
	v_add3_u32 v18, v18, v2, v16
	v_add_u32_e32 v16, 6, v18
	v_and_b32_e32 v1, 0xfffff, v1
	v_add_u32_e32 v52, v1, v0
	v_cmp_ne_u32_e32 vcc, 0, v16
                                        ; implicit-def: $vgpr0_vgpr1
                                        ; implicit-def: $vgpr2
	s_and_saveexec_b64 s[40:41], vcc
	s_xor_b64 s[40:41], exec, s[40:41]
; %bb.15002:                            ;   in Loop: Header=BB6_14344 Depth=3
	v_cmp_lt_u64_e32 vcc, s[88:89], v[52:53]
	v_add_u32_e32 v0, 7, v18
	v_cndmask_b32_e32 v2, v16, v0, vcc
	v_cndmask_b32_e64 v0, 0, 1, vcc
	v_lshrrev_b64 v[0:1], v0, v[52:53]
; %bb.15003:                            ;   in Loop: Header=BB6_14344 Depth=3
	s_andn2_saveexec_b64 s[40:41], s[40:41]
; %bb.15004:                            ;   in Loop: Header=BB6_14344 Depth=3
	v_mov_b32_e32 v0, v52
	v_bfe_u32 v2, v52, 23, 1
	v_mov_b32_e32 v1, v53
; %bb.15005:                            ;   in Loop: Header=BB6_14344 Depth=3
	s_or_b64 exec, exec, s[40:41]
	v_lshrrev_b64 v[0:1], 20, v[0:1]
	v_cmp_gt_i32_e32 vcc, 16, v2
	v_cndmask_b32_e32 v1, 0, v1, vcc
	v_cndmask_b32_e32 v0, 7, v0, vcc
	v_cmp_ne_u64_e32 vcc, 0, v[0:1]
	v_cmp_ne_u32_e64 s[40:41], 0, v2
	s_or_b64 s[40:41], s[40:41], vcc
                                        ; implicit-def: $vgpr61
	s_and_saveexec_b64 vcc, s[40:41]
	s_xor_b64 s[40:41], exec, vcc
; %bb.15006:                            ;   in Loop: Header=BB6_14344 Depth=3
	v_min_i32_e32 v1, 15, v2
	v_lshl_or_b32 v1, v1, 3, v15
	v_and_or_b32 v61, v0, 7, v1
                                        ; implicit-def: $vgpr15
; %bb.15007:                            ;   in Loop: Header=BB6_14344 Depth=3
	s_andn2_saveexec_b64 s[40:41], s[40:41]
; %bb.15008:                            ;   in Loop: Header=BB6_14344 Depth=3
	v_mov_b32_e32 v61, v15
; %bb.15009:                            ;   in Loop: Header=BB6_14344 Depth=3
	s_or_b64 exec, exec, s[40:41]
.LBB6_15010:                            ;   in Loop: Header=BB6_14344 Depth=3
	s_or_b64 exec, exec, s[52:53]
                                        ; implicit-def: $vgpr15
.LBB6_15011:                            ;   in Loop: Header=BB6_14344 Depth=3
	s_andn2_saveexec_b64 s[40:41], s[50:51]
; %bb.15012:                            ;   in Loop: Header=BB6_14344 Depth=3
	v_or_b32_e32 v61, 0x7e, v15
; %bb.15013:                            ;   in Loop: Header=BB6_14344 Depth=3
	s_or_b64 exec, exec, s[40:41]
                                        ; implicit-def: $vgpr1
.LBB6_15014:                            ;   in Loop: Header=BB6_14344 Depth=3
	s_andn2_saveexec_b64 s[40:41], s[48:49]
; %bb.15015:                            ;   in Loop: Header=BB6_14344 Depth=3
	v_or_b32_sdwa v61, v1, s83 dst_sel:DWORD dst_unused:UNUSED_PAD src0_sel:BYTE_3 src1_sel:DWORD
; %bb.15016:                            ;   in Loop: Header=BB6_14344 Depth=3
	s_or_b64 exec, exec, s[40:41]
	s_waitcnt vmcnt(0)
	v_and_b32_e32 v0, 0xff, v25
	v_cmp_ne_u16_e64 s[40:41], 0, v0
	s_and_b64 vcc, exec, s[28:29]
	s_mov_b64 s[48:49], -1
                                        ; implicit-def: $vgpr1
	s_cbranch_vccnz .LBB6_15030
; %bb.15017:                            ;   in Loop: Header=BB6_14344 Depth=3
	v_mov_b32_e32 v15, 0
	v_mov_b32_e32 v2, 0
	s_and_saveexec_b64 s[48:49], s[40:41]
	s_cbranch_execz .LBB6_15023
; %bb.15018:                            ;   in Loop: Header=BB6_14344 Depth=3
	v_cmp_ne_u16_e32 vcc, s82, v0
	v_bfrev_b32_e32 v2, 1
	s_and_saveexec_b64 s[50:51], vcc
	s_cbranch_execz .LBB6_15022
; %bb.15019:                            ;   in Loop: Header=BB6_14344 Depth=3
	v_and_b32_e32 v1, 0x7f, v25
	v_cmp_ne_u32_e32 vcc, s83, v1
	v_mov_b32_e32 v2, 0x7f800001
	s_and_saveexec_b64 s[52:53], vcc
	s_cbranch_execz .LBB6_15021
; %bb.15020:                            ;   in Loop: Header=BB6_14344 Depth=3
	v_and_b32_e32 v16, 7, v0
	v_lshrrev_b32_e32 v18, 3, v1
	v_cmp_gt_u32_e32 vcc, 8, v1
	v_ffbh_u32_e32 v1, v16
	v_min_u32_e32 v19, 32, v1
	v_subrev_u32_e32 v1, 28, v19
	v_lshlrev_b64 v[1:2], v1, v[0:1]
	v_sub_u32_e32 v2, 29, v19
	v_and_b32_e32 v1, 7, v1
	v_cndmask_b32_e32 v2, v18, v2, vcc
	v_cndmask_b32_e32 v1, v16, v1, vcc
	v_lshlrev_b32_e32 v16, 24, v25
	v_bfrev_b32_e32 v18, 60
	v_lshlrev_b32_e32 v1, 20, v1
	v_and_b32_e32 v16, 0x80000000, v16
	v_lshl_add_u32 v2, v2, 23, v18
	v_or3_b32 v2, v16, v2, v1
.LBB6_15021:                            ;   in Loop: Header=BB6_14344 Depth=3
	s_or_b64 exec, exec, s[52:53]
.LBB6_15022:                            ;   in Loop: Header=BB6_14344 Depth=3
	s_or_b64 exec, exec, s[50:51]
.LBB6_15023:                            ;   in Loop: Header=BB6_14344 Depth=3
	s_or_b64 exec, exec, s[48:49]
	v_and_b32_e32 v1, 0xff, v3
	v_cmp_ne_u16_e32 vcc, 0, v1
	s_and_saveexec_b64 s[48:49], vcc
	s_cbranch_execz .LBB6_15029
; %bb.15024:                            ;   in Loop: Header=BB6_14344 Depth=3
	v_cmp_ne_u16_e32 vcc, s82, v1
	v_bfrev_b32_e32 v15, 1
	s_and_saveexec_b64 s[50:51], vcc
	s_cbranch_execz .LBB6_15028
; %bb.15025:                            ;   in Loop: Header=BB6_14344 Depth=3
	v_and_b32_e32 v16, 0x7f, v3
	v_cmp_ne_u32_e32 vcc, s83, v16
	v_mov_b32_e32 v15, 0x7f800001
	s_and_saveexec_b64 s[52:53], vcc
	s_cbranch_execz .LBB6_15027
; %bb.15026:                            ;   in Loop: Header=BB6_14344 Depth=3
	v_and_b32_e32 v18, 7, v1
	v_ffbh_u32_e32 v15, v18
	v_min_u32_e32 v20, 32, v15
	v_subrev_u32_e32 v15, 28, v20
	v_lshrrev_b32_e32 v19, 3, v16
	v_cmp_gt_u32_e32 vcc, 8, v16
	v_lshlrev_b64 v[15:16], v15, v[1:2]
	v_sub_u32_e32 v1, 29, v20
	v_and_b32_e32 v15, 7, v15
	v_cndmask_b32_e32 v1, v19, v1, vcc
	v_cndmask_b32_e32 v15, v18, v15, vcc
	v_lshlrev_b32_e32 v16, 24, v3
	v_bfrev_b32_e32 v18, 60
	v_lshlrev_b32_e32 v15, 20, v15
	v_and_b32_e32 v16, 0x80000000, v16
	v_lshl_add_u32 v1, v1, 23, v18
	v_or3_b32 v15, v16, v1, v15
.LBB6_15027:                            ;   in Loop: Header=BB6_14344 Depth=3
	s_or_b64 exec, exec, s[52:53]
.LBB6_15028:                            ;   in Loop: Header=BB6_14344 Depth=3
	s_or_b64 exec, exec, s[50:51]
.LBB6_15029:                            ;   in Loop: Header=BB6_14344 Depth=3
	s_or_b64 exec, exec, s[48:49]
	v_max_f32_e32 v1, v15, v15
	v_max_f32_e32 v2, v2, v2
	v_max_f32_e32 v1, v2, v1
	s_mov_b64 s[48:49], 0
.LBB6_15030:                            ;   in Loop: Header=BB6_14344 Depth=3
	s_and_b64 vcc, exec, s[48:49]
	s_cbranch_vccz .LBB6_15044
; %bb.15031:                            ;   in Loop: Header=BB6_14344 Depth=3
	v_mov_b32_e32 v2, 0
	v_mov_b32_e32 v1, 0
	s_and_saveexec_b64 s[48:49], s[40:41]
	s_cbranch_execz .LBB6_15037
; %bb.15032:                            ;   in Loop: Header=BB6_14344 Depth=3
	v_cmp_ne_u16_e32 vcc, s82, v0
	v_bfrev_b32_e32 v1, 1
	s_and_saveexec_b64 s[40:41], vcc
	s_cbranch_execz .LBB6_15036
; %bb.15033:                            ;   in Loop: Header=BB6_14344 Depth=3
	v_and_b32_e32 v15, 0x7f, v25
	v_cmp_ne_u32_e32 vcc, s83, v15
	v_mov_b32_e32 v1, 0x7f800001
	s_and_saveexec_b64 s[50:51], vcc
	s_cbranch_execz .LBB6_15035
; %bb.15034:                            ;   in Loop: Header=BB6_14344 Depth=3
	v_and_b32_e32 v16, 7, v0
	v_ffbh_u32_e32 v1, v16
	v_lshrrev_b32_e32 v18, 3, v15
	v_cmp_gt_u32_e32 vcc, 8, v15
	v_min_u32_e32 v15, 32, v1
	v_subrev_u32_e32 v1, 28, v15
	v_lshlrev_b64 v[0:1], v1, v[0:1]
	v_sub_u32_e32 v1, 29, v15
	v_and_b32_e32 v0, 7, v0
	v_cndmask_b32_e32 v1, v18, v1, vcc
	v_cndmask_b32_e32 v0, v16, v0, vcc
	v_lshlrev_b32_e32 v15, 24, v25
	v_bfrev_b32_e32 v16, 60
	v_lshlrev_b32_e32 v0, 20, v0
	v_and_b32_e32 v15, 0x80000000, v15
	v_lshl_add_u32 v1, v1, 23, v16
	v_or3_b32 v1, v15, v1, v0
.LBB6_15035:                            ;   in Loop: Header=BB6_14344 Depth=3
	s_or_b64 exec, exec, s[50:51]
.LBB6_15036:                            ;   in Loop: Header=BB6_14344 Depth=3
	s_or_b64 exec, exec, s[40:41]
.LBB6_15037:                            ;   in Loop: Header=BB6_14344 Depth=3
	s_or_b64 exec, exec, s[48:49]
	v_and_b32_e32 v0, 0xff, v3
	v_cmp_ne_u16_e32 vcc, 0, v0
	s_and_saveexec_b64 s[40:41], vcc
	s_cbranch_execz .LBB6_15043
; %bb.15038:                            ;   in Loop: Header=BB6_14344 Depth=3
	v_cmp_ne_u16_e32 vcc, s82, v0
	v_bfrev_b32_e32 v2, 1
	s_and_saveexec_b64 s[48:49], vcc
	s_cbranch_execz .LBB6_15042
; %bb.15039:                            ;   in Loop: Header=BB6_14344 Depth=3
	v_and_b32_e32 v15, 0x7f, v3
	v_cmp_ne_u32_e32 vcc, s83, v15
	v_mov_b32_e32 v2, 0x7f800001
	s_and_saveexec_b64 s[50:51], vcc
	s_cbranch_execz .LBB6_15041
; %bb.15040:                            ;   in Loop: Header=BB6_14344 Depth=3
	v_and_b32_e32 v2, 7, v0
	v_lshrrev_b32_e32 v18, 3, v15
	v_cmp_gt_u32_e32 vcc, 8, v15
	v_ffbh_u32_e32 v15, v2
	v_min_u32_e32 v19, 32, v15
	v_subrev_u32_e32 v15, 28, v19
	v_lshlrev_b64 v[15:16], v15, v[0:1]
	v_sub_u32_e32 v0, 29, v19
	v_and_b32_e32 v15, 7, v15
	v_cndmask_b32_e32 v0, v18, v0, vcc
	v_cndmask_b32_e32 v2, v2, v15, vcc
	v_lshlrev_b32_e32 v3, 24, v3
	v_bfrev_b32_e32 v15, 60
	v_lshlrev_b32_e32 v2, 20, v2
	v_and_b32_e32 v3, 0x80000000, v3
	v_lshl_add_u32 v0, v0, 23, v15
	v_or3_b32 v2, v3, v0, v2
.LBB6_15041:                            ;   in Loop: Header=BB6_14344 Depth=3
	s_or_b64 exec, exec, s[50:51]
.LBB6_15042:                            ;   in Loop: Header=BB6_14344 Depth=3
	s_or_b64 exec, exec, s[48:49]
.LBB6_15043:                            ;   in Loop: Header=BB6_14344 Depth=3
	s_or_b64 exec, exec, s[40:41]
	v_max_f32_e32 v0, v2, v2
	v_max_f32_e32 v1, v1, v1
	v_min_f32_e32 v1, v1, v0
.LBB6_15044:                            ;   in Loop: Header=BB6_14344 Depth=3
	v_and_b32_e32 v52, 0x7f800000, v1
	v_cmp_ne_u64_e32 vcc, s[76:77], v[52:53]
                                        ; implicit-def: $vgpr3
	s_mov_b64 s[40:41], exec
	buffer_load_dword v56, off, s[0:3], s33 offset:160 ; 4-byte Folded Reload
	s_and_b64 vcc, s[40:41], vcc
	s_xor_b64 s[48:49], vcc, s[40:41]
	s_mov_b64 exec, vcc
	s_cbranch_execz .LBB6_15062
; %bb.15045:                            ;   in Loop: Header=BB6_14344 Depth=3
	v_and_b32_e32 v52, 0x7fffffff, v1
	v_cmp_gt_u64_e32 vcc, s[78:79], v[52:53]
	v_and_b32_sdwa v15, v1, s82 dst_sel:DWORD dst_unused:UNUSED_PAD src0_sel:BYTE_3 src1_sel:DWORD
                                        ; implicit-def: $vgpr3
	s_and_saveexec_b64 s[40:41], vcc
	s_xor_b64 s[50:51], exec, s[40:41]
	s_cbranch_execz .LBB6_15059
; %bb.15046:                            ;   in Loop: Header=BB6_14344 Depth=3
	v_cmp_ne_u32_e32 vcc, 0, v1
	v_mov_b32_e32 v3, 0
	s_and_saveexec_b64 s[52:53], vcc
	s_cbranch_execz .LBB6_15058
; %bb.15047:                            ;   in Loop: Header=BB6_14344 Depth=3
	v_bfe_u32 v3, v1, 23, 8
	v_and_b32_e32 v0, 0x7fffff, v1
	v_cmp_gt_u32_e64 s[40:41], s85, v3
	v_sub_u32_e32 v1, 0x79, v3
	v_cmp_eq_u32_e32 vcc, 0, v3
	v_cndmask_b32_e64 v1, 0, v1, s[40:41]
	v_mov_b32_e32 v16, 0x78
	v_or_b32_e32 v2, 0x800000, v0
	v_cndmask_b32_e32 v16, v1, v16, vcc
	v_cndmask_b32_e32 v52, v2, v0, vcc
	v_add_u32_e32 v0, 20, v16
	v_lshlrev_b64 v[0:1], v0, -1
	v_add_u32_e32 v2, 19, v16
	v_lshlrev_b64 v[18:19], v2, 1
	v_bfi_b32 v1, v1, 0, 0
	v_bfi_b32 v0, v0, 0, v52
	v_cmp_eq_u64_e64 s[40:41], v[0:1], v[18:19]
	v_lshrrev_b64 v[0:1], v16, v[52:53]
	v_mov_b32_e32 v2, v1
	v_mov_b32_e32 v1, v0
	s_and_saveexec_b64 s[54:55], s[40:41]
; %bb.15048:                            ;   in Loop: Header=BB6_14344 Depth=3
	v_bfe_u32 v1, v0, 20, 1
	v_add_co_u32_e64 v1, s[40:41], v0, v1
	v_add_co_u32_e64 v1, s[40:41], -1, v1
; %bb.15049:                            ;   in Loop: Header=BB6_14344 Depth=3
	s_or_b64 exec, exec, s[54:55]
	v_add_u32_e32 v2, 0xffffff81, v3
	v_mov_b32_e32 v3, 0xffffff82
	v_cndmask_b32_e32 v2, v2, v3, vcc
	v_lshrrev_b32_e32 v3, 23, v0
	v_add3_u32 v16, v16, v2, v3
	v_add_u32_e32 v3, 6, v16
	v_and_b32_e32 v1, 0xfffff, v1
	v_add_u32_e32 v52, v1, v0
	v_cmp_ne_u32_e32 vcc, 0, v3
                                        ; implicit-def: $vgpr0_vgpr1
                                        ; implicit-def: $vgpr2
	s_and_saveexec_b64 s[40:41], vcc
	s_xor_b64 s[40:41], exec, s[40:41]
; %bb.15050:                            ;   in Loop: Header=BB6_14344 Depth=3
	v_cmp_lt_u64_e32 vcc, s[88:89], v[52:53]
	v_add_u32_e32 v0, 7, v16
	v_cndmask_b32_e32 v2, v3, v0, vcc
	v_cndmask_b32_e64 v0, 0, 1, vcc
	v_lshrrev_b64 v[0:1], v0, v[52:53]
; %bb.15051:                            ;   in Loop: Header=BB6_14344 Depth=3
	s_andn2_saveexec_b64 s[40:41], s[40:41]
; %bb.15052:                            ;   in Loop: Header=BB6_14344 Depth=3
	v_mov_b32_e32 v0, v52
	v_bfe_u32 v2, v52, 23, 1
	v_mov_b32_e32 v1, v53
; %bb.15053:                            ;   in Loop: Header=BB6_14344 Depth=3
	s_or_b64 exec, exec, s[40:41]
	v_lshrrev_b64 v[0:1], 20, v[0:1]
	v_cmp_gt_i32_e32 vcc, 16, v2
	v_cndmask_b32_e32 v1, 0, v1, vcc
	v_cndmask_b32_e32 v0, 7, v0, vcc
	v_cmp_ne_u64_e32 vcc, 0, v[0:1]
	v_cmp_ne_u32_e64 s[40:41], 0, v2
	s_or_b64 s[40:41], s[40:41], vcc
                                        ; implicit-def: $vgpr3
	s_and_saveexec_b64 vcc, s[40:41]
	s_xor_b64 s[40:41], exec, vcc
; %bb.15054:                            ;   in Loop: Header=BB6_14344 Depth=3
	v_min_i32_e32 v1, 15, v2
	v_lshl_or_b32 v1, v1, 3, v15
	v_and_or_b32 v3, v0, 7, v1
                                        ; implicit-def: $vgpr15
; %bb.15055:                            ;   in Loop: Header=BB6_14344 Depth=3
	s_andn2_saveexec_b64 s[40:41], s[40:41]
; %bb.15056:                            ;   in Loop: Header=BB6_14344 Depth=3
	v_mov_b32_e32 v3, v15
; %bb.15057:                            ;   in Loop: Header=BB6_14344 Depth=3
	s_or_b64 exec, exec, s[40:41]
.LBB6_15058:                            ;   in Loop: Header=BB6_14344 Depth=3
	s_or_b64 exec, exec, s[52:53]
                                        ; implicit-def: $vgpr15
.LBB6_15059:                            ;   in Loop: Header=BB6_14344 Depth=3
	s_andn2_saveexec_b64 s[40:41], s[50:51]
; %bb.15060:                            ;   in Loop: Header=BB6_14344 Depth=3
	v_or_b32_e32 v3, 0x7e, v15
; %bb.15061:                            ;   in Loop: Header=BB6_14344 Depth=3
	s_or_b64 exec, exec, s[40:41]
                                        ; implicit-def: $vgpr1
.LBB6_15062:                            ;   in Loop: Header=BB6_14344 Depth=3
	s_andn2_saveexec_b64 s[40:41], s[48:49]
; %bb.15063:                            ;   in Loop: Header=BB6_14344 Depth=3
	v_or_b32_sdwa v3, v1, s83 dst_sel:DWORD dst_unused:UNUSED_PAD src0_sel:BYTE_3 src1_sel:DWORD
; %bb.15064:                            ;   in Loop: Header=BB6_14344 Depth=3
	s_or_b64 exec, exec, s[40:41]
	v_and_b32_e32 v0, 0xff, v17
	v_cmp_ne_u16_e64 s[40:41], 0, v0
	s_and_b64 vcc, exec, s[28:29]
	s_mov_b64 s[48:49], -1
                                        ; implicit-def: $vgpr1
	s_cbranch_vccnz .LBB6_15078
; %bb.15065:                            ;   in Loop: Header=BB6_14344 Depth=3
	v_mov_b32_e32 v15, 0
	v_mov_b32_e32 v2, 0
	s_and_saveexec_b64 s[48:49], s[40:41]
	s_cbranch_execz .LBB6_15071
; %bb.15066:                            ;   in Loop: Header=BB6_14344 Depth=3
	v_cmp_ne_u16_e32 vcc, s82, v0
	v_bfrev_b32_e32 v2, 1
	s_and_saveexec_b64 s[50:51], vcc
	s_cbranch_execz .LBB6_15070
; %bb.15067:                            ;   in Loop: Header=BB6_14344 Depth=3
	v_and_b32_e32 v1, 0x7f, v17
	v_cmp_ne_u32_e32 vcc, s83, v1
	v_mov_b32_e32 v2, 0x7f800001
	s_and_saveexec_b64 s[52:53], vcc
	s_cbranch_execz .LBB6_15069
; %bb.15068:                            ;   in Loop: Header=BB6_14344 Depth=3
	v_and_b32_e32 v16, 7, v0
	v_lshrrev_b32_e32 v18, 3, v1
	v_cmp_gt_u32_e32 vcc, 8, v1
	v_ffbh_u32_e32 v1, v16
	v_min_u32_e32 v19, 32, v1
	v_subrev_u32_e32 v1, 28, v19
	v_lshlrev_b64 v[1:2], v1, v[0:1]
	v_sub_u32_e32 v2, 29, v19
	v_and_b32_e32 v1, 7, v1
	v_cndmask_b32_e32 v2, v18, v2, vcc
	v_cndmask_b32_e32 v1, v16, v1, vcc
	v_lshlrev_b32_e32 v16, 24, v17
	v_bfrev_b32_e32 v18, 60
	v_lshlrev_b32_e32 v1, 20, v1
	v_and_b32_e32 v16, 0x80000000, v16
	v_lshl_add_u32 v2, v2, 23, v18
	v_or3_b32 v2, v16, v2, v1
.LBB6_15069:                            ;   in Loop: Header=BB6_14344 Depth=3
	s_or_b64 exec, exec, s[52:53]
.LBB6_15070:                            ;   in Loop: Header=BB6_14344 Depth=3
	s_or_b64 exec, exec, s[50:51]
.LBB6_15071:                            ;   in Loop: Header=BB6_14344 Depth=3
	s_or_b64 exec, exec, s[48:49]
	v_and_b32_e32 v1, 0xff, v24
	v_cmp_ne_u16_e32 vcc, 0, v1
	s_and_saveexec_b64 s[48:49], vcc
	s_cbranch_execz .LBB6_15077
; %bb.15072:                            ;   in Loop: Header=BB6_14344 Depth=3
	v_cmp_ne_u16_e32 vcc, s82, v1
	v_bfrev_b32_e32 v15, 1
	s_and_saveexec_b64 s[50:51], vcc
	s_cbranch_execz .LBB6_15076
; %bb.15073:                            ;   in Loop: Header=BB6_14344 Depth=3
	v_and_b32_e32 v16, 0x7f, v24
	v_cmp_ne_u32_e32 vcc, s83, v16
	v_mov_b32_e32 v15, 0x7f800001
	s_and_saveexec_b64 s[52:53], vcc
	s_cbranch_execz .LBB6_15075
; %bb.15074:                            ;   in Loop: Header=BB6_14344 Depth=3
	v_and_b32_e32 v18, 7, v1
	v_ffbh_u32_e32 v15, v18
	v_min_u32_e32 v20, 32, v15
	v_subrev_u32_e32 v15, 28, v20
	v_lshrrev_b32_e32 v19, 3, v16
	v_cmp_gt_u32_e32 vcc, 8, v16
	v_lshlrev_b64 v[15:16], v15, v[1:2]
	v_sub_u32_e32 v1, 29, v20
	v_and_b32_e32 v15, 7, v15
	v_cndmask_b32_e32 v1, v19, v1, vcc
	v_cndmask_b32_e32 v15, v18, v15, vcc
	v_lshlrev_b32_e32 v16, 24, v24
	v_bfrev_b32_e32 v18, 60
	v_lshlrev_b32_e32 v15, 20, v15
	v_and_b32_e32 v16, 0x80000000, v16
	v_lshl_add_u32 v1, v1, 23, v18
	v_or3_b32 v15, v16, v1, v15
.LBB6_15075:                            ;   in Loop: Header=BB6_14344 Depth=3
	s_or_b64 exec, exec, s[52:53]
.LBB6_15076:                            ;   in Loop: Header=BB6_14344 Depth=3
	s_or_b64 exec, exec, s[50:51]
.LBB6_15077:                            ;   in Loop: Header=BB6_14344 Depth=3
	s_or_b64 exec, exec, s[48:49]
	v_max_f32_e32 v1, v15, v15
	v_max_f32_e32 v2, v2, v2
	;; [unrolled: 1-line block ×3, first 2 shown]
	s_mov_b64 s[48:49], 0
.LBB6_15078:                            ;   in Loop: Header=BB6_14344 Depth=3
	s_and_b64 vcc, exec, s[48:49]
	s_cbranch_vccz .LBB6_15092
; %bb.15079:                            ;   in Loop: Header=BB6_14344 Depth=3
	v_mov_b32_e32 v2, 0
	v_mov_b32_e32 v1, 0
	s_and_saveexec_b64 s[48:49], s[40:41]
	s_cbranch_execz .LBB6_15085
; %bb.15080:                            ;   in Loop: Header=BB6_14344 Depth=3
	v_cmp_ne_u16_e32 vcc, s82, v0
	v_bfrev_b32_e32 v1, 1
	s_and_saveexec_b64 s[40:41], vcc
	s_cbranch_execz .LBB6_15084
; %bb.15081:                            ;   in Loop: Header=BB6_14344 Depth=3
	v_and_b32_e32 v15, 0x7f, v17
	v_cmp_ne_u32_e32 vcc, s83, v15
	v_mov_b32_e32 v1, 0x7f800001
	s_and_saveexec_b64 s[50:51], vcc
	s_cbranch_execz .LBB6_15083
; %bb.15082:                            ;   in Loop: Header=BB6_14344 Depth=3
	v_and_b32_e32 v16, 7, v0
	v_ffbh_u32_e32 v1, v16
	v_lshrrev_b32_e32 v18, 3, v15
	v_cmp_gt_u32_e32 vcc, 8, v15
	v_min_u32_e32 v15, 32, v1
	v_subrev_u32_e32 v1, 28, v15
	v_lshlrev_b64 v[0:1], v1, v[0:1]
	v_sub_u32_e32 v1, 29, v15
	v_and_b32_e32 v0, 7, v0
	v_cndmask_b32_e32 v1, v18, v1, vcc
	v_cndmask_b32_e32 v0, v16, v0, vcc
	v_lshlrev_b32_e32 v15, 24, v17
	v_bfrev_b32_e32 v16, 60
	v_lshlrev_b32_e32 v0, 20, v0
	v_and_b32_e32 v15, 0x80000000, v15
	v_lshl_add_u32 v1, v1, 23, v16
	v_or3_b32 v1, v15, v1, v0
.LBB6_15083:                            ;   in Loop: Header=BB6_14344 Depth=3
	s_or_b64 exec, exec, s[50:51]
.LBB6_15084:                            ;   in Loop: Header=BB6_14344 Depth=3
	s_or_b64 exec, exec, s[40:41]
.LBB6_15085:                            ;   in Loop: Header=BB6_14344 Depth=3
	s_or_b64 exec, exec, s[48:49]
	v_and_b32_e32 v0, 0xff, v24
	v_cmp_ne_u16_e32 vcc, 0, v0
	s_and_saveexec_b64 s[40:41], vcc
	s_cbranch_execz .LBB6_15091
; %bb.15086:                            ;   in Loop: Header=BB6_14344 Depth=3
	v_cmp_ne_u16_e32 vcc, s82, v0
	v_bfrev_b32_e32 v2, 1
	s_and_saveexec_b64 s[48:49], vcc
	s_cbranch_execz .LBB6_15090
; %bb.15087:                            ;   in Loop: Header=BB6_14344 Depth=3
	v_and_b32_e32 v15, 0x7f, v24
	v_cmp_ne_u32_e32 vcc, s83, v15
	v_mov_b32_e32 v2, 0x7f800001
	s_and_saveexec_b64 s[50:51], vcc
	s_cbranch_execz .LBB6_15089
; %bb.15088:                            ;   in Loop: Header=BB6_14344 Depth=3
	v_and_b32_e32 v2, 7, v0
	v_lshrrev_b32_e32 v17, 3, v15
	v_cmp_gt_u32_e32 vcc, 8, v15
	v_ffbh_u32_e32 v15, v2
	v_min_u32_e32 v18, 32, v15
	v_subrev_u32_e32 v15, 28, v18
	v_lshlrev_b64 v[15:16], v15, v[0:1]
	v_sub_u32_e32 v0, 29, v18
	v_and_b32_e32 v15, 7, v15
	v_cndmask_b32_e32 v0, v17, v0, vcc
	v_cndmask_b32_e32 v2, v2, v15, vcc
	v_lshlrev_b32_e32 v15, 24, v24
	v_bfrev_b32_e32 v16, 60
	v_lshlrev_b32_e32 v2, 20, v2
	v_and_b32_e32 v15, 0x80000000, v15
	v_lshl_add_u32 v0, v0, 23, v16
	v_or3_b32 v2, v15, v0, v2
.LBB6_15089:                            ;   in Loop: Header=BB6_14344 Depth=3
	s_or_b64 exec, exec, s[50:51]
.LBB6_15090:                            ;   in Loop: Header=BB6_14344 Depth=3
	s_or_b64 exec, exec, s[48:49]
.LBB6_15091:                            ;   in Loop: Header=BB6_14344 Depth=3
	s_or_b64 exec, exec, s[40:41]
	v_max_f32_e32 v0, v2, v2
	v_max_f32_e32 v1, v1, v1
	v_min_f32_e32 v1, v1, v0
.LBB6_15092:                            ;   in Loop: Header=BB6_14344 Depth=3
	v_and_b32_e32 v52, 0x7f800000, v1
	v_cmp_ne_u64_e32 vcc, s[76:77], v[52:53]
                                        ; implicit-def: $vgpr58
	s_and_saveexec_b64 s[40:41], vcc
	s_xor_b64 s[48:49], exec, s[40:41]
	s_cbranch_execz .LBB6_15110
; %bb.15093:                            ;   in Loop: Header=BB6_14344 Depth=3
	v_and_b32_e32 v52, 0x7fffffff, v1
	v_cmp_gt_u64_e32 vcc, s[78:79], v[52:53]
	v_and_b32_sdwa v15, v1, s82 dst_sel:DWORD dst_unused:UNUSED_PAD src0_sel:BYTE_3 src1_sel:DWORD
                                        ; implicit-def: $vgpr58
	s_and_saveexec_b64 s[40:41], vcc
	s_xor_b64 s[50:51], exec, s[40:41]
	s_cbranch_execz .LBB6_15107
; %bb.15094:                            ;   in Loop: Header=BB6_14344 Depth=3
	v_cmp_ne_u32_e32 vcc, 0, v1
	v_mov_b32_e32 v58, 0
	s_and_saveexec_b64 s[52:53], vcc
	s_cbranch_execz .LBB6_15106
; %bb.15095:                            ;   in Loop: Header=BB6_14344 Depth=3
	v_bfe_u32 v16, v1, 23, 8
	v_and_b32_e32 v0, 0x7fffff, v1
	v_cmp_gt_u32_e64 s[40:41], s85, v16
	v_sub_u32_e32 v1, 0x79, v16
	v_cmp_eq_u32_e32 vcc, 0, v16
	v_cndmask_b32_e64 v1, 0, v1, s[40:41]
	v_mov_b32_e32 v17, 0x78
	v_or_b32_e32 v2, 0x800000, v0
	v_cndmask_b32_e32 v17, v1, v17, vcc
	v_cndmask_b32_e32 v52, v2, v0, vcc
	v_add_u32_e32 v0, 20, v17
	v_lshlrev_b64 v[0:1], v0, -1
	v_add_u32_e32 v2, 19, v17
	v_lshlrev_b64 v[18:19], v2, 1
	v_bfi_b32 v1, v1, 0, 0
	v_bfi_b32 v0, v0, 0, v52
	v_cmp_eq_u64_e64 s[40:41], v[0:1], v[18:19]
	v_lshrrev_b64 v[0:1], v17, v[52:53]
	v_mov_b32_e32 v2, v1
	v_mov_b32_e32 v1, v0
	s_and_saveexec_b64 s[54:55], s[40:41]
; %bb.15096:                            ;   in Loop: Header=BB6_14344 Depth=3
	v_bfe_u32 v1, v0, 20, 1
	v_add_co_u32_e64 v1, s[40:41], v0, v1
	v_add_co_u32_e64 v1, s[40:41], -1, v1
; %bb.15097:                            ;   in Loop: Header=BB6_14344 Depth=3
	s_or_b64 exec, exec, s[54:55]
	v_add_u32_e32 v2, 0xffffff81, v16
	v_mov_b32_e32 v16, 0xffffff82
	v_cndmask_b32_e32 v2, v2, v16, vcc
	v_lshrrev_b32_e32 v16, 23, v0
	v_add3_u32 v17, v17, v2, v16
	v_add_u32_e32 v16, 6, v17
	v_and_b32_e32 v1, 0xfffff, v1
	v_add_u32_e32 v52, v1, v0
	v_cmp_ne_u32_e32 vcc, 0, v16
                                        ; implicit-def: $vgpr0_vgpr1
                                        ; implicit-def: $vgpr2
	s_and_saveexec_b64 s[40:41], vcc
	s_xor_b64 s[40:41], exec, s[40:41]
; %bb.15098:                            ;   in Loop: Header=BB6_14344 Depth=3
	v_cmp_lt_u64_e32 vcc, s[88:89], v[52:53]
	v_add_u32_e32 v0, 7, v17
	v_cndmask_b32_e32 v2, v16, v0, vcc
	v_cndmask_b32_e64 v0, 0, 1, vcc
	v_lshrrev_b64 v[0:1], v0, v[52:53]
; %bb.15099:                            ;   in Loop: Header=BB6_14344 Depth=3
	s_andn2_saveexec_b64 s[40:41], s[40:41]
; %bb.15100:                            ;   in Loop: Header=BB6_14344 Depth=3
	v_mov_b32_e32 v0, v52
	v_bfe_u32 v2, v52, 23, 1
	v_mov_b32_e32 v1, v53
; %bb.15101:                            ;   in Loop: Header=BB6_14344 Depth=3
	s_or_b64 exec, exec, s[40:41]
	v_lshrrev_b64 v[0:1], 20, v[0:1]
	v_cmp_gt_i32_e32 vcc, 16, v2
	v_cndmask_b32_e32 v1, 0, v1, vcc
	v_cndmask_b32_e32 v0, 7, v0, vcc
	v_cmp_ne_u64_e32 vcc, 0, v[0:1]
	v_cmp_ne_u32_e64 s[40:41], 0, v2
	s_or_b64 s[40:41], s[40:41], vcc
                                        ; implicit-def: $vgpr58
	s_and_saveexec_b64 vcc, s[40:41]
	s_xor_b64 s[40:41], exec, vcc
; %bb.15102:                            ;   in Loop: Header=BB6_14344 Depth=3
	v_min_i32_e32 v1, 15, v2
	v_lshl_or_b32 v1, v1, 3, v15
	v_and_or_b32 v58, v0, 7, v1
                                        ; implicit-def: $vgpr15
; %bb.15103:                            ;   in Loop: Header=BB6_14344 Depth=3
	s_andn2_saveexec_b64 s[40:41], s[40:41]
; %bb.15104:                            ;   in Loop: Header=BB6_14344 Depth=3
	v_mov_b32_e32 v58, v15
; %bb.15105:                            ;   in Loop: Header=BB6_14344 Depth=3
	s_or_b64 exec, exec, s[40:41]
.LBB6_15106:                            ;   in Loop: Header=BB6_14344 Depth=3
	s_or_b64 exec, exec, s[52:53]
                                        ; implicit-def: $vgpr15
.LBB6_15107:                            ;   in Loop: Header=BB6_14344 Depth=3
	s_andn2_saveexec_b64 s[40:41], s[50:51]
; %bb.15108:                            ;   in Loop: Header=BB6_14344 Depth=3
	v_or_b32_e32 v58, 0x7e, v15
; %bb.15109:                            ;   in Loop: Header=BB6_14344 Depth=3
	s_or_b64 exec, exec, s[40:41]
                                        ; implicit-def: $vgpr1
.LBB6_15110:                            ;   in Loop: Header=BB6_14344 Depth=3
	s_andn2_saveexec_b64 s[40:41], s[48:49]
; %bb.15111:                            ;   in Loop: Header=BB6_14344 Depth=3
	v_or_b32_sdwa v58, v1, s83 dst_sel:DWORD dst_unused:UNUSED_PAD src0_sel:BYTE_3 src1_sel:DWORD
; %bb.15112:                            ;   in Loop: Header=BB6_14344 Depth=3
	s_or_b64 exec, exec, s[40:41]
	v_and_b32_e32 v0, 0xff, v6
	v_cmp_ne_u16_e64 s[40:41], 0, v0
	s_and_b64 vcc, exec, s[28:29]
	s_mov_b64 s[48:49], -1
                                        ; implicit-def: $vgpr1
	s_cbranch_vccnz .LBB6_15126
; %bb.15113:                            ;   in Loop: Header=BB6_14344 Depth=3
	v_mov_b32_e32 v15, 0
	v_mov_b32_e32 v2, 0
	s_and_saveexec_b64 s[48:49], s[40:41]
	s_cbranch_execz .LBB6_15119
; %bb.15114:                            ;   in Loop: Header=BB6_14344 Depth=3
	v_cmp_ne_u16_e32 vcc, s82, v0
	v_bfrev_b32_e32 v2, 1
	s_and_saveexec_b64 s[50:51], vcc
	s_cbranch_execz .LBB6_15118
; %bb.15115:                            ;   in Loop: Header=BB6_14344 Depth=3
	v_and_b32_e32 v1, 0x7f, v6
	v_cmp_ne_u32_e32 vcc, s83, v1
	v_mov_b32_e32 v2, 0x7f800001
	s_and_saveexec_b64 s[52:53], vcc
	s_cbranch_execz .LBB6_15117
; %bb.15116:                            ;   in Loop: Header=BB6_14344 Depth=3
	v_and_b32_e32 v16, 7, v0
	v_lshrrev_b32_e32 v17, 3, v1
	v_cmp_gt_u32_e32 vcc, 8, v1
	v_ffbh_u32_e32 v1, v16
	v_min_u32_e32 v18, 32, v1
	v_subrev_u32_e32 v1, 28, v18
	v_lshlrev_b64 v[1:2], v1, v[0:1]
	v_sub_u32_e32 v2, 29, v18
	v_and_b32_e32 v1, 7, v1
	v_cndmask_b32_e32 v2, v17, v2, vcc
	v_cndmask_b32_e32 v1, v16, v1, vcc
	v_lshlrev_b32_e32 v16, 24, v6
	v_bfrev_b32_e32 v17, 60
	v_lshlrev_b32_e32 v1, 20, v1
	v_and_b32_e32 v16, 0x80000000, v16
	v_lshl_add_u32 v2, v2, 23, v17
	v_or3_b32 v2, v16, v2, v1
.LBB6_15117:                            ;   in Loop: Header=BB6_14344 Depth=3
	s_or_b64 exec, exec, s[52:53]
.LBB6_15118:                            ;   in Loop: Header=BB6_14344 Depth=3
	s_or_b64 exec, exec, s[50:51]
.LBB6_15119:                            ;   in Loop: Header=BB6_14344 Depth=3
	s_or_b64 exec, exec, s[48:49]
	v_and_b32_e32 v1, 0xff, v7
	v_cmp_ne_u16_e32 vcc, 0, v1
	s_and_saveexec_b64 s[48:49], vcc
	s_cbranch_execz .LBB6_15125
; %bb.15120:                            ;   in Loop: Header=BB6_14344 Depth=3
	v_cmp_ne_u16_e32 vcc, s82, v1
	v_bfrev_b32_e32 v15, 1
	s_and_saveexec_b64 s[50:51], vcc
	s_cbranch_execz .LBB6_15124
; %bb.15121:                            ;   in Loop: Header=BB6_14344 Depth=3
	v_and_b32_e32 v16, 0x7f, v7
	v_cmp_ne_u32_e32 vcc, s83, v16
	v_mov_b32_e32 v15, 0x7f800001
	s_and_saveexec_b64 s[52:53], vcc
	s_cbranch_execz .LBB6_15123
; %bb.15122:                            ;   in Loop: Header=BB6_14344 Depth=3
	v_and_b32_e32 v17, 7, v1
	v_ffbh_u32_e32 v15, v17
	v_min_u32_e32 v19, 32, v15
	v_subrev_u32_e32 v15, 28, v19
	v_lshrrev_b32_e32 v18, 3, v16
	v_cmp_gt_u32_e32 vcc, 8, v16
	v_lshlrev_b64 v[15:16], v15, v[1:2]
	v_sub_u32_e32 v1, 29, v19
	v_and_b32_e32 v15, 7, v15
	v_cndmask_b32_e32 v1, v18, v1, vcc
	v_cndmask_b32_e32 v15, v17, v15, vcc
	v_lshlrev_b32_e32 v16, 24, v7
	v_bfrev_b32_e32 v17, 60
	v_lshlrev_b32_e32 v15, 20, v15
	v_and_b32_e32 v16, 0x80000000, v16
	v_lshl_add_u32 v1, v1, 23, v17
	v_or3_b32 v15, v16, v1, v15
.LBB6_15123:                            ;   in Loop: Header=BB6_14344 Depth=3
	s_or_b64 exec, exec, s[52:53]
.LBB6_15124:                            ;   in Loop: Header=BB6_14344 Depth=3
	s_or_b64 exec, exec, s[50:51]
.LBB6_15125:                            ;   in Loop: Header=BB6_14344 Depth=3
	s_or_b64 exec, exec, s[48:49]
	v_max_f32_e32 v1, v15, v15
	v_max_f32_e32 v2, v2, v2
	v_max_f32_e32 v1, v2, v1
	s_mov_b64 s[48:49], 0
.LBB6_15126:                            ;   in Loop: Header=BB6_14344 Depth=3
	s_and_b64 vcc, exec, s[48:49]
	s_cbranch_vccz .LBB6_15140
; %bb.15127:                            ;   in Loop: Header=BB6_14344 Depth=3
	v_mov_b32_e32 v2, 0
	v_mov_b32_e32 v1, 0
	s_and_saveexec_b64 s[48:49], s[40:41]
	s_cbranch_execz .LBB6_15133
; %bb.15128:                            ;   in Loop: Header=BB6_14344 Depth=3
	v_cmp_ne_u16_e32 vcc, s82, v0
	v_bfrev_b32_e32 v1, 1
	s_and_saveexec_b64 s[40:41], vcc
	s_cbranch_execz .LBB6_15132
; %bb.15129:                            ;   in Loop: Header=BB6_14344 Depth=3
	v_and_b32_e32 v15, 0x7f, v6
	v_cmp_ne_u32_e32 vcc, s83, v15
	v_mov_b32_e32 v1, 0x7f800001
	s_and_saveexec_b64 s[50:51], vcc
	s_cbranch_execz .LBB6_15131
; %bb.15130:                            ;   in Loop: Header=BB6_14344 Depth=3
	v_and_b32_e32 v16, 7, v0
	v_ffbh_u32_e32 v1, v16
	v_lshrrev_b32_e32 v17, 3, v15
	v_cmp_gt_u32_e32 vcc, 8, v15
	v_min_u32_e32 v15, 32, v1
	v_subrev_u32_e32 v1, 28, v15
	v_lshlrev_b64 v[0:1], v1, v[0:1]
	v_sub_u32_e32 v1, 29, v15
	v_and_b32_e32 v0, 7, v0
	v_cndmask_b32_e32 v1, v17, v1, vcc
	v_cndmask_b32_e32 v0, v16, v0, vcc
	v_lshlrev_b32_e32 v6, 24, v6
	v_bfrev_b32_e32 v15, 60
	v_lshlrev_b32_e32 v0, 20, v0
	v_and_b32_e32 v6, 0x80000000, v6
	v_lshl_add_u32 v1, v1, 23, v15
	v_or3_b32 v1, v6, v1, v0
.LBB6_15131:                            ;   in Loop: Header=BB6_14344 Depth=3
	s_or_b64 exec, exec, s[50:51]
.LBB6_15132:                            ;   in Loop: Header=BB6_14344 Depth=3
	s_or_b64 exec, exec, s[40:41]
.LBB6_15133:                            ;   in Loop: Header=BB6_14344 Depth=3
	s_or_b64 exec, exec, s[48:49]
	v_and_b32_e32 v0, 0xff, v7
	v_cmp_ne_u16_e32 vcc, 0, v0
	s_and_saveexec_b64 s[40:41], vcc
	s_cbranch_execz .LBB6_15139
; %bb.15134:                            ;   in Loop: Header=BB6_14344 Depth=3
	v_cmp_ne_u16_e32 vcc, s82, v0
	v_bfrev_b32_e32 v2, 1
	s_and_saveexec_b64 s[48:49], vcc
	s_cbranch_execz .LBB6_15138
; %bb.15135:                            ;   in Loop: Header=BB6_14344 Depth=3
	v_and_b32_e32 v6, 0x7f, v7
	v_cmp_ne_u32_e32 vcc, s83, v6
	v_mov_b32_e32 v2, 0x7f800001
	s_and_saveexec_b64 s[50:51], vcc
	s_cbranch_execz .LBB6_15137
; %bb.15136:                            ;   in Loop: Header=BB6_14344 Depth=3
	v_and_b32_e32 v2, 7, v0
	v_lshrrev_b32_e32 v17, 3, v6
	v_cmp_gt_u32_e32 vcc, 8, v6
	v_ffbh_u32_e32 v6, v2
	v_min_u32_e32 v6, 32, v6
	v_subrev_u32_e32 v15, 28, v6
	v_lshlrev_b64 v[15:16], v15, v[0:1]
	v_sub_u32_e32 v0, 29, v6
	v_and_b32_e32 v6, 7, v15
	v_cndmask_b32_e32 v0, v17, v0, vcc
	v_cndmask_b32_e32 v2, v2, v6, vcc
	v_lshlrev_b32_e32 v6, 24, v7
	v_bfrev_b32_e32 v7, 60
	v_lshlrev_b32_e32 v2, 20, v2
	v_and_b32_e32 v6, 0x80000000, v6
	v_lshl_add_u32 v0, v0, 23, v7
	v_or3_b32 v2, v6, v0, v2
.LBB6_15137:                            ;   in Loop: Header=BB6_14344 Depth=3
	s_or_b64 exec, exec, s[50:51]
.LBB6_15138:                            ;   in Loop: Header=BB6_14344 Depth=3
	s_or_b64 exec, exec, s[48:49]
.LBB6_15139:                            ;   in Loop: Header=BB6_14344 Depth=3
	s_or_b64 exec, exec, s[40:41]
	v_max_f32_e32 v0, v2, v2
	v_max_f32_e32 v1, v1, v1
	v_min_f32_e32 v1, v1, v0
.LBB6_15140:                            ;   in Loop: Header=BB6_14344 Depth=3
	v_and_b32_e32 v52, 0x7f800000, v1
	v_cmp_ne_u64_e32 vcc, s[76:77], v[52:53]
                                        ; implicit-def: $vgpr6
	s_and_saveexec_b64 s[40:41], vcc
	s_xor_b64 s[48:49], exec, s[40:41]
	s_cbranch_execz .LBB6_15158
; %bb.15141:                            ;   in Loop: Header=BB6_14344 Depth=3
	v_and_b32_e32 v52, 0x7fffffff, v1
	v_cmp_gt_u64_e32 vcc, s[78:79], v[52:53]
	v_and_b32_sdwa v7, v1, s82 dst_sel:DWORD dst_unused:UNUSED_PAD src0_sel:BYTE_3 src1_sel:DWORD
                                        ; implicit-def: $vgpr6
	s_and_saveexec_b64 s[40:41], vcc
	s_xor_b64 s[50:51], exec, s[40:41]
	s_cbranch_execz .LBB6_15155
; %bb.15142:                            ;   in Loop: Header=BB6_14344 Depth=3
	v_cmp_ne_u32_e32 vcc, 0, v1
	v_mov_b32_e32 v6, 0
	s_and_saveexec_b64 s[52:53], vcc
	s_cbranch_execz .LBB6_15154
; %bb.15143:                            ;   in Loop: Header=BB6_14344 Depth=3
	v_bfe_u32 v6, v1, 23, 8
	v_and_b32_e32 v0, 0x7fffff, v1
	v_cmp_gt_u32_e64 s[40:41], s85, v6
	v_sub_u32_e32 v1, 0x79, v6
	v_cmp_eq_u32_e32 vcc, 0, v6
	v_cndmask_b32_e64 v1, 0, v1, s[40:41]
	v_mov_b32_e32 v15, 0x78
	v_or_b32_e32 v2, 0x800000, v0
	v_cndmask_b32_e32 v15, v1, v15, vcc
	v_cndmask_b32_e32 v52, v2, v0, vcc
	v_add_u32_e32 v0, 20, v15
	v_lshlrev_b64 v[0:1], v0, -1
	v_add_u32_e32 v2, 19, v15
	v_lshlrev_b64 v[16:17], v2, 1
	v_bfi_b32 v1, v1, 0, 0
	v_bfi_b32 v0, v0, 0, v52
	v_cmp_eq_u64_e64 s[40:41], v[0:1], v[16:17]
	v_lshrrev_b64 v[0:1], v15, v[52:53]
	v_mov_b32_e32 v2, v1
	v_mov_b32_e32 v1, v0
	s_and_saveexec_b64 s[54:55], s[40:41]
; %bb.15144:                            ;   in Loop: Header=BB6_14344 Depth=3
	v_bfe_u32 v1, v0, 20, 1
	v_add_co_u32_e64 v1, s[40:41], v0, v1
	v_add_co_u32_e64 v1, s[40:41], -1, v1
; %bb.15145:                            ;   in Loop: Header=BB6_14344 Depth=3
	s_or_b64 exec, exec, s[54:55]
	v_add_u32_e32 v2, 0xffffff81, v6
	v_mov_b32_e32 v6, 0xffffff82
	v_cndmask_b32_e32 v2, v2, v6, vcc
	v_lshrrev_b32_e32 v6, 23, v0
	v_add3_u32 v15, v15, v2, v6
	v_add_u32_e32 v6, 6, v15
	v_and_b32_e32 v1, 0xfffff, v1
	v_add_u32_e32 v52, v1, v0
	v_cmp_ne_u32_e32 vcc, 0, v6
                                        ; implicit-def: $vgpr0_vgpr1
                                        ; implicit-def: $vgpr2
	s_and_saveexec_b64 s[40:41], vcc
	s_xor_b64 s[40:41], exec, s[40:41]
; %bb.15146:                            ;   in Loop: Header=BB6_14344 Depth=3
	v_cmp_lt_u64_e32 vcc, s[88:89], v[52:53]
	v_add_u32_e32 v0, 7, v15
	v_cndmask_b32_e32 v2, v6, v0, vcc
	v_cndmask_b32_e64 v0, 0, 1, vcc
	v_lshrrev_b64 v[0:1], v0, v[52:53]
; %bb.15147:                            ;   in Loop: Header=BB6_14344 Depth=3
	s_andn2_saveexec_b64 s[40:41], s[40:41]
; %bb.15148:                            ;   in Loop: Header=BB6_14344 Depth=3
	v_mov_b32_e32 v0, v52
	v_bfe_u32 v2, v52, 23, 1
	v_mov_b32_e32 v1, v53
; %bb.15149:                            ;   in Loop: Header=BB6_14344 Depth=3
	s_or_b64 exec, exec, s[40:41]
	v_lshrrev_b64 v[0:1], 20, v[0:1]
	v_cmp_gt_i32_e32 vcc, 16, v2
	v_cndmask_b32_e32 v1, 0, v1, vcc
	v_cndmask_b32_e32 v0, 7, v0, vcc
	v_cmp_ne_u64_e32 vcc, 0, v[0:1]
	v_cmp_ne_u32_e64 s[40:41], 0, v2
	s_or_b64 s[40:41], s[40:41], vcc
                                        ; implicit-def: $vgpr6
	s_and_saveexec_b64 vcc, s[40:41]
	s_xor_b64 s[40:41], exec, vcc
; %bb.15150:                            ;   in Loop: Header=BB6_14344 Depth=3
	v_min_i32_e32 v1, 15, v2
	v_lshl_or_b32 v1, v1, 3, v7
	v_and_or_b32 v6, v0, 7, v1
                                        ; implicit-def: $vgpr7
; %bb.15151:                            ;   in Loop: Header=BB6_14344 Depth=3
	s_andn2_saveexec_b64 s[40:41], s[40:41]
; %bb.15152:                            ;   in Loop: Header=BB6_14344 Depth=3
	v_mov_b32_e32 v6, v7
; %bb.15153:                            ;   in Loop: Header=BB6_14344 Depth=3
	s_or_b64 exec, exec, s[40:41]
.LBB6_15154:                            ;   in Loop: Header=BB6_14344 Depth=3
	s_or_b64 exec, exec, s[52:53]
                                        ; implicit-def: $vgpr7
.LBB6_15155:                            ;   in Loop: Header=BB6_14344 Depth=3
	s_andn2_saveexec_b64 s[40:41], s[50:51]
; %bb.15156:                            ;   in Loop: Header=BB6_14344 Depth=3
	v_or_b32_e32 v6, 0x7e, v7
; %bb.15157:                            ;   in Loop: Header=BB6_14344 Depth=3
	s_or_b64 exec, exec, s[40:41]
                                        ; implicit-def: $vgpr1
.LBB6_15158:                            ;   in Loop: Header=BB6_14344 Depth=3
	s_andn2_saveexec_b64 s[40:41], s[48:49]
; %bb.15159:                            ;   in Loop: Header=BB6_14344 Depth=3
	v_or_b32_sdwa v6, v1, s83 dst_sel:DWORD dst_unused:UNUSED_PAD src0_sel:BYTE_3 src1_sel:DWORD
; %bb.15160:                            ;   in Loop: Header=BB6_14344 Depth=3
	s_or_b64 exec, exec, s[40:41]
	v_and_b32_e32 v0, 0xff, v14
	v_cmp_ne_u16_e64 s[40:41], 0, v0
	s_and_b64 vcc, exec, s[28:29]
	s_mov_b64 s[48:49], -1
                                        ; implicit-def: $vgpr1
	s_cbranch_vccnz .LBB6_15174
; %bb.15161:                            ;   in Loop: Header=BB6_14344 Depth=3
	v_mov_b32_e32 v7, 0
	v_mov_b32_e32 v2, 0
	s_and_saveexec_b64 s[48:49], s[40:41]
	s_cbranch_execz .LBB6_15167
; %bb.15162:                            ;   in Loop: Header=BB6_14344 Depth=3
	v_cmp_ne_u16_e32 vcc, s82, v0
	v_bfrev_b32_e32 v2, 1
	s_and_saveexec_b64 s[50:51], vcc
	s_cbranch_execz .LBB6_15166
; %bb.15163:                            ;   in Loop: Header=BB6_14344 Depth=3
	v_and_b32_e32 v1, 0x7f, v14
	v_cmp_ne_u32_e32 vcc, s83, v1
	v_mov_b32_e32 v2, 0x7f800001
	s_and_saveexec_b64 s[52:53], vcc
	s_cbranch_execz .LBB6_15165
; %bb.15164:                            ;   in Loop: Header=BB6_14344 Depth=3
	v_and_b32_e32 v15, 7, v0
	v_lshrrev_b32_e32 v16, 3, v1
	v_cmp_gt_u32_e32 vcc, 8, v1
	v_ffbh_u32_e32 v1, v15
	v_min_u32_e32 v17, 32, v1
	v_subrev_u32_e32 v1, 28, v17
	v_lshlrev_b64 v[1:2], v1, v[0:1]
	v_sub_u32_e32 v2, 29, v17
	v_and_b32_e32 v1, 7, v1
	v_cndmask_b32_e32 v2, v16, v2, vcc
	v_cndmask_b32_e32 v1, v15, v1, vcc
	v_lshlrev_b32_e32 v15, 24, v14
	v_bfrev_b32_e32 v16, 60
	v_lshlrev_b32_e32 v1, 20, v1
	v_and_b32_e32 v15, 0x80000000, v15
	v_lshl_add_u32 v2, v2, 23, v16
	v_or3_b32 v2, v15, v2, v1
.LBB6_15165:                            ;   in Loop: Header=BB6_14344 Depth=3
	s_or_b64 exec, exec, s[52:53]
.LBB6_15166:                            ;   in Loop: Header=BB6_14344 Depth=3
	s_or_b64 exec, exec, s[50:51]
.LBB6_15167:                            ;   in Loop: Header=BB6_14344 Depth=3
	s_or_b64 exec, exec, s[48:49]
	v_and_b32_e32 v1, 0xff, v12
	v_cmp_ne_u16_e32 vcc, 0, v1
	s_and_saveexec_b64 s[48:49], vcc
	s_cbranch_execz .LBB6_15173
; %bb.15168:                            ;   in Loop: Header=BB6_14344 Depth=3
	v_cmp_ne_u16_e32 vcc, s82, v1
	v_bfrev_b32_e32 v7, 1
	s_and_saveexec_b64 s[50:51], vcc
	s_cbranch_execz .LBB6_15172
; %bb.15169:                            ;   in Loop: Header=BB6_14344 Depth=3
	v_and_b32_e32 v15, 0x7f, v12
	v_cmp_ne_u32_e32 vcc, s83, v15
	v_mov_b32_e32 v7, 0x7f800001
	s_and_saveexec_b64 s[52:53], vcc
	s_cbranch_execz .LBB6_15171
; %bb.15170:                            ;   in Loop: Header=BB6_14344 Depth=3
	v_and_b32_e32 v7, 7, v1
	v_lshrrev_b32_e32 v17, 3, v15
	v_cmp_gt_u32_e32 vcc, 8, v15
	v_ffbh_u32_e32 v15, v7
	v_min_u32_e32 v18, 32, v15
	v_subrev_u32_e32 v15, 28, v18
	v_lshlrev_b64 v[15:16], v15, v[1:2]
	v_sub_u32_e32 v1, 29, v18
	v_and_b32_e32 v15, 7, v15
	v_cndmask_b32_e32 v1, v17, v1, vcc
	v_cndmask_b32_e32 v7, v7, v15, vcc
	v_lshlrev_b32_e32 v15, 24, v12
	v_bfrev_b32_e32 v16, 60
	v_lshlrev_b32_e32 v7, 20, v7
	v_and_b32_e32 v15, 0x80000000, v15
	v_lshl_add_u32 v1, v1, 23, v16
	v_or3_b32 v7, v15, v1, v7
.LBB6_15171:                            ;   in Loop: Header=BB6_14344 Depth=3
	s_or_b64 exec, exec, s[52:53]
.LBB6_15172:                            ;   in Loop: Header=BB6_14344 Depth=3
	s_or_b64 exec, exec, s[50:51]
.LBB6_15173:                            ;   in Loop: Header=BB6_14344 Depth=3
	s_or_b64 exec, exec, s[48:49]
	v_max_f32_e32 v1, v7, v7
	v_max_f32_e32 v2, v2, v2
	;; [unrolled: 1-line block ×3, first 2 shown]
	s_mov_b64 s[48:49], 0
.LBB6_15174:                            ;   in Loop: Header=BB6_14344 Depth=3
	s_and_b64 vcc, exec, s[48:49]
	s_cbranch_vccz .LBB6_15188
; %bb.15175:                            ;   in Loop: Header=BB6_14344 Depth=3
	v_mov_b32_e32 v2, 0
	v_mov_b32_e32 v1, 0
	s_and_saveexec_b64 s[48:49], s[40:41]
	s_cbranch_execz .LBB6_15181
; %bb.15176:                            ;   in Loop: Header=BB6_14344 Depth=3
	v_cmp_ne_u16_e32 vcc, s82, v0
	v_bfrev_b32_e32 v1, 1
	s_and_saveexec_b64 s[40:41], vcc
	s_cbranch_execz .LBB6_15180
; %bb.15177:                            ;   in Loop: Header=BB6_14344 Depth=3
	v_and_b32_e32 v7, 0x7f, v14
	v_cmp_ne_u32_e32 vcc, s83, v7
	v_mov_b32_e32 v1, 0x7f800001
	s_and_saveexec_b64 s[50:51], vcc
	s_cbranch_execz .LBB6_15179
; %bb.15178:                            ;   in Loop: Header=BB6_14344 Depth=3
	v_and_b32_e32 v15, 7, v0
	v_ffbh_u32_e32 v1, v15
	v_lshrrev_b32_e32 v16, 3, v7
	v_cmp_gt_u32_e32 vcc, 8, v7
	v_min_u32_e32 v7, 32, v1
	v_subrev_u32_e32 v1, 28, v7
	v_lshlrev_b64 v[0:1], v1, v[0:1]
	v_sub_u32_e32 v1, 29, v7
	v_and_b32_e32 v0, 7, v0
	v_cndmask_b32_e32 v1, v16, v1, vcc
	v_cndmask_b32_e32 v0, v15, v0, vcc
	v_lshlrev_b32_e32 v7, 24, v14
	v_bfrev_b32_e32 v14, 60
	v_lshlrev_b32_e32 v0, 20, v0
	v_and_b32_e32 v7, 0x80000000, v7
	v_lshl_add_u32 v1, v1, 23, v14
	v_or3_b32 v1, v7, v1, v0
.LBB6_15179:                            ;   in Loop: Header=BB6_14344 Depth=3
	s_or_b64 exec, exec, s[50:51]
.LBB6_15180:                            ;   in Loop: Header=BB6_14344 Depth=3
	s_or_b64 exec, exec, s[40:41]
.LBB6_15181:                            ;   in Loop: Header=BB6_14344 Depth=3
	s_or_b64 exec, exec, s[48:49]
	v_and_b32_e32 v0, 0xff, v12
	v_cmp_ne_u16_e32 vcc, 0, v0
	s_and_saveexec_b64 s[40:41], vcc
	s_cbranch_execz .LBB6_15187
; %bb.15182:                            ;   in Loop: Header=BB6_14344 Depth=3
	v_cmp_ne_u16_e32 vcc, s82, v0
	v_bfrev_b32_e32 v2, 1
	s_and_saveexec_b64 s[48:49], vcc
	s_cbranch_execz .LBB6_15186
; %bb.15183:                            ;   in Loop: Header=BB6_14344 Depth=3
	v_and_b32_e32 v7, 0x7f, v12
	v_cmp_ne_u32_e32 vcc, s83, v7
	v_mov_b32_e32 v2, 0x7f800001
	s_and_saveexec_b64 s[50:51], vcc
	s_cbranch_execz .LBB6_15185
; %bb.15184:                            ;   in Loop: Header=BB6_14344 Depth=3
	v_and_b32_e32 v2, 7, v0
	v_lshrrev_b32_e32 v16, 3, v7
	v_cmp_gt_u32_e32 vcc, 8, v7
	v_ffbh_u32_e32 v7, v2
	v_min_u32_e32 v7, 32, v7
	v_subrev_u32_e32 v14, 28, v7
	v_lshlrev_b64 v[14:15], v14, v[0:1]
	v_sub_u32_e32 v0, 29, v7
	v_and_b32_e32 v7, 7, v14
	v_cndmask_b32_e32 v0, v16, v0, vcc
	v_cndmask_b32_e32 v2, v2, v7, vcc
	v_lshlrev_b32_e32 v7, 24, v12
	v_bfrev_b32_e32 v12, 60
	v_lshlrev_b32_e32 v2, 20, v2
	v_and_b32_e32 v7, 0x80000000, v7
	v_lshl_add_u32 v0, v0, 23, v12
	v_or3_b32 v2, v7, v0, v2
.LBB6_15185:                            ;   in Loop: Header=BB6_14344 Depth=3
	s_or_b64 exec, exec, s[50:51]
.LBB6_15186:                            ;   in Loop: Header=BB6_14344 Depth=3
	s_or_b64 exec, exec, s[48:49]
.LBB6_15187:                            ;   in Loop: Header=BB6_14344 Depth=3
	s_or_b64 exec, exec, s[40:41]
	v_max_f32_e32 v0, v2, v2
	v_max_f32_e32 v1, v1, v1
	v_min_f32_e32 v1, v1, v0
.LBB6_15188:                            ;   in Loop: Header=BB6_14344 Depth=3
	v_and_b32_e32 v52, 0x7f800000, v1
	v_cmp_ne_u64_e32 vcc, s[76:77], v[52:53]
                                        ; implicit-def: $vgpr7
	s_and_saveexec_b64 s[40:41], vcc
	s_xor_b64 s[48:49], exec, s[40:41]
	s_cbranch_execz .LBB6_15206
; %bb.15189:                            ;   in Loop: Header=BB6_14344 Depth=3
	v_and_b32_e32 v52, 0x7fffffff, v1
	v_cmp_gt_u64_e32 vcc, s[78:79], v[52:53]
	v_and_b32_sdwa v12, v1, s82 dst_sel:DWORD dst_unused:UNUSED_PAD src0_sel:BYTE_3 src1_sel:DWORD
                                        ; implicit-def: $vgpr7
	s_and_saveexec_b64 s[40:41], vcc
	s_xor_b64 s[50:51], exec, s[40:41]
	s_cbranch_execz .LBB6_15203
; %bb.15190:                            ;   in Loop: Header=BB6_14344 Depth=3
	v_cmp_ne_u32_e32 vcc, 0, v1
	v_mov_b32_e32 v7, 0
	s_and_saveexec_b64 s[52:53], vcc
	s_cbranch_execz .LBB6_15202
; %bb.15191:                            ;   in Loop: Header=BB6_14344 Depth=3
	v_bfe_u32 v7, v1, 23, 8
	v_and_b32_e32 v0, 0x7fffff, v1
	v_cmp_gt_u32_e64 s[40:41], s85, v7
	v_sub_u32_e32 v1, 0x79, v7
	v_cmp_eq_u32_e32 vcc, 0, v7
	v_cndmask_b32_e64 v1, 0, v1, s[40:41]
	v_mov_b32_e32 v14, 0x78
	v_or_b32_e32 v2, 0x800000, v0
	v_cndmask_b32_e32 v14, v1, v14, vcc
	v_cndmask_b32_e32 v52, v2, v0, vcc
	v_add_u32_e32 v0, 20, v14
	v_lshlrev_b64 v[0:1], v0, -1
	v_add_u32_e32 v2, 19, v14
	v_lshlrev_b64 v[15:16], v2, 1
	v_bfi_b32 v1, v1, 0, 0
	v_bfi_b32 v0, v0, 0, v52
	v_cmp_eq_u64_e64 s[40:41], v[0:1], v[15:16]
	v_lshrrev_b64 v[0:1], v14, v[52:53]
	v_mov_b32_e32 v2, v1
	v_mov_b32_e32 v1, v0
	s_and_saveexec_b64 s[54:55], s[40:41]
; %bb.15192:                            ;   in Loop: Header=BB6_14344 Depth=3
	v_bfe_u32 v1, v0, 20, 1
	v_add_co_u32_e64 v1, s[40:41], v0, v1
	v_add_co_u32_e64 v1, s[40:41], -1, v1
; %bb.15193:                            ;   in Loop: Header=BB6_14344 Depth=3
	s_or_b64 exec, exec, s[54:55]
	v_add_u32_e32 v2, 0xffffff81, v7
	v_mov_b32_e32 v7, 0xffffff82
	v_cndmask_b32_e32 v2, v2, v7, vcc
	v_lshrrev_b32_e32 v7, 23, v0
	v_add3_u32 v14, v14, v2, v7
	v_add_u32_e32 v7, 6, v14
	v_and_b32_e32 v1, 0xfffff, v1
	v_add_u32_e32 v52, v1, v0
	v_cmp_ne_u32_e32 vcc, 0, v7
                                        ; implicit-def: $vgpr0_vgpr1
                                        ; implicit-def: $vgpr2
	s_and_saveexec_b64 s[40:41], vcc
	s_xor_b64 s[40:41], exec, s[40:41]
; %bb.15194:                            ;   in Loop: Header=BB6_14344 Depth=3
	v_cmp_lt_u64_e32 vcc, s[88:89], v[52:53]
	v_add_u32_e32 v0, 7, v14
	v_cndmask_b32_e32 v2, v7, v0, vcc
	v_cndmask_b32_e64 v0, 0, 1, vcc
	v_lshrrev_b64 v[0:1], v0, v[52:53]
; %bb.15195:                            ;   in Loop: Header=BB6_14344 Depth=3
	s_andn2_saveexec_b64 s[40:41], s[40:41]
; %bb.15196:                            ;   in Loop: Header=BB6_14344 Depth=3
	v_mov_b32_e32 v0, v52
	v_bfe_u32 v2, v52, 23, 1
	v_mov_b32_e32 v1, v53
; %bb.15197:                            ;   in Loop: Header=BB6_14344 Depth=3
	s_or_b64 exec, exec, s[40:41]
	v_lshrrev_b64 v[0:1], 20, v[0:1]
	v_cmp_gt_i32_e32 vcc, 16, v2
	v_cndmask_b32_e32 v1, 0, v1, vcc
	v_cndmask_b32_e32 v0, 7, v0, vcc
	v_cmp_ne_u64_e32 vcc, 0, v[0:1]
	v_cmp_ne_u32_e64 s[40:41], 0, v2
	s_or_b64 s[40:41], s[40:41], vcc
                                        ; implicit-def: $vgpr7
	s_and_saveexec_b64 vcc, s[40:41]
	s_xor_b64 s[40:41], exec, vcc
; %bb.15198:                            ;   in Loop: Header=BB6_14344 Depth=3
	v_min_i32_e32 v1, 15, v2
	v_lshl_or_b32 v1, v1, 3, v12
	v_and_or_b32 v7, v0, 7, v1
                                        ; implicit-def: $vgpr12
; %bb.15199:                            ;   in Loop: Header=BB6_14344 Depth=3
	s_andn2_saveexec_b64 s[40:41], s[40:41]
; %bb.15200:                            ;   in Loop: Header=BB6_14344 Depth=3
	v_mov_b32_e32 v7, v12
; %bb.15201:                            ;   in Loop: Header=BB6_14344 Depth=3
	s_or_b64 exec, exec, s[40:41]
.LBB6_15202:                            ;   in Loop: Header=BB6_14344 Depth=3
	s_or_b64 exec, exec, s[52:53]
                                        ; implicit-def: $vgpr12
.LBB6_15203:                            ;   in Loop: Header=BB6_14344 Depth=3
	s_andn2_saveexec_b64 s[40:41], s[50:51]
; %bb.15204:                            ;   in Loop: Header=BB6_14344 Depth=3
	v_or_b32_e32 v7, 0x7e, v12
; %bb.15205:                            ;   in Loop: Header=BB6_14344 Depth=3
	s_or_b64 exec, exec, s[40:41]
                                        ; implicit-def: $vgpr1
.LBB6_15206:                            ;   in Loop: Header=BB6_14344 Depth=3
	s_andn2_saveexec_b64 s[40:41], s[48:49]
; %bb.15207:                            ;   in Loop: Header=BB6_14344 Depth=3
	v_or_b32_sdwa v7, v1, s83 dst_sel:DWORD dst_unused:UNUSED_PAD src0_sel:BYTE_3 src1_sel:DWORD
; %bb.15208:                            ;   in Loop: Header=BB6_14344 Depth=3
	s_or_b64 exec, exec, s[40:41]
	v_and_b32_e32 v0, 0xff, v45
	v_cmp_ne_u16_e64 s[40:41], 0, v0
	s_and_b64 vcc, exec, s[28:29]
	s_mov_b64 s[48:49], -1
                                        ; implicit-def: $vgpr1
	s_cbranch_vccnz .LBB6_15222
; %bb.15209:                            ;   in Loop: Header=BB6_14344 Depth=3
	v_mov_b32_e32 v12, 0
	v_mov_b32_e32 v2, 0
	s_and_saveexec_b64 s[48:49], s[40:41]
	s_cbranch_execz .LBB6_15215
; %bb.15210:                            ;   in Loop: Header=BB6_14344 Depth=3
	v_cmp_ne_u16_e32 vcc, s82, v0
	v_bfrev_b32_e32 v2, 1
	s_and_saveexec_b64 s[50:51], vcc
	s_cbranch_execz .LBB6_15214
; %bb.15211:                            ;   in Loop: Header=BB6_14344 Depth=3
	v_and_b32_e32 v1, 0x7f, v45
	v_cmp_ne_u32_e32 vcc, s83, v1
	v_mov_b32_e32 v2, 0x7f800001
	s_and_saveexec_b64 s[52:53], vcc
	s_cbranch_execz .LBB6_15213
; %bb.15212:                            ;   in Loop: Header=BB6_14344 Depth=3
	v_and_b32_e32 v14, 7, v0
	v_lshrrev_b32_e32 v15, 3, v1
	v_cmp_gt_u32_e32 vcc, 8, v1
	v_ffbh_u32_e32 v1, v14
	v_min_u32_e32 v16, 32, v1
	v_subrev_u32_e32 v1, 28, v16
	v_lshlrev_b64 v[1:2], v1, v[0:1]
	v_sub_u32_e32 v2, 29, v16
	v_and_b32_e32 v1, 7, v1
	v_cndmask_b32_e32 v2, v15, v2, vcc
	v_cndmask_b32_e32 v1, v14, v1, vcc
	v_lshlrev_b32_e32 v14, 24, v45
	v_bfrev_b32_e32 v15, 60
	v_lshlrev_b32_e32 v1, 20, v1
	v_and_b32_e32 v14, 0x80000000, v14
	v_lshl_add_u32 v2, v2, 23, v15
	v_or3_b32 v2, v14, v2, v1
.LBB6_15213:                            ;   in Loop: Header=BB6_14344 Depth=3
	s_or_b64 exec, exec, s[52:53]
.LBB6_15214:                            ;   in Loop: Header=BB6_14344 Depth=3
	s_or_b64 exec, exec, s[50:51]
.LBB6_15215:                            ;   in Loop: Header=BB6_14344 Depth=3
	s_or_b64 exec, exec, s[48:49]
	v_and_b32_e32 v1, 0xff, v36
	v_cmp_ne_u16_e32 vcc, 0, v1
	s_and_saveexec_b64 s[48:49], vcc
	s_cbranch_execz .LBB6_15221
; %bb.15216:                            ;   in Loop: Header=BB6_14344 Depth=3
	v_cmp_ne_u16_e32 vcc, s82, v1
	v_bfrev_b32_e32 v12, 1
	s_and_saveexec_b64 s[50:51], vcc
	s_cbranch_execz .LBB6_15220
; %bb.15217:                            ;   in Loop: Header=BB6_14344 Depth=3
	v_and_b32_e32 v14, 0x7f, v36
	v_cmp_ne_u32_e32 vcc, s83, v14
	v_mov_b32_e32 v12, 0x7f800001
	s_and_saveexec_b64 s[52:53], vcc
	s_cbranch_execz .LBB6_15219
; %bb.15218:                            ;   in Loop: Header=BB6_14344 Depth=3
	v_and_b32_e32 v12, 7, v1
	v_lshrrev_b32_e32 v16, 3, v14
	v_cmp_gt_u32_e32 vcc, 8, v14
	v_ffbh_u32_e32 v14, v12
	v_min_u32_e32 v17, 32, v14
	v_subrev_u32_e32 v14, 28, v17
	v_lshlrev_b64 v[14:15], v14, v[1:2]
	v_sub_u32_e32 v1, 29, v17
	v_and_b32_e32 v14, 7, v14
	v_cndmask_b32_e32 v1, v16, v1, vcc
	v_cndmask_b32_e32 v12, v12, v14, vcc
	v_lshlrev_b32_e32 v14, 24, v36
	v_bfrev_b32_e32 v15, 60
	v_lshlrev_b32_e32 v12, 20, v12
	v_and_b32_e32 v14, 0x80000000, v14
	v_lshl_add_u32 v1, v1, 23, v15
	v_or3_b32 v12, v14, v1, v12
.LBB6_15219:                            ;   in Loop: Header=BB6_14344 Depth=3
	s_or_b64 exec, exec, s[52:53]
.LBB6_15220:                            ;   in Loop: Header=BB6_14344 Depth=3
	s_or_b64 exec, exec, s[50:51]
.LBB6_15221:                            ;   in Loop: Header=BB6_14344 Depth=3
	s_or_b64 exec, exec, s[48:49]
	v_max_f32_e32 v1, v12, v12
	v_max_f32_e32 v2, v2, v2
	;; [unrolled: 1-line block ×3, first 2 shown]
	s_mov_b64 s[48:49], 0
.LBB6_15222:                            ;   in Loop: Header=BB6_14344 Depth=3
	s_and_b64 vcc, exec, s[48:49]
	s_cbranch_vccz .LBB6_15236
; %bb.15223:                            ;   in Loop: Header=BB6_14344 Depth=3
	v_mov_b32_e32 v2, 0
	v_mov_b32_e32 v1, 0
	s_and_saveexec_b64 s[48:49], s[40:41]
	s_cbranch_execz .LBB6_15229
; %bb.15224:                            ;   in Loop: Header=BB6_14344 Depth=3
	v_cmp_ne_u16_e32 vcc, s82, v0
	v_bfrev_b32_e32 v1, 1
	s_and_saveexec_b64 s[40:41], vcc
	s_cbranch_execz .LBB6_15228
; %bb.15225:                            ;   in Loop: Header=BB6_14344 Depth=3
	v_and_b32_e32 v12, 0x7f, v45
	v_cmp_ne_u32_e32 vcc, s83, v12
	v_mov_b32_e32 v1, 0x7f800001
	s_and_saveexec_b64 s[50:51], vcc
	s_cbranch_execz .LBB6_15227
; %bb.15226:                            ;   in Loop: Header=BB6_14344 Depth=3
	v_and_b32_e32 v14, 7, v0
	v_ffbh_u32_e32 v1, v14
	v_lshrrev_b32_e32 v15, 3, v12
	v_cmp_gt_u32_e32 vcc, 8, v12
	v_min_u32_e32 v12, 32, v1
	v_subrev_u32_e32 v1, 28, v12
	v_lshlrev_b64 v[0:1], v1, v[0:1]
	v_sub_u32_e32 v1, 29, v12
	v_and_b32_e32 v0, 7, v0
	v_cndmask_b32_e32 v1, v15, v1, vcc
	v_cndmask_b32_e32 v0, v14, v0, vcc
	v_lshlrev_b32_e32 v12, 24, v45
	v_bfrev_b32_e32 v14, 60
	v_lshlrev_b32_e32 v0, 20, v0
	v_and_b32_e32 v12, 0x80000000, v12
	v_lshl_add_u32 v1, v1, 23, v14
	v_or3_b32 v1, v12, v1, v0
.LBB6_15227:                            ;   in Loop: Header=BB6_14344 Depth=3
	s_or_b64 exec, exec, s[50:51]
.LBB6_15228:                            ;   in Loop: Header=BB6_14344 Depth=3
	s_or_b64 exec, exec, s[40:41]
.LBB6_15229:                            ;   in Loop: Header=BB6_14344 Depth=3
	s_or_b64 exec, exec, s[48:49]
	v_and_b32_e32 v0, 0xff, v36
	v_cmp_ne_u16_e32 vcc, 0, v0
	s_and_saveexec_b64 s[40:41], vcc
	s_cbranch_execz .LBB6_15235
; %bb.15230:                            ;   in Loop: Header=BB6_14344 Depth=3
	v_cmp_ne_u16_e32 vcc, s82, v0
	v_bfrev_b32_e32 v2, 1
	s_and_saveexec_b64 s[48:49], vcc
	s_cbranch_execz .LBB6_15234
; %bb.15231:                            ;   in Loop: Header=BB6_14344 Depth=3
	v_and_b32_e32 v12, 0x7f, v36
	v_cmp_ne_u32_e32 vcc, s83, v12
	v_mov_b32_e32 v2, 0x7f800001
	s_and_saveexec_b64 s[50:51], vcc
	s_cbranch_execz .LBB6_15233
; %bb.15232:                            ;   in Loop: Header=BB6_14344 Depth=3
	v_and_b32_e32 v2, 7, v0
	v_lshrrev_b32_e32 v16, 3, v12
	v_cmp_gt_u32_e32 vcc, 8, v12
	v_ffbh_u32_e32 v12, v2
	v_min_u32_e32 v12, 32, v12
	v_subrev_u32_e32 v14, 28, v12
	v_lshlrev_b64 v[14:15], v14, v[0:1]
	v_sub_u32_e32 v0, 29, v12
	v_and_b32_e32 v12, 7, v14
	v_cndmask_b32_e32 v0, v16, v0, vcc
	v_cndmask_b32_e32 v2, v2, v12, vcc
	v_lshlrev_b32_e32 v12, 24, v36
	v_bfrev_b32_e32 v14, 60
	v_lshlrev_b32_e32 v2, 20, v2
	v_and_b32_e32 v12, 0x80000000, v12
	v_lshl_add_u32 v0, v0, 23, v14
	v_or3_b32 v2, v12, v0, v2
.LBB6_15233:                            ;   in Loop: Header=BB6_14344 Depth=3
	s_or_b64 exec, exec, s[50:51]
.LBB6_15234:                            ;   in Loop: Header=BB6_14344 Depth=3
	s_or_b64 exec, exec, s[48:49]
.LBB6_15235:                            ;   in Loop: Header=BB6_14344 Depth=3
	s_or_b64 exec, exec, s[40:41]
	v_max_f32_e32 v0, v2, v2
	v_max_f32_e32 v1, v1, v1
	v_min_f32_e32 v1, v1, v0
.LBB6_15236:                            ;   in Loop: Header=BB6_14344 Depth=3
	v_and_b32_e32 v52, 0x7f800000, v1
	v_cmp_ne_u64_e32 vcc, s[76:77], v[52:53]
                                        ; implicit-def: $vgpr12
	s_mov_b64 s[40:41], exec
	buffer_load_dword v22, off, s[0:3], s33 offset:148 ; 4-byte Folded Reload
	buffer_load_dword v21, off, s[0:3], s33 offset:152 ; 4-byte Folded Reload
	;; [unrolled: 1-line block ×3, first 2 shown]
	s_and_b64 vcc, s[40:41], vcc
	s_xor_b64 s[48:49], vcc, s[40:41]
	s_mov_b64 exec, vcc
	s_cbranch_execz .LBB6_15254
; %bb.15237:                            ;   in Loop: Header=BB6_14344 Depth=3
	v_and_b32_e32 v52, 0x7fffffff, v1
	v_cmp_gt_u64_e32 vcc, s[78:79], v[52:53]
	v_and_b32_sdwa v14, v1, s82 dst_sel:DWORD dst_unused:UNUSED_PAD src0_sel:BYTE_3 src1_sel:DWORD
                                        ; implicit-def: $vgpr12
	s_and_saveexec_b64 s[40:41], vcc
	s_xor_b64 s[50:51], exec, s[40:41]
	s_cbranch_execz .LBB6_15251
; %bb.15238:                            ;   in Loop: Header=BB6_14344 Depth=3
	v_cmp_ne_u32_e32 vcc, 0, v1
	v_mov_b32_e32 v12, 0
	s_and_saveexec_b64 s[52:53], vcc
	s_cbranch_execz .LBB6_15250
; %bb.15239:                            ;   in Loop: Header=BB6_14344 Depth=3
	v_bfe_u32 v12, v1, 23, 8
	v_and_b32_e32 v0, 0x7fffff, v1
	v_cmp_gt_u32_e64 s[40:41], s85, v12
	v_sub_u32_e32 v1, 0x79, v12
	v_cmp_eq_u32_e32 vcc, 0, v12
	v_cndmask_b32_e64 v1, 0, v1, s[40:41]
	v_mov_b32_e32 v15, 0x78
	v_or_b32_e32 v2, 0x800000, v0
	v_cndmask_b32_e32 v15, v1, v15, vcc
	v_cndmask_b32_e32 v52, v2, v0, vcc
	v_add_u32_e32 v0, 20, v15
	v_lshlrev_b64 v[0:1], v0, -1
	v_add_u32_e32 v2, 19, v15
	v_lshlrev_b64 v[16:17], v2, 1
	v_bfi_b32 v1, v1, 0, 0
	v_bfi_b32 v0, v0, 0, v52
	v_cmp_eq_u64_e64 s[40:41], v[0:1], v[16:17]
	v_lshrrev_b64 v[0:1], v15, v[52:53]
	v_mov_b32_e32 v2, v1
	v_mov_b32_e32 v1, v0
	s_and_saveexec_b64 s[54:55], s[40:41]
; %bb.15240:                            ;   in Loop: Header=BB6_14344 Depth=3
	v_bfe_u32 v1, v0, 20, 1
	v_add_co_u32_e64 v1, s[40:41], v0, v1
	v_add_co_u32_e64 v1, s[40:41], -1, v1
; %bb.15241:                            ;   in Loop: Header=BB6_14344 Depth=3
	s_or_b64 exec, exec, s[54:55]
	v_add_u32_e32 v2, 0xffffff81, v12
	v_mov_b32_e32 v12, 0xffffff82
	v_cndmask_b32_e32 v2, v2, v12, vcc
	v_lshrrev_b32_e32 v12, 23, v0
	v_add3_u32 v15, v15, v2, v12
	v_add_u32_e32 v12, 6, v15
	v_and_b32_e32 v1, 0xfffff, v1
	v_add_u32_e32 v52, v1, v0
	v_cmp_ne_u32_e32 vcc, 0, v12
                                        ; implicit-def: $vgpr0_vgpr1
                                        ; implicit-def: $vgpr2
	s_and_saveexec_b64 s[40:41], vcc
	s_xor_b64 s[40:41], exec, s[40:41]
; %bb.15242:                            ;   in Loop: Header=BB6_14344 Depth=3
	v_cmp_lt_u64_e32 vcc, s[88:89], v[52:53]
	v_add_u32_e32 v0, 7, v15
	v_cndmask_b32_e32 v2, v12, v0, vcc
	v_cndmask_b32_e64 v0, 0, 1, vcc
	v_lshrrev_b64 v[0:1], v0, v[52:53]
; %bb.15243:                            ;   in Loop: Header=BB6_14344 Depth=3
	s_andn2_saveexec_b64 s[40:41], s[40:41]
; %bb.15244:                            ;   in Loop: Header=BB6_14344 Depth=3
	v_mov_b32_e32 v0, v52
	v_bfe_u32 v2, v52, 23, 1
	v_mov_b32_e32 v1, v53
; %bb.15245:                            ;   in Loop: Header=BB6_14344 Depth=3
	s_or_b64 exec, exec, s[40:41]
	v_lshrrev_b64 v[0:1], 20, v[0:1]
	v_cmp_gt_i32_e32 vcc, 16, v2
	v_cndmask_b32_e32 v1, 0, v1, vcc
	v_cndmask_b32_e32 v0, 7, v0, vcc
	v_cmp_ne_u64_e32 vcc, 0, v[0:1]
	v_cmp_ne_u32_e64 s[40:41], 0, v2
	s_or_b64 s[40:41], s[40:41], vcc
                                        ; implicit-def: $vgpr12
	s_and_saveexec_b64 vcc, s[40:41]
	s_xor_b64 s[40:41], exec, vcc
; %bb.15246:                            ;   in Loop: Header=BB6_14344 Depth=3
	v_min_i32_e32 v1, 15, v2
	v_lshl_or_b32 v1, v1, 3, v14
	v_and_or_b32 v12, v0, 7, v1
                                        ; implicit-def: $vgpr14
; %bb.15247:                            ;   in Loop: Header=BB6_14344 Depth=3
	s_andn2_saveexec_b64 s[40:41], s[40:41]
; %bb.15248:                            ;   in Loop: Header=BB6_14344 Depth=3
	v_mov_b32_e32 v12, v14
; %bb.15249:                            ;   in Loop: Header=BB6_14344 Depth=3
	s_or_b64 exec, exec, s[40:41]
.LBB6_15250:                            ;   in Loop: Header=BB6_14344 Depth=3
	s_or_b64 exec, exec, s[52:53]
                                        ; implicit-def: $vgpr14
.LBB6_15251:                            ;   in Loop: Header=BB6_14344 Depth=3
	s_andn2_saveexec_b64 s[40:41], s[50:51]
; %bb.15252:                            ;   in Loop: Header=BB6_14344 Depth=3
	v_or_b32_e32 v12, 0x7e, v14
; %bb.15253:                            ;   in Loop: Header=BB6_14344 Depth=3
	s_or_b64 exec, exec, s[40:41]
                                        ; implicit-def: $vgpr1
.LBB6_15254:                            ;   in Loop: Header=BB6_14344 Depth=3
	s_andn2_saveexec_b64 s[40:41], s[48:49]
; %bb.15255:                            ;   in Loop: Header=BB6_14344 Depth=3
	v_or_b32_sdwa v12, v1, s83 dst_sel:DWORD dst_unused:UNUSED_PAD src0_sel:BYTE_3 src1_sel:DWORD
; %bb.15256:                            ;   in Loop: Header=BB6_14344 Depth=3
	s_or_b64 exec, exec, s[40:41]
	v_and_b32_e32 v0, 0xff, v33
	v_cmp_ne_u16_e64 s[40:41], 0, v0
	s_and_b64 vcc, exec, s[28:29]
	s_mov_b64 s[48:49], -1
                                        ; implicit-def: $vgpr1
	s_cbranch_vccnz .LBB6_15270
; %bb.15257:                            ;   in Loop: Header=BB6_14344 Depth=3
	v_mov_b32_e32 v14, 0
	v_mov_b32_e32 v2, 0
	s_and_saveexec_b64 s[48:49], s[40:41]
	s_cbranch_execz .LBB6_15263
; %bb.15258:                            ;   in Loop: Header=BB6_14344 Depth=3
	v_cmp_ne_u16_e32 vcc, s82, v0
	v_bfrev_b32_e32 v2, 1
	s_and_saveexec_b64 s[50:51], vcc
	s_cbranch_execz .LBB6_15262
; %bb.15259:                            ;   in Loop: Header=BB6_14344 Depth=3
	v_and_b32_e32 v1, 0x7f, v33
	v_cmp_ne_u32_e32 vcc, s83, v1
	v_mov_b32_e32 v2, 0x7f800001
	s_and_saveexec_b64 s[52:53], vcc
	s_cbranch_execz .LBB6_15261
; %bb.15260:                            ;   in Loop: Header=BB6_14344 Depth=3
	v_and_b32_e32 v15, 7, v0
	v_lshrrev_b32_e32 v16, 3, v1
	v_cmp_gt_u32_e32 vcc, 8, v1
	v_ffbh_u32_e32 v1, v15
	v_min_u32_e32 v17, 32, v1
	v_subrev_u32_e32 v1, 28, v17
	v_lshlrev_b64 v[1:2], v1, v[0:1]
	v_sub_u32_e32 v2, 29, v17
	v_and_b32_e32 v1, 7, v1
	v_cndmask_b32_e32 v2, v16, v2, vcc
	v_cndmask_b32_e32 v1, v15, v1, vcc
	v_lshlrev_b32_e32 v15, 24, v33
	v_bfrev_b32_e32 v16, 60
	v_lshlrev_b32_e32 v1, 20, v1
	v_and_b32_e32 v15, 0x80000000, v15
	v_lshl_add_u32 v2, v2, 23, v16
	v_or3_b32 v2, v15, v2, v1
.LBB6_15261:                            ;   in Loop: Header=BB6_14344 Depth=3
	s_or_b64 exec, exec, s[52:53]
.LBB6_15262:                            ;   in Loop: Header=BB6_14344 Depth=3
	s_or_b64 exec, exec, s[50:51]
.LBB6_15263:                            ;   in Loop: Header=BB6_14344 Depth=3
	s_or_b64 exec, exec, s[48:49]
	v_and_b32_e32 v1, 0xff, v60
	v_cmp_ne_u16_e32 vcc, 0, v1
	s_and_saveexec_b64 s[48:49], vcc
	s_cbranch_execz .LBB6_15269
; %bb.15264:                            ;   in Loop: Header=BB6_14344 Depth=3
	v_cmp_ne_u16_e32 vcc, s82, v1
	v_bfrev_b32_e32 v14, 1
	s_and_saveexec_b64 s[50:51], vcc
	s_cbranch_execz .LBB6_15268
; %bb.15265:                            ;   in Loop: Header=BB6_14344 Depth=3
	v_and_b32_e32 v15, 0x7f, v60
	v_cmp_ne_u32_e32 vcc, s83, v15
	v_mov_b32_e32 v14, 0x7f800001
	s_and_saveexec_b64 s[52:53], vcc
	s_cbranch_execz .LBB6_15267
; %bb.15266:                            ;   in Loop: Header=BB6_14344 Depth=3
	v_and_b32_e32 v16, 7, v1
	v_ffbh_u32_e32 v14, v16
	v_min_u32_e32 v18, 32, v14
	v_subrev_u32_e32 v14, 28, v18
	v_lshrrev_b32_e32 v17, 3, v15
	v_cmp_gt_u32_e32 vcc, 8, v15
	v_lshlrev_b64 v[14:15], v14, v[1:2]
	v_sub_u32_e32 v1, 29, v18
	v_and_b32_e32 v14, 7, v14
	v_cndmask_b32_e32 v1, v17, v1, vcc
	v_cndmask_b32_e32 v14, v16, v14, vcc
	v_lshlrev_b32_e32 v15, 24, v60
	v_bfrev_b32_e32 v16, 60
	v_lshlrev_b32_e32 v14, 20, v14
	v_and_b32_e32 v15, 0x80000000, v15
	v_lshl_add_u32 v1, v1, 23, v16
	v_or3_b32 v14, v15, v1, v14
.LBB6_15267:                            ;   in Loop: Header=BB6_14344 Depth=3
	s_or_b64 exec, exec, s[52:53]
.LBB6_15268:                            ;   in Loop: Header=BB6_14344 Depth=3
	s_or_b64 exec, exec, s[50:51]
.LBB6_15269:                            ;   in Loop: Header=BB6_14344 Depth=3
	s_or_b64 exec, exec, s[48:49]
	v_max_f32_e32 v1, v14, v14
	v_max_f32_e32 v2, v2, v2
	;; [unrolled: 1-line block ×3, first 2 shown]
	s_mov_b64 s[48:49], 0
.LBB6_15270:                            ;   in Loop: Header=BB6_14344 Depth=3
	s_and_b64 vcc, exec, s[48:49]
	s_cbranch_vccz .LBB6_15284
; %bb.15271:                            ;   in Loop: Header=BB6_14344 Depth=3
	v_mov_b32_e32 v2, 0
	v_mov_b32_e32 v1, 0
	s_and_saveexec_b64 s[48:49], s[40:41]
	s_cbranch_execz .LBB6_15277
; %bb.15272:                            ;   in Loop: Header=BB6_14344 Depth=3
	v_cmp_ne_u16_e32 vcc, s82, v0
	v_bfrev_b32_e32 v1, 1
	s_and_saveexec_b64 s[40:41], vcc
	s_cbranch_execz .LBB6_15276
; %bb.15273:                            ;   in Loop: Header=BB6_14344 Depth=3
	v_and_b32_e32 v14, 0x7f, v33
	v_cmp_ne_u32_e32 vcc, s83, v14
	v_mov_b32_e32 v1, 0x7f800001
	s_and_saveexec_b64 s[50:51], vcc
	s_cbranch_execz .LBB6_15275
; %bb.15274:                            ;   in Loop: Header=BB6_14344 Depth=3
	v_and_b32_e32 v15, 7, v0
	v_ffbh_u32_e32 v1, v15
	v_lshrrev_b32_e32 v16, 3, v14
	v_cmp_gt_u32_e32 vcc, 8, v14
	v_min_u32_e32 v14, 32, v1
	v_subrev_u32_e32 v1, 28, v14
	v_lshlrev_b64 v[0:1], v1, v[0:1]
	v_sub_u32_e32 v1, 29, v14
	v_and_b32_e32 v0, 7, v0
	v_cndmask_b32_e32 v1, v16, v1, vcc
	v_cndmask_b32_e32 v0, v15, v0, vcc
	v_lshlrev_b32_e32 v14, 24, v33
	v_bfrev_b32_e32 v15, 60
	v_lshlrev_b32_e32 v0, 20, v0
	v_and_b32_e32 v14, 0x80000000, v14
	v_lshl_add_u32 v1, v1, 23, v15
	v_or3_b32 v1, v14, v1, v0
.LBB6_15275:                            ;   in Loop: Header=BB6_14344 Depth=3
	s_or_b64 exec, exec, s[50:51]
.LBB6_15276:                            ;   in Loop: Header=BB6_14344 Depth=3
	s_or_b64 exec, exec, s[40:41]
.LBB6_15277:                            ;   in Loop: Header=BB6_14344 Depth=3
	s_or_b64 exec, exec, s[48:49]
	v_and_b32_e32 v0, 0xff, v60
	v_cmp_ne_u16_e32 vcc, 0, v0
	s_and_saveexec_b64 s[40:41], vcc
	s_cbranch_execz .LBB6_15283
; %bb.15278:                            ;   in Loop: Header=BB6_14344 Depth=3
	v_cmp_ne_u16_e32 vcc, s82, v0
	v_bfrev_b32_e32 v2, 1
	s_and_saveexec_b64 s[48:49], vcc
	s_cbranch_execz .LBB6_15282
; %bb.15279:                            ;   in Loop: Header=BB6_14344 Depth=3
	v_and_b32_e32 v14, 0x7f, v60
	v_cmp_ne_u32_e32 vcc, s83, v14
	v_mov_b32_e32 v2, 0x7f800001
	s_and_saveexec_b64 s[50:51], vcc
	s_cbranch_execz .LBB6_15281
; %bb.15280:                            ;   in Loop: Header=BB6_14344 Depth=3
	v_and_b32_e32 v2, 7, v0
	v_lshrrev_b32_e32 v16, 3, v14
	v_cmp_gt_u32_e32 vcc, 8, v14
	v_ffbh_u32_e32 v14, v2
	v_min_u32_e32 v17, 32, v14
	v_subrev_u32_e32 v14, 28, v17
	v_lshlrev_b64 v[14:15], v14, v[0:1]
	v_sub_u32_e32 v0, 29, v17
	v_and_b32_e32 v14, 7, v14
	v_cndmask_b32_e32 v0, v16, v0, vcc
	v_cndmask_b32_e32 v2, v2, v14, vcc
	v_lshlrev_b32_e32 v14, 24, v60
	v_bfrev_b32_e32 v15, 60
	v_lshlrev_b32_e32 v2, 20, v2
	v_and_b32_e32 v14, 0x80000000, v14
	v_lshl_add_u32 v0, v0, 23, v15
	v_or3_b32 v2, v14, v0, v2
.LBB6_15281:                            ;   in Loop: Header=BB6_14344 Depth=3
	s_or_b64 exec, exec, s[50:51]
.LBB6_15282:                            ;   in Loop: Header=BB6_14344 Depth=3
	s_or_b64 exec, exec, s[48:49]
.LBB6_15283:                            ;   in Loop: Header=BB6_14344 Depth=3
	s_or_b64 exec, exec, s[40:41]
	v_max_f32_e32 v0, v2, v2
	v_max_f32_e32 v1, v1, v1
	v_min_f32_e32 v1, v1, v0
.LBB6_15284:                            ;   in Loop: Header=BB6_14344 Depth=3
	v_and_b32_e32 v52, 0x7f800000, v1
	v_cmp_ne_u64_e32 vcc, s[76:77], v[52:53]
                                        ; implicit-def: $vgpr14
	s_mov_b64 s[40:41], exec
	buffer_load_dword v25, off, s[0:3], s33 offset:136 ; 4-byte Folded Reload
	buffer_load_dword v24, off, s[0:3], s33 offset:140 ; 4-byte Folded Reload
	;; [unrolled: 1-line block ×3, first 2 shown]
	s_and_b64 vcc, s[40:41], vcc
	s_xor_b64 s[48:49], vcc, s[40:41]
	s_mov_b64 exec, vcc
	s_cbranch_execz .LBB6_15302
; %bb.15285:                            ;   in Loop: Header=BB6_14344 Depth=3
	v_and_b32_e32 v52, 0x7fffffff, v1
	v_cmp_gt_u64_e32 vcc, s[78:79], v[52:53]
	v_and_b32_sdwa v15, v1, s82 dst_sel:DWORD dst_unused:UNUSED_PAD src0_sel:BYTE_3 src1_sel:DWORD
                                        ; implicit-def: $vgpr14
	s_and_saveexec_b64 s[40:41], vcc
	s_xor_b64 s[50:51], exec, s[40:41]
	s_cbranch_execz .LBB6_15299
; %bb.15286:                            ;   in Loop: Header=BB6_14344 Depth=3
	v_cmp_ne_u32_e32 vcc, 0, v1
	v_mov_b32_e32 v14, 0
	s_and_saveexec_b64 s[52:53], vcc
	s_cbranch_execz .LBB6_15298
; %bb.15287:                            ;   in Loop: Header=BB6_14344 Depth=3
	v_bfe_u32 v14, v1, 23, 8
	v_and_b32_e32 v0, 0x7fffff, v1
	v_cmp_gt_u32_e64 s[40:41], s85, v14
	v_sub_u32_e32 v1, 0x79, v14
	v_cmp_eq_u32_e32 vcc, 0, v14
	v_cndmask_b32_e64 v1, 0, v1, s[40:41]
	v_mov_b32_e32 v16, 0x78
	v_or_b32_e32 v2, 0x800000, v0
	v_cndmask_b32_e32 v16, v1, v16, vcc
	v_cndmask_b32_e32 v52, v2, v0, vcc
	v_add_u32_e32 v0, 20, v16
	v_lshlrev_b64 v[0:1], v0, -1
	v_add_u32_e32 v2, 19, v16
	v_lshlrev_b64 v[17:18], v2, 1
	v_bfi_b32 v1, v1, 0, 0
	v_bfi_b32 v0, v0, 0, v52
	v_cmp_eq_u64_e64 s[40:41], v[0:1], v[17:18]
	v_lshrrev_b64 v[0:1], v16, v[52:53]
	v_mov_b32_e32 v2, v1
	v_mov_b32_e32 v1, v0
	s_and_saveexec_b64 s[54:55], s[40:41]
; %bb.15288:                            ;   in Loop: Header=BB6_14344 Depth=3
	v_bfe_u32 v1, v0, 20, 1
	v_add_co_u32_e64 v1, s[40:41], v0, v1
	v_add_co_u32_e64 v1, s[40:41], -1, v1
; %bb.15289:                            ;   in Loop: Header=BB6_14344 Depth=3
	s_or_b64 exec, exec, s[54:55]
	v_add_u32_e32 v2, 0xffffff81, v14
	v_mov_b32_e32 v14, 0xffffff82
	v_cndmask_b32_e32 v2, v2, v14, vcc
	v_lshrrev_b32_e32 v14, 23, v0
	v_add3_u32 v16, v16, v2, v14
	v_add_u32_e32 v14, 6, v16
	v_and_b32_e32 v1, 0xfffff, v1
	v_add_u32_e32 v52, v1, v0
	v_cmp_ne_u32_e32 vcc, 0, v14
                                        ; implicit-def: $vgpr0_vgpr1
                                        ; implicit-def: $vgpr2
	s_and_saveexec_b64 s[40:41], vcc
	s_xor_b64 s[40:41], exec, s[40:41]
; %bb.15290:                            ;   in Loop: Header=BB6_14344 Depth=3
	v_cmp_lt_u64_e32 vcc, s[88:89], v[52:53]
	v_add_u32_e32 v0, 7, v16
	v_cndmask_b32_e32 v2, v14, v0, vcc
	v_cndmask_b32_e64 v0, 0, 1, vcc
	v_lshrrev_b64 v[0:1], v0, v[52:53]
; %bb.15291:                            ;   in Loop: Header=BB6_14344 Depth=3
	s_andn2_saveexec_b64 s[40:41], s[40:41]
; %bb.15292:                            ;   in Loop: Header=BB6_14344 Depth=3
	v_mov_b32_e32 v0, v52
	v_bfe_u32 v2, v52, 23, 1
	v_mov_b32_e32 v1, v53
; %bb.15293:                            ;   in Loop: Header=BB6_14344 Depth=3
	s_or_b64 exec, exec, s[40:41]
	v_lshrrev_b64 v[0:1], 20, v[0:1]
	v_cmp_gt_i32_e32 vcc, 16, v2
	v_cndmask_b32_e32 v1, 0, v1, vcc
	v_cndmask_b32_e32 v0, 7, v0, vcc
	v_cmp_ne_u64_e32 vcc, 0, v[0:1]
	v_cmp_ne_u32_e64 s[40:41], 0, v2
	s_or_b64 s[40:41], s[40:41], vcc
                                        ; implicit-def: $vgpr14
	s_and_saveexec_b64 vcc, s[40:41]
	s_xor_b64 s[40:41], exec, vcc
; %bb.15294:                            ;   in Loop: Header=BB6_14344 Depth=3
	v_min_i32_e32 v1, 15, v2
	v_lshl_or_b32 v1, v1, 3, v15
	v_and_or_b32 v14, v0, 7, v1
                                        ; implicit-def: $vgpr15
; %bb.15295:                            ;   in Loop: Header=BB6_14344 Depth=3
	s_andn2_saveexec_b64 s[40:41], s[40:41]
; %bb.15296:                            ;   in Loop: Header=BB6_14344 Depth=3
	v_mov_b32_e32 v14, v15
; %bb.15297:                            ;   in Loop: Header=BB6_14344 Depth=3
	s_or_b64 exec, exec, s[40:41]
.LBB6_15298:                            ;   in Loop: Header=BB6_14344 Depth=3
	s_or_b64 exec, exec, s[52:53]
                                        ; implicit-def: $vgpr15
.LBB6_15299:                            ;   in Loop: Header=BB6_14344 Depth=3
	s_andn2_saveexec_b64 s[40:41], s[50:51]
; %bb.15300:                            ;   in Loop: Header=BB6_14344 Depth=3
	v_or_b32_e32 v14, 0x7e, v15
; %bb.15301:                            ;   in Loop: Header=BB6_14344 Depth=3
	s_or_b64 exec, exec, s[40:41]
                                        ; implicit-def: $vgpr1
.LBB6_15302:                            ;   in Loop: Header=BB6_14344 Depth=3
	s_andn2_saveexec_b64 s[40:41], s[48:49]
; %bb.15303:                            ;   in Loop: Header=BB6_14344 Depth=3
	v_or_b32_sdwa v14, v1, s83 dst_sel:DWORD dst_unused:UNUSED_PAD src0_sel:BYTE_3 src1_sel:DWORD
; %bb.15304:                            ;   in Loop: Header=BB6_14344 Depth=3
	s_or_b64 exec, exec, s[40:41]
	buffer_load_dword v0, off, s[0:3], s33 offset:104 ; 4-byte Folded Reload
	s_and_b64 vcc, exec, s[28:29]
	s_mov_b64 s[48:49], -1
                                        ; implicit-def: $vgpr1
	s_waitcnt vmcnt(0)
	v_and_b32_e32 v0, 0xff, v0
	v_cmp_ne_u16_e64 s[40:41], 0, v0
	s_cbranch_vccnz .LBB6_15318
; %bb.15305:                            ;   in Loop: Header=BB6_14344 Depth=3
	v_mov_b32_e32 v15, 0
	v_mov_b32_e32 v2, 0
	s_and_saveexec_b64 s[48:49], s[40:41]
	s_cbranch_execz .LBB6_15311
; %bb.15306:                            ;   in Loop: Header=BB6_14344 Depth=3
	v_cmp_ne_u16_e32 vcc, s82, v0
	v_bfrev_b32_e32 v2, 1
	s_and_saveexec_b64 s[50:51], vcc
	s_cbranch_execz .LBB6_15310
; %bb.15307:                            ;   in Loop: Header=BB6_14344 Depth=3
	buffer_load_dword v1, off, s[0:3], s33 offset:104 ; 4-byte Folded Reload
	v_mov_b32_e32 v2, 0x7f800001
	s_waitcnt vmcnt(0)
	v_and_b32_e32 v1, 0x7f, v1
	v_cmp_ne_u32_e32 vcc, s83, v1
	s_and_saveexec_b64 s[52:53], vcc
	s_cbranch_execz .LBB6_15309
; %bb.15308:                            ;   in Loop: Header=BB6_14344 Depth=3
	v_and_b32_e32 v16, 7, v0
	v_lshrrev_b32_e32 v17, 3, v1
	v_cmp_gt_u32_e32 vcc, 8, v1
	v_ffbh_u32_e32 v1, v16
	v_min_u32_e32 v18, 32, v1
	v_subrev_u32_e32 v1, 28, v18
	v_lshlrev_b64 v[1:2], v1, v[0:1]
	v_sub_u32_e32 v2, 29, v18
	v_and_b32_e32 v1, 7, v1
	v_cndmask_b32_e32 v1, v16, v1, vcc
	buffer_load_dword v16, off, s[0:3], s33 offset:104 ; 4-byte Folded Reload
	v_cndmask_b32_e32 v2, v17, v2, vcc
	v_bfrev_b32_e32 v17, 60
	v_lshlrev_b32_e32 v1, 20, v1
	v_lshl_add_u32 v2, v2, 23, v17
	s_waitcnt vmcnt(0)
	v_lshlrev_b32_e32 v16, 24, v16
	v_and_b32_e32 v16, 0x80000000, v16
	v_or3_b32 v2, v16, v2, v1
.LBB6_15309:                            ;   in Loop: Header=BB6_14344 Depth=3
	s_or_b64 exec, exec, s[52:53]
.LBB6_15310:                            ;   in Loop: Header=BB6_14344 Depth=3
	s_or_b64 exec, exec, s[50:51]
.LBB6_15311:                            ;   in Loop: Header=BB6_14344 Depth=3
	s_or_b64 exec, exec, s[48:49]
	v_and_b32_e32 v1, 0xff, v59
	v_cmp_ne_u16_e32 vcc, 0, v1
	s_and_saveexec_b64 s[48:49], vcc
	s_cbranch_execz .LBB6_15317
; %bb.15312:                            ;   in Loop: Header=BB6_14344 Depth=3
	v_cmp_ne_u16_e32 vcc, s82, v1
	v_bfrev_b32_e32 v15, 1
	s_and_saveexec_b64 s[50:51], vcc
	s_cbranch_execz .LBB6_15316
; %bb.15313:                            ;   in Loop: Header=BB6_14344 Depth=3
	v_and_b32_e32 v16, 0x7f, v59
	v_cmp_ne_u32_e32 vcc, s83, v16
	v_mov_b32_e32 v15, 0x7f800001
	s_and_saveexec_b64 s[52:53], vcc
	s_cbranch_execz .LBB6_15315
; %bb.15314:                            ;   in Loop: Header=BB6_14344 Depth=3
	v_and_b32_e32 v17, 7, v1
	v_ffbh_u32_e32 v15, v17
	v_min_u32_e32 v19, 32, v15
	v_subrev_u32_e32 v15, 28, v19
	v_lshrrev_b32_e32 v18, 3, v16
	v_cmp_gt_u32_e32 vcc, 8, v16
	v_lshlrev_b64 v[15:16], v15, v[1:2]
	v_sub_u32_e32 v1, 29, v19
	v_and_b32_e32 v15, 7, v15
	v_cndmask_b32_e32 v1, v18, v1, vcc
	v_cndmask_b32_e32 v15, v17, v15, vcc
	v_lshlrev_b32_e32 v16, 24, v59
	v_bfrev_b32_e32 v17, 60
	v_lshlrev_b32_e32 v15, 20, v15
	v_and_b32_e32 v16, 0x80000000, v16
	v_lshl_add_u32 v1, v1, 23, v17
	v_or3_b32 v15, v16, v1, v15
.LBB6_15315:                            ;   in Loop: Header=BB6_14344 Depth=3
	s_or_b64 exec, exec, s[52:53]
.LBB6_15316:                            ;   in Loop: Header=BB6_14344 Depth=3
	s_or_b64 exec, exec, s[50:51]
.LBB6_15317:                            ;   in Loop: Header=BB6_14344 Depth=3
	s_or_b64 exec, exec, s[48:49]
	v_max_f32_e32 v1, v15, v15
	v_max_f32_e32 v2, v2, v2
	;; [unrolled: 1-line block ×3, first 2 shown]
	s_mov_b64 s[48:49], 0
.LBB6_15318:                            ;   in Loop: Header=BB6_14344 Depth=3
	s_and_b64 vcc, exec, s[48:49]
	s_cbranch_vccz .LBB6_15332
; %bb.15319:                            ;   in Loop: Header=BB6_14344 Depth=3
	v_mov_b32_e32 v2, 0
	v_mov_b32_e32 v1, 0
	s_and_saveexec_b64 s[48:49], s[40:41]
	s_cbranch_execz .LBB6_15325
; %bb.15320:                            ;   in Loop: Header=BB6_14344 Depth=3
	v_cmp_ne_u16_e32 vcc, s82, v0
	v_bfrev_b32_e32 v1, 1
	s_and_saveexec_b64 s[40:41], vcc
	s_cbranch_execz .LBB6_15324
; %bb.15321:                            ;   in Loop: Header=BB6_14344 Depth=3
	buffer_load_dword v1, off, s[0:3], s33 offset:104 ; 4-byte Folded Reload
	s_waitcnt vmcnt(0)
	v_and_b32_e32 v15, 0x7f, v1
	v_cmp_ne_u32_e32 vcc, s83, v15
	v_mov_b32_e32 v1, 0x7f800001
	s_and_saveexec_b64 s[50:51], vcc
	s_cbranch_execz .LBB6_15323
; %bb.15322:                            ;   in Loop: Header=BB6_14344 Depth=3
	v_and_b32_e32 v16, 7, v0
	v_ffbh_u32_e32 v1, v16
	v_lshrrev_b32_e32 v17, 3, v15
	v_cmp_gt_u32_e32 vcc, 8, v15
	v_min_u32_e32 v15, 32, v1
	v_subrev_u32_e32 v1, 28, v15
	v_lshlrev_b64 v[0:1], v1, v[0:1]
	v_sub_u32_e32 v1, 29, v15
	buffer_load_dword v15, off, s[0:3], s33 offset:104 ; 4-byte Folded Reload
	v_and_b32_e32 v0, 7, v0
	v_cndmask_b32_e32 v1, v17, v1, vcc
	v_cndmask_b32_e32 v0, v16, v0, vcc
	v_bfrev_b32_e32 v16, 60
	v_lshlrev_b32_e32 v0, 20, v0
	v_lshl_add_u32 v1, v1, 23, v16
	s_waitcnt vmcnt(0)
	v_lshlrev_b32_e32 v15, 24, v15
	v_and_b32_e32 v15, 0x80000000, v15
	v_or3_b32 v1, v15, v1, v0
.LBB6_15323:                            ;   in Loop: Header=BB6_14344 Depth=3
	s_or_b64 exec, exec, s[50:51]
.LBB6_15324:                            ;   in Loop: Header=BB6_14344 Depth=3
	s_or_b64 exec, exec, s[40:41]
.LBB6_15325:                            ;   in Loop: Header=BB6_14344 Depth=3
	s_or_b64 exec, exec, s[48:49]
	v_and_b32_e32 v0, 0xff, v59
	v_cmp_ne_u16_e32 vcc, 0, v0
	s_and_saveexec_b64 s[40:41], vcc
	s_cbranch_execz .LBB6_15331
; %bb.15326:                            ;   in Loop: Header=BB6_14344 Depth=3
	v_cmp_ne_u16_e32 vcc, s82, v0
	v_bfrev_b32_e32 v2, 1
	s_and_saveexec_b64 s[48:49], vcc
	s_cbranch_execz .LBB6_15330
; %bb.15327:                            ;   in Loop: Header=BB6_14344 Depth=3
	v_and_b32_e32 v15, 0x7f, v59
	v_cmp_ne_u32_e32 vcc, s83, v15
	v_mov_b32_e32 v2, 0x7f800001
	s_and_saveexec_b64 s[50:51], vcc
	s_cbranch_execz .LBB6_15329
; %bb.15328:                            ;   in Loop: Header=BB6_14344 Depth=3
	v_and_b32_e32 v2, 7, v0
	v_lshrrev_b32_e32 v17, 3, v15
	v_cmp_gt_u32_e32 vcc, 8, v15
	v_ffbh_u32_e32 v15, v2
	v_min_u32_e32 v18, 32, v15
	v_subrev_u32_e32 v15, 28, v18
	v_lshlrev_b64 v[15:16], v15, v[0:1]
	v_sub_u32_e32 v0, 29, v18
	v_and_b32_e32 v15, 7, v15
	v_cndmask_b32_e32 v0, v17, v0, vcc
	v_cndmask_b32_e32 v2, v2, v15, vcc
	v_lshlrev_b32_e32 v15, 24, v59
	v_bfrev_b32_e32 v16, 60
	v_lshlrev_b32_e32 v2, 20, v2
	v_and_b32_e32 v15, 0x80000000, v15
	v_lshl_add_u32 v0, v0, 23, v16
	v_or3_b32 v2, v15, v0, v2
.LBB6_15329:                            ;   in Loop: Header=BB6_14344 Depth=3
	s_or_b64 exec, exec, s[50:51]
.LBB6_15330:                            ;   in Loop: Header=BB6_14344 Depth=3
	s_or_b64 exec, exec, s[48:49]
.LBB6_15331:                            ;   in Loop: Header=BB6_14344 Depth=3
	s_or_b64 exec, exec, s[40:41]
	v_max_f32_e32 v0, v2, v2
	v_max_f32_e32 v1, v1, v1
	v_min_f32_e32 v1, v1, v0
.LBB6_15332:                            ;   in Loop: Header=BB6_14344 Depth=3
	v_mov_b32_e32 v45, v30
	v_mov_b32_e32 v40, v31
	v_and_b32_e32 v52, 0x7f800000, v1
	v_cmp_ne_u64_e32 vcc, s[76:77], v[52:53]
                                        ; implicit-def: $vgpr17
	s_mov_b64 s[40:41], exec
	buffer_load_dword v30, off, s[0:3], s33 offset:108 ; 4-byte Folded Reload
	buffer_load_dword v31, off, s[0:3], s33 offset:112 ; 4-byte Folded Reload
	;; [unrolled: 1-line block ×7, first 2 shown]
	s_and_b64 vcc, s[40:41], vcc
	s_xor_b64 s[48:49], vcc, s[40:41]
	s_mov_b64 exec, vcc
	s_cbranch_execz .LBB6_15350
; %bb.15333:                            ;   in Loop: Header=BB6_14344 Depth=3
	v_and_b32_e32 v52, 0x7fffffff, v1
	v_cmp_gt_u64_e32 vcc, s[78:79], v[52:53]
	v_and_b32_sdwa v15, v1, s82 dst_sel:DWORD dst_unused:UNUSED_PAD src0_sel:BYTE_3 src1_sel:DWORD
                                        ; implicit-def: $vgpr17
	s_and_saveexec_b64 s[40:41], vcc
	s_xor_b64 s[50:51], exec, s[40:41]
	s_cbranch_execz .LBB6_15347
; %bb.15334:                            ;   in Loop: Header=BB6_14344 Depth=3
	v_cmp_ne_u32_e32 vcc, 0, v1
	v_mov_b32_e32 v17, 0
	s_and_saveexec_b64 s[52:53], vcc
	s_cbranch_execz .LBB6_15346
; %bb.15335:                            ;   in Loop: Header=BB6_14344 Depth=3
	v_bfe_u32 v16, v1, 23, 8
	v_and_b32_e32 v0, 0x7fffff, v1
	v_cmp_gt_u32_e64 s[40:41], s85, v16
	v_sub_u32_e32 v1, 0x79, v16
	v_cmp_eq_u32_e32 vcc, 0, v16
	v_cndmask_b32_e64 v1, 0, v1, s[40:41]
	v_mov_b32_e32 v17, 0x78
	v_or_b32_e32 v2, 0x800000, v0
	v_cndmask_b32_e32 v17, v1, v17, vcc
	v_cndmask_b32_e32 v52, v2, v0, vcc
	v_add_u32_e32 v0, 20, v17
	v_lshlrev_b64 v[0:1], v0, -1
	v_add_u32_e32 v2, 19, v17
	v_lshlrev_b64 v[18:19], v2, 1
	v_bfi_b32 v1, v1, 0, 0
	v_bfi_b32 v0, v0, 0, v52
	v_cmp_eq_u64_e64 s[40:41], v[0:1], v[18:19]
	v_lshrrev_b64 v[0:1], v17, v[52:53]
	v_mov_b32_e32 v2, v1
	v_mov_b32_e32 v1, v0
	s_and_saveexec_b64 s[54:55], s[40:41]
; %bb.15336:                            ;   in Loop: Header=BB6_14344 Depth=3
	v_bfe_u32 v1, v0, 20, 1
	v_add_co_u32_e64 v1, s[40:41], v0, v1
	v_add_co_u32_e64 v1, s[40:41], -1, v1
; %bb.15337:                            ;   in Loop: Header=BB6_14344 Depth=3
	s_or_b64 exec, exec, s[54:55]
	v_add_u32_e32 v2, 0xffffff81, v16
	v_mov_b32_e32 v16, 0xffffff82
	v_cndmask_b32_e32 v2, v2, v16, vcc
	v_lshrrev_b32_e32 v16, 23, v0
	v_add3_u32 v17, v17, v2, v16
	v_add_u32_e32 v16, 6, v17
	v_and_b32_e32 v1, 0xfffff, v1
	v_add_u32_e32 v52, v1, v0
	v_cmp_ne_u32_e32 vcc, 0, v16
                                        ; implicit-def: $vgpr0_vgpr1
                                        ; implicit-def: $vgpr2
	s_and_saveexec_b64 s[40:41], vcc
	s_xor_b64 s[40:41], exec, s[40:41]
; %bb.15338:                            ;   in Loop: Header=BB6_14344 Depth=3
	v_cmp_lt_u64_e32 vcc, s[88:89], v[52:53]
	v_add_u32_e32 v0, 7, v17
	v_cndmask_b32_e32 v2, v16, v0, vcc
	v_cndmask_b32_e64 v0, 0, 1, vcc
	v_lshrrev_b64 v[0:1], v0, v[52:53]
; %bb.15339:                            ;   in Loop: Header=BB6_14344 Depth=3
	s_andn2_saveexec_b64 s[40:41], s[40:41]
; %bb.15340:                            ;   in Loop: Header=BB6_14344 Depth=3
	v_mov_b32_e32 v0, v52
	v_bfe_u32 v2, v52, 23, 1
	v_mov_b32_e32 v1, v53
; %bb.15341:                            ;   in Loop: Header=BB6_14344 Depth=3
	s_or_b64 exec, exec, s[40:41]
	v_lshrrev_b64 v[0:1], 20, v[0:1]
	v_cmp_gt_i32_e32 vcc, 16, v2
	v_cndmask_b32_e32 v1, 0, v1, vcc
	v_cndmask_b32_e32 v0, 7, v0, vcc
	v_cmp_ne_u64_e32 vcc, 0, v[0:1]
	v_cmp_ne_u32_e64 s[40:41], 0, v2
	s_or_b64 s[40:41], s[40:41], vcc
                                        ; implicit-def: $vgpr17
	s_and_saveexec_b64 vcc, s[40:41]
	s_xor_b64 s[40:41], exec, vcc
; %bb.15342:                            ;   in Loop: Header=BB6_14344 Depth=3
	v_min_i32_e32 v1, 15, v2
	v_lshl_or_b32 v1, v1, 3, v15
	v_and_or_b32 v17, v0, 7, v1
                                        ; implicit-def: $vgpr15
; %bb.15343:                            ;   in Loop: Header=BB6_14344 Depth=3
	s_andn2_saveexec_b64 s[40:41], s[40:41]
; %bb.15344:                            ;   in Loop: Header=BB6_14344 Depth=3
	v_mov_b32_e32 v17, v15
; %bb.15345:                            ;   in Loop: Header=BB6_14344 Depth=3
	s_or_b64 exec, exec, s[40:41]
.LBB6_15346:                            ;   in Loop: Header=BB6_14344 Depth=3
	s_or_b64 exec, exec, s[52:53]
                                        ; implicit-def: $vgpr15
.LBB6_15347:                            ;   in Loop: Header=BB6_14344 Depth=3
	s_andn2_saveexec_b64 s[40:41], s[50:51]
; %bb.15348:                            ;   in Loop: Header=BB6_14344 Depth=3
	v_or_b32_e32 v17, 0x7e, v15
; %bb.15349:                            ;   in Loop: Header=BB6_14344 Depth=3
	s_or_b64 exec, exec, s[40:41]
                                        ; implicit-def: $vgpr1
.LBB6_15350:                            ;   in Loop: Header=BB6_14344 Depth=3
	s_andn2_saveexec_b64 s[40:41], s[48:49]
; %bb.15351:                            ;   in Loop: Header=BB6_14344 Depth=3
	v_or_b32_sdwa v17, v1, s83 dst_sel:DWORD dst_unused:UNUSED_PAD src0_sel:BYTE_3 src1_sel:DWORD
; %bb.15352:                            ;   in Loop: Header=BB6_14344 Depth=3
	s_or_b64 exec, exec, s[40:41]
	v_and_b32_e32 v0, 0xff, v57
	v_cmp_ne_u16_e64 s[40:41], 0, v0
	s_and_b64 vcc, exec, s[28:29]
	s_mov_b64 s[48:49], -1
                                        ; implicit-def: $vgpr1
	s_cbranch_vccnz .LBB6_15366
; %bb.15353:                            ;   in Loop: Header=BB6_14344 Depth=3
	v_mov_b32_e32 v15, 0
	v_mov_b32_e32 v2, 0
	s_and_saveexec_b64 s[48:49], s[40:41]
	s_cbranch_execz .LBB6_15359
; %bb.15354:                            ;   in Loop: Header=BB6_14344 Depth=3
	v_cmp_ne_u16_e32 vcc, s82, v0
	v_bfrev_b32_e32 v2, 1
	s_and_saveexec_b64 s[50:51], vcc
	s_cbranch_execz .LBB6_15358
; %bb.15355:                            ;   in Loop: Header=BB6_14344 Depth=3
	v_and_b32_e32 v1, 0x7f, v57
	v_cmp_ne_u32_e32 vcc, s83, v1
	v_mov_b32_e32 v2, 0x7f800001
	s_and_saveexec_b64 s[52:53], vcc
	s_cbranch_execz .LBB6_15357
; %bb.15356:                            ;   in Loop: Header=BB6_14344 Depth=3
	v_and_b32_e32 v16, 7, v0
	v_lshrrev_b32_e32 v18, 3, v1
	v_cmp_gt_u32_e32 vcc, 8, v1
	v_ffbh_u32_e32 v1, v16
	v_min_u32_e32 v19, 32, v1
	v_subrev_u32_e32 v1, 28, v19
	v_lshlrev_b64 v[1:2], v1, v[0:1]
	v_sub_u32_e32 v2, 29, v19
	v_and_b32_e32 v1, 7, v1
	v_cndmask_b32_e32 v2, v18, v2, vcc
	v_cndmask_b32_e32 v1, v16, v1, vcc
	v_lshlrev_b32_e32 v16, 24, v57
	v_bfrev_b32_e32 v18, 60
	v_lshlrev_b32_e32 v1, 20, v1
	v_and_b32_e32 v16, 0x80000000, v16
	v_lshl_add_u32 v2, v2, 23, v18
	v_or3_b32 v2, v16, v2, v1
.LBB6_15357:                            ;   in Loop: Header=BB6_14344 Depth=3
	s_or_b64 exec, exec, s[52:53]
.LBB6_15358:                            ;   in Loop: Header=BB6_14344 Depth=3
	s_or_b64 exec, exec, s[50:51]
.LBB6_15359:                            ;   in Loop: Header=BB6_14344 Depth=3
	s_or_b64 exec, exec, s[48:49]
	v_and_b32_e32 v1, 0xff, v21
	v_cmp_ne_u16_e32 vcc, 0, v1
	s_and_saveexec_b64 s[48:49], vcc
	s_cbranch_execz .LBB6_15365
; %bb.15360:                            ;   in Loop: Header=BB6_14344 Depth=3
	v_cmp_ne_u16_e32 vcc, s82, v1
	v_bfrev_b32_e32 v15, 1
	s_and_saveexec_b64 s[50:51], vcc
	s_cbranch_execz .LBB6_15364
; %bb.15361:                            ;   in Loop: Header=BB6_14344 Depth=3
	v_and_b32_e32 v16, 0x7f, v21
	v_cmp_ne_u32_e32 vcc, s83, v16
	v_mov_b32_e32 v15, 0x7f800001
	s_and_saveexec_b64 s[52:53], vcc
	s_cbranch_execz .LBB6_15363
; %bb.15362:                            ;   in Loop: Header=BB6_14344 Depth=3
	v_and_b32_e32 v18, 7, v1
	v_ffbh_u32_e32 v15, v18
	v_min_u32_e32 v20, 32, v15
	v_subrev_u32_e32 v15, 28, v20
	v_lshrrev_b32_e32 v19, 3, v16
	v_cmp_gt_u32_e32 vcc, 8, v16
	v_lshlrev_b64 v[15:16], v15, v[1:2]
	v_sub_u32_e32 v1, 29, v20
	v_and_b32_e32 v15, 7, v15
	v_cndmask_b32_e32 v1, v19, v1, vcc
	v_cndmask_b32_e32 v15, v18, v15, vcc
	v_lshlrev_b32_e32 v16, 24, v21
	v_bfrev_b32_e32 v18, 60
	v_lshlrev_b32_e32 v15, 20, v15
	v_and_b32_e32 v16, 0x80000000, v16
	v_lshl_add_u32 v1, v1, 23, v18
	v_or3_b32 v15, v16, v1, v15
.LBB6_15363:                            ;   in Loop: Header=BB6_14344 Depth=3
	s_or_b64 exec, exec, s[52:53]
.LBB6_15364:                            ;   in Loop: Header=BB6_14344 Depth=3
	s_or_b64 exec, exec, s[50:51]
.LBB6_15365:                            ;   in Loop: Header=BB6_14344 Depth=3
	s_or_b64 exec, exec, s[48:49]
	v_max_f32_e32 v1, v15, v15
	v_max_f32_e32 v2, v2, v2
	;; [unrolled: 1-line block ×3, first 2 shown]
	s_mov_b64 s[48:49], 0
.LBB6_15366:                            ;   in Loop: Header=BB6_14344 Depth=3
	s_and_b64 vcc, exec, s[48:49]
	s_cbranch_vccz .LBB6_15380
; %bb.15367:                            ;   in Loop: Header=BB6_14344 Depth=3
	v_mov_b32_e32 v2, 0
	v_mov_b32_e32 v1, 0
	s_and_saveexec_b64 s[48:49], s[40:41]
	s_cbranch_execz .LBB6_15373
; %bb.15368:                            ;   in Loop: Header=BB6_14344 Depth=3
	v_cmp_ne_u16_e32 vcc, s82, v0
	v_bfrev_b32_e32 v1, 1
	s_and_saveexec_b64 s[40:41], vcc
	s_cbranch_execz .LBB6_15372
; %bb.15369:                            ;   in Loop: Header=BB6_14344 Depth=3
	v_and_b32_e32 v15, 0x7f, v57
	v_cmp_ne_u32_e32 vcc, s83, v15
	v_mov_b32_e32 v1, 0x7f800001
	s_and_saveexec_b64 s[50:51], vcc
	s_cbranch_execz .LBB6_15371
; %bb.15370:                            ;   in Loop: Header=BB6_14344 Depth=3
	v_and_b32_e32 v16, 7, v0
	v_ffbh_u32_e32 v1, v16
	v_lshrrev_b32_e32 v18, 3, v15
	v_cmp_gt_u32_e32 vcc, 8, v15
	v_min_u32_e32 v15, 32, v1
	v_subrev_u32_e32 v1, 28, v15
	v_lshlrev_b64 v[0:1], v1, v[0:1]
	v_sub_u32_e32 v1, 29, v15
	v_and_b32_e32 v0, 7, v0
	v_cndmask_b32_e32 v1, v18, v1, vcc
	v_cndmask_b32_e32 v0, v16, v0, vcc
	v_lshlrev_b32_e32 v15, 24, v57
	v_bfrev_b32_e32 v16, 60
	v_lshlrev_b32_e32 v0, 20, v0
	v_and_b32_e32 v15, 0x80000000, v15
	v_lshl_add_u32 v1, v1, 23, v16
	v_or3_b32 v1, v15, v1, v0
.LBB6_15371:                            ;   in Loop: Header=BB6_14344 Depth=3
	s_or_b64 exec, exec, s[50:51]
.LBB6_15372:                            ;   in Loop: Header=BB6_14344 Depth=3
	s_or_b64 exec, exec, s[40:41]
.LBB6_15373:                            ;   in Loop: Header=BB6_14344 Depth=3
	s_or_b64 exec, exec, s[48:49]
	v_and_b32_e32 v0, 0xff, v21
	v_cmp_ne_u16_e32 vcc, 0, v0
	s_and_saveexec_b64 s[40:41], vcc
	s_cbranch_execz .LBB6_15379
; %bb.15374:                            ;   in Loop: Header=BB6_14344 Depth=3
	v_cmp_ne_u16_e32 vcc, s82, v0
	v_bfrev_b32_e32 v2, 1
	s_and_saveexec_b64 s[48:49], vcc
	s_cbranch_execz .LBB6_15378
; %bb.15375:                            ;   in Loop: Header=BB6_14344 Depth=3
	v_and_b32_e32 v15, 0x7f, v21
	v_cmp_ne_u32_e32 vcc, s83, v15
	v_mov_b32_e32 v2, 0x7f800001
	s_and_saveexec_b64 s[50:51], vcc
	s_cbranch_execz .LBB6_15377
; %bb.15376:                            ;   in Loop: Header=BB6_14344 Depth=3
	v_and_b32_e32 v2, 7, v0
	v_lshrrev_b32_e32 v18, 3, v15
	v_cmp_gt_u32_e32 vcc, 8, v15
	v_ffbh_u32_e32 v15, v2
	v_min_u32_e32 v19, 32, v15
	v_subrev_u32_e32 v15, 28, v19
	v_lshlrev_b64 v[15:16], v15, v[0:1]
	v_sub_u32_e32 v0, 29, v19
	v_and_b32_e32 v15, 7, v15
	v_cndmask_b32_e32 v0, v18, v0, vcc
	v_cndmask_b32_e32 v2, v2, v15, vcc
	v_lshlrev_b32_e32 v15, 24, v21
	v_bfrev_b32_e32 v16, 60
	v_lshlrev_b32_e32 v2, 20, v2
	v_and_b32_e32 v15, 0x80000000, v15
	v_lshl_add_u32 v0, v0, 23, v16
	v_or3_b32 v2, v15, v0, v2
.LBB6_15377:                            ;   in Loop: Header=BB6_14344 Depth=3
	s_or_b64 exec, exec, s[50:51]
.LBB6_15378:                            ;   in Loop: Header=BB6_14344 Depth=3
	s_or_b64 exec, exec, s[48:49]
.LBB6_15379:                            ;   in Loop: Header=BB6_14344 Depth=3
	s_or_b64 exec, exec, s[40:41]
	v_max_f32_e32 v0, v2, v2
	v_max_f32_e32 v1, v1, v1
	v_min_f32_e32 v1, v1, v0
.LBB6_15380:                            ;   in Loop: Header=BB6_14344 Depth=3
	v_and_b32_e32 v52, 0x7f800000, v1
	v_cmp_ne_u64_e32 vcc, s[76:77], v[52:53]
                                        ; implicit-def: $vgpr20
	s_and_saveexec_b64 s[40:41], vcc
	s_xor_b64 s[48:49], exec, s[40:41]
	s_cbranch_execz .LBB6_15398
; %bb.15381:                            ;   in Loop: Header=BB6_14344 Depth=3
	v_and_b32_e32 v52, 0x7fffffff, v1
	v_cmp_gt_u64_e32 vcc, s[78:79], v[52:53]
	v_and_b32_sdwa v15, v1, s82 dst_sel:DWORD dst_unused:UNUSED_PAD src0_sel:BYTE_3 src1_sel:DWORD
                                        ; implicit-def: $vgpr20
	s_and_saveexec_b64 s[40:41], vcc
	s_xor_b64 s[50:51], exec, s[40:41]
	s_cbranch_execz .LBB6_15395
; %bb.15382:                            ;   in Loop: Header=BB6_14344 Depth=3
	v_cmp_ne_u32_e32 vcc, 0, v1
	v_mov_b32_e32 v20, 0
	s_and_saveexec_b64 s[52:53], vcc
	s_cbranch_execz .LBB6_15394
; %bb.15383:                            ;   in Loop: Header=BB6_14344 Depth=3
	v_bfe_u32 v16, v1, 23, 8
	v_and_b32_e32 v0, 0x7fffff, v1
	v_cmp_gt_u32_e64 s[40:41], s85, v16
	v_sub_u32_e32 v1, 0x79, v16
	v_cmp_eq_u32_e32 vcc, 0, v16
	v_cndmask_b32_e64 v1, 0, v1, s[40:41]
	v_mov_b32_e32 v18, 0x78
	v_or_b32_e32 v2, 0x800000, v0
	v_cndmask_b32_e32 v18, v1, v18, vcc
	v_cndmask_b32_e32 v52, v2, v0, vcc
	v_add_u32_e32 v0, 20, v18
	v_lshlrev_b64 v[0:1], v0, -1
	v_add_u32_e32 v2, 19, v18
	v_lshlrev_b64 v[19:20], v2, 1
	v_bfi_b32 v1, v1, 0, 0
	v_bfi_b32 v0, v0, 0, v52
	v_cmp_eq_u64_e64 s[40:41], v[0:1], v[19:20]
	v_lshrrev_b64 v[0:1], v18, v[52:53]
	v_mov_b32_e32 v2, v1
	v_mov_b32_e32 v1, v0
	s_and_saveexec_b64 s[54:55], s[40:41]
; %bb.15384:                            ;   in Loop: Header=BB6_14344 Depth=3
	v_bfe_u32 v1, v0, 20, 1
	v_add_co_u32_e64 v1, s[40:41], v0, v1
	v_add_co_u32_e64 v1, s[40:41], -1, v1
; %bb.15385:                            ;   in Loop: Header=BB6_14344 Depth=3
	s_or_b64 exec, exec, s[54:55]
	v_add_u32_e32 v2, 0xffffff81, v16
	v_mov_b32_e32 v16, 0xffffff82
	v_cndmask_b32_e32 v2, v2, v16, vcc
	v_lshrrev_b32_e32 v16, 23, v0
	v_add3_u32 v18, v18, v2, v16
	v_add_u32_e32 v16, 6, v18
	v_and_b32_e32 v1, 0xfffff, v1
	v_add_u32_e32 v52, v1, v0
	v_cmp_ne_u32_e32 vcc, 0, v16
                                        ; implicit-def: $vgpr0_vgpr1
                                        ; implicit-def: $vgpr2
	s_and_saveexec_b64 s[40:41], vcc
	s_xor_b64 s[40:41], exec, s[40:41]
; %bb.15386:                            ;   in Loop: Header=BB6_14344 Depth=3
	v_cmp_lt_u64_e32 vcc, s[88:89], v[52:53]
	v_add_u32_e32 v0, 7, v18
	v_cndmask_b32_e32 v2, v16, v0, vcc
	v_cndmask_b32_e64 v0, 0, 1, vcc
	v_lshrrev_b64 v[0:1], v0, v[52:53]
; %bb.15387:                            ;   in Loop: Header=BB6_14344 Depth=3
	s_andn2_saveexec_b64 s[40:41], s[40:41]
; %bb.15388:                            ;   in Loop: Header=BB6_14344 Depth=3
	v_mov_b32_e32 v0, v52
	v_bfe_u32 v2, v52, 23, 1
	v_mov_b32_e32 v1, v53
; %bb.15389:                            ;   in Loop: Header=BB6_14344 Depth=3
	s_or_b64 exec, exec, s[40:41]
	v_lshrrev_b64 v[0:1], 20, v[0:1]
	v_cmp_gt_i32_e32 vcc, 16, v2
	v_cndmask_b32_e32 v1, 0, v1, vcc
	v_cndmask_b32_e32 v0, 7, v0, vcc
	v_cmp_ne_u64_e32 vcc, 0, v[0:1]
	v_cmp_ne_u32_e64 s[40:41], 0, v2
	s_or_b64 s[40:41], s[40:41], vcc
                                        ; implicit-def: $vgpr20
	s_and_saveexec_b64 vcc, s[40:41]
	s_xor_b64 s[40:41], exec, vcc
; %bb.15390:                            ;   in Loop: Header=BB6_14344 Depth=3
	v_min_i32_e32 v1, 15, v2
	v_lshl_or_b32 v1, v1, 3, v15
	v_and_or_b32 v20, v0, 7, v1
                                        ; implicit-def: $vgpr15
; %bb.15391:                            ;   in Loop: Header=BB6_14344 Depth=3
	s_andn2_saveexec_b64 s[40:41], s[40:41]
; %bb.15392:                            ;   in Loop: Header=BB6_14344 Depth=3
	v_mov_b32_e32 v20, v15
; %bb.15393:                            ;   in Loop: Header=BB6_14344 Depth=3
	s_or_b64 exec, exec, s[40:41]
.LBB6_15394:                            ;   in Loop: Header=BB6_14344 Depth=3
	s_or_b64 exec, exec, s[52:53]
                                        ; implicit-def: $vgpr15
.LBB6_15395:                            ;   in Loop: Header=BB6_14344 Depth=3
	s_andn2_saveexec_b64 s[40:41], s[50:51]
; %bb.15396:                            ;   in Loop: Header=BB6_14344 Depth=3
	v_or_b32_e32 v20, 0x7e, v15
; %bb.15397:                            ;   in Loop: Header=BB6_14344 Depth=3
	s_or_b64 exec, exec, s[40:41]
                                        ; implicit-def: $vgpr1
.LBB6_15398:                            ;   in Loop: Header=BB6_14344 Depth=3
	s_andn2_saveexec_b64 s[40:41], s[48:49]
; %bb.15399:                            ;   in Loop: Header=BB6_14344 Depth=3
	v_or_b32_sdwa v20, v1, s83 dst_sel:DWORD dst_unused:UNUSED_PAD src0_sel:BYTE_3 src1_sel:DWORD
; %bb.15400:                            ;   in Loop: Header=BB6_14344 Depth=3
	s_or_b64 exec, exec, s[40:41]
	v_and_b32_e32 v0, 0xff, v22
	v_cmp_ne_u16_e64 s[40:41], 0, v0
	s_and_b64 vcc, exec, s[28:29]
	s_mov_b64 s[48:49], -1
                                        ; implicit-def: $vgpr1
	s_cbranch_vccnz .LBB6_15414
; %bb.15401:                            ;   in Loop: Header=BB6_14344 Depth=3
	v_mov_b32_e32 v15, 0
	v_mov_b32_e32 v2, 0
	s_and_saveexec_b64 s[48:49], s[40:41]
	s_cbranch_execz .LBB6_15407
; %bb.15402:                            ;   in Loop: Header=BB6_14344 Depth=3
	v_cmp_ne_u16_e32 vcc, s82, v0
	v_bfrev_b32_e32 v2, 1
	s_and_saveexec_b64 s[50:51], vcc
	s_cbranch_execz .LBB6_15406
; %bb.15403:                            ;   in Loop: Header=BB6_14344 Depth=3
	v_and_b32_e32 v1, 0x7f, v22
	v_cmp_ne_u32_e32 vcc, s83, v1
	v_mov_b32_e32 v2, 0x7f800001
	s_and_saveexec_b64 s[52:53], vcc
	s_cbranch_execz .LBB6_15405
; %bb.15404:                            ;   in Loop: Header=BB6_14344 Depth=3
	v_and_b32_e32 v16, 7, v0
	v_lshrrev_b32_e32 v18, 3, v1
	v_cmp_gt_u32_e32 vcc, 8, v1
	v_ffbh_u32_e32 v1, v16
	v_min_u32_e32 v19, 32, v1
	v_subrev_u32_e32 v1, 28, v19
	v_lshlrev_b64 v[1:2], v1, v[0:1]
	v_sub_u32_e32 v2, 29, v19
	v_and_b32_e32 v1, 7, v1
	v_cndmask_b32_e32 v2, v18, v2, vcc
	v_cndmask_b32_e32 v1, v16, v1, vcc
	v_lshlrev_b32_e32 v16, 24, v22
	v_bfrev_b32_e32 v18, 60
	v_lshlrev_b32_e32 v1, 20, v1
	v_and_b32_e32 v16, 0x80000000, v16
	v_lshl_add_u32 v2, v2, 23, v18
	v_or3_b32 v2, v16, v2, v1
.LBB6_15405:                            ;   in Loop: Header=BB6_14344 Depth=3
	s_or_b64 exec, exec, s[52:53]
.LBB6_15406:                            ;   in Loop: Header=BB6_14344 Depth=3
	s_or_b64 exec, exec, s[50:51]
.LBB6_15407:                            ;   in Loop: Header=BB6_14344 Depth=3
	s_or_b64 exec, exec, s[48:49]
	v_and_b32_e32 v1, 0xff, v48
	v_cmp_ne_u16_e32 vcc, 0, v1
	s_and_saveexec_b64 s[48:49], vcc
	s_cbranch_execz .LBB6_15413
; %bb.15408:                            ;   in Loop: Header=BB6_14344 Depth=3
	v_cmp_ne_u16_e32 vcc, s82, v1
	v_bfrev_b32_e32 v15, 1
	s_and_saveexec_b64 s[50:51], vcc
	s_cbranch_execz .LBB6_15412
; %bb.15409:                            ;   in Loop: Header=BB6_14344 Depth=3
	v_and_b32_e32 v16, 0x7f, v48
	v_cmp_ne_u32_e32 vcc, s83, v16
	v_mov_b32_e32 v15, 0x7f800001
	s_and_saveexec_b64 s[52:53], vcc
	s_cbranch_execz .LBB6_15411
; %bb.15410:                            ;   in Loop: Header=BB6_14344 Depth=3
	v_and_b32_e32 v18, 7, v1
	v_ffbh_u32_e32 v15, v18
	v_min_u32_e32 v21, 32, v15
	v_subrev_u32_e32 v15, 28, v21
	v_lshrrev_b32_e32 v19, 3, v16
	v_cmp_gt_u32_e32 vcc, 8, v16
	v_lshlrev_b64 v[15:16], v15, v[1:2]
	v_sub_u32_e32 v1, 29, v21
	v_and_b32_e32 v15, 7, v15
	v_cndmask_b32_e32 v1, v19, v1, vcc
	v_cndmask_b32_e32 v15, v18, v15, vcc
	v_lshlrev_b32_e32 v16, 24, v48
	v_bfrev_b32_e32 v18, 60
	v_lshlrev_b32_e32 v15, 20, v15
	v_and_b32_e32 v16, 0x80000000, v16
	v_lshl_add_u32 v1, v1, 23, v18
	v_or3_b32 v15, v16, v1, v15
.LBB6_15411:                            ;   in Loop: Header=BB6_14344 Depth=3
	s_or_b64 exec, exec, s[52:53]
.LBB6_15412:                            ;   in Loop: Header=BB6_14344 Depth=3
	s_or_b64 exec, exec, s[50:51]
.LBB6_15413:                            ;   in Loop: Header=BB6_14344 Depth=3
	s_or_b64 exec, exec, s[48:49]
	v_max_f32_e32 v1, v15, v15
	v_max_f32_e32 v2, v2, v2
	;; [unrolled: 1-line block ×3, first 2 shown]
	s_mov_b64 s[48:49], 0
.LBB6_15414:                            ;   in Loop: Header=BB6_14344 Depth=3
	s_and_b64 vcc, exec, s[48:49]
	s_cbranch_vccz .LBB6_15428
; %bb.15415:                            ;   in Loop: Header=BB6_14344 Depth=3
	v_mov_b32_e32 v2, 0
	v_mov_b32_e32 v1, 0
	s_and_saveexec_b64 s[48:49], s[40:41]
	s_cbranch_execz .LBB6_15421
; %bb.15416:                            ;   in Loop: Header=BB6_14344 Depth=3
	v_cmp_ne_u16_e32 vcc, s82, v0
	v_bfrev_b32_e32 v1, 1
	s_and_saveexec_b64 s[40:41], vcc
	s_cbranch_execz .LBB6_15420
; %bb.15417:                            ;   in Loop: Header=BB6_14344 Depth=3
	v_and_b32_e32 v15, 0x7f, v22
	v_cmp_ne_u32_e32 vcc, s83, v15
	v_mov_b32_e32 v1, 0x7f800001
	s_and_saveexec_b64 s[50:51], vcc
	s_cbranch_execz .LBB6_15419
; %bb.15418:                            ;   in Loop: Header=BB6_14344 Depth=3
	v_and_b32_e32 v16, 7, v0
	v_ffbh_u32_e32 v1, v16
	v_lshrrev_b32_e32 v18, 3, v15
	v_cmp_gt_u32_e32 vcc, 8, v15
	v_min_u32_e32 v15, 32, v1
	v_subrev_u32_e32 v1, 28, v15
	v_lshlrev_b64 v[0:1], v1, v[0:1]
	v_sub_u32_e32 v1, 29, v15
	v_and_b32_e32 v0, 7, v0
	v_cndmask_b32_e32 v1, v18, v1, vcc
	v_cndmask_b32_e32 v0, v16, v0, vcc
	v_lshlrev_b32_e32 v15, 24, v22
	v_bfrev_b32_e32 v16, 60
	v_lshlrev_b32_e32 v0, 20, v0
	v_and_b32_e32 v15, 0x80000000, v15
	v_lshl_add_u32 v1, v1, 23, v16
	v_or3_b32 v1, v15, v1, v0
.LBB6_15419:                            ;   in Loop: Header=BB6_14344 Depth=3
	s_or_b64 exec, exec, s[50:51]
.LBB6_15420:                            ;   in Loop: Header=BB6_14344 Depth=3
	s_or_b64 exec, exec, s[40:41]
.LBB6_15421:                            ;   in Loop: Header=BB6_14344 Depth=3
	s_or_b64 exec, exec, s[48:49]
	v_and_b32_e32 v0, 0xff, v48
	v_cmp_ne_u16_e32 vcc, 0, v0
	s_and_saveexec_b64 s[40:41], vcc
	s_cbranch_execz .LBB6_15427
; %bb.15422:                            ;   in Loop: Header=BB6_14344 Depth=3
	v_cmp_ne_u16_e32 vcc, s82, v0
	v_bfrev_b32_e32 v2, 1
	s_and_saveexec_b64 s[48:49], vcc
	s_cbranch_execz .LBB6_15426
; %bb.15423:                            ;   in Loop: Header=BB6_14344 Depth=3
	v_and_b32_e32 v15, 0x7f, v48
	v_cmp_ne_u32_e32 vcc, s83, v15
	v_mov_b32_e32 v2, 0x7f800001
	s_and_saveexec_b64 s[50:51], vcc
	s_cbranch_execz .LBB6_15425
; %bb.15424:                            ;   in Loop: Header=BB6_14344 Depth=3
	v_and_b32_e32 v2, 7, v0
	v_lshrrev_b32_e32 v18, 3, v15
	v_cmp_gt_u32_e32 vcc, 8, v15
	v_ffbh_u32_e32 v15, v2
	v_min_u32_e32 v19, 32, v15
	v_subrev_u32_e32 v15, 28, v19
	v_lshlrev_b64 v[15:16], v15, v[0:1]
	v_sub_u32_e32 v0, 29, v19
	v_and_b32_e32 v15, 7, v15
	v_cndmask_b32_e32 v0, v18, v0, vcc
	v_cndmask_b32_e32 v2, v2, v15, vcc
	v_lshlrev_b32_e32 v15, 24, v48
	v_bfrev_b32_e32 v16, 60
	v_lshlrev_b32_e32 v2, 20, v2
	v_and_b32_e32 v15, 0x80000000, v15
	v_lshl_add_u32 v0, v0, 23, v16
	v_or3_b32 v2, v15, v0, v2
.LBB6_15425:                            ;   in Loop: Header=BB6_14344 Depth=3
	s_or_b64 exec, exec, s[50:51]
.LBB6_15426:                            ;   in Loop: Header=BB6_14344 Depth=3
	s_or_b64 exec, exec, s[48:49]
.LBB6_15427:                            ;   in Loop: Header=BB6_14344 Depth=3
	s_or_b64 exec, exec, s[40:41]
	v_max_f32_e32 v0, v2, v2
	v_max_f32_e32 v1, v1, v1
	v_min_f32_e32 v1, v1, v0
.LBB6_15428:                            ;   in Loop: Header=BB6_14344 Depth=3
	v_and_b32_e32 v52, 0x7f800000, v1
	v_cmp_ne_u64_e32 vcc, s[76:77], v[52:53]
                                        ; implicit-def: $vgpr15
	s_mov_b64 s[40:41], exec
	buffer_load_dword v48, off, s[0:3], s33 offset:92 ; 4-byte Folded Reload
	s_and_b64 vcc, s[40:41], vcc
	s_xor_b64 s[48:49], vcc, s[40:41]
	s_mov_b64 exec, vcc
	s_cbranch_execz .LBB6_15446
; %bb.15429:                            ;   in Loop: Header=BB6_14344 Depth=3
	v_and_b32_e32 v52, 0x7fffffff, v1
	v_cmp_gt_u64_e32 vcc, s[78:79], v[52:53]
	v_and_b32_sdwa v16, v1, s82 dst_sel:DWORD dst_unused:UNUSED_PAD src0_sel:BYTE_3 src1_sel:DWORD
                                        ; implicit-def: $vgpr15
	s_and_saveexec_b64 s[40:41], vcc
	s_xor_b64 s[50:51], exec, s[40:41]
	s_cbranch_execz .LBB6_15443
; %bb.15430:                            ;   in Loop: Header=BB6_14344 Depth=3
	v_cmp_ne_u32_e32 vcc, 0, v1
	v_mov_b32_e32 v15, 0
	s_and_saveexec_b64 s[52:53], vcc
	s_cbranch_execz .LBB6_15442
; %bb.15431:                            ;   in Loop: Header=BB6_14344 Depth=3
	v_bfe_u32 v15, v1, 23, 8
	v_and_b32_e32 v0, 0x7fffff, v1
	v_cmp_gt_u32_e64 s[40:41], s85, v15
	v_sub_u32_e32 v1, 0x79, v15
	v_cmp_eq_u32_e32 vcc, 0, v15
	v_cndmask_b32_e64 v1, 0, v1, s[40:41]
	v_mov_b32_e32 v18, 0x78
	v_or_b32_e32 v2, 0x800000, v0
	v_cndmask_b32_e32 v18, v1, v18, vcc
	v_cndmask_b32_e32 v52, v2, v0, vcc
	v_add_u32_e32 v0, 20, v18
	v_lshlrev_b64 v[0:1], v0, -1
	v_add_u32_e32 v2, 19, v18
	v_lshlrev_b64 v[21:22], v2, 1
	v_bfi_b32 v1, v1, 0, 0
	v_bfi_b32 v0, v0, 0, v52
	v_cmp_eq_u64_e64 s[40:41], v[0:1], v[21:22]
	v_lshrrev_b64 v[0:1], v18, v[52:53]
	v_mov_b32_e32 v2, v1
	v_mov_b32_e32 v1, v0
	s_and_saveexec_b64 s[54:55], s[40:41]
; %bb.15432:                            ;   in Loop: Header=BB6_14344 Depth=3
	v_bfe_u32 v1, v0, 20, 1
	v_add_co_u32_e64 v1, s[40:41], v0, v1
	v_add_co_u32_e64 v1, s[40:41], -1, v1
; %bb.15433:                            ;   in Loop: Header=BB6_14344 Depth=3
	s_or_b64 exec, exec, s[54:55]
	v_add_u32_e32 v2, 0xffffff81, v15
	v_mov_b32_e32 v15, 0xffffff82
	v_cndmask_b32_e32 v2, v2, v15, vcc
	v_lshrrev_b32_e32 v15, 23, v0
	v_add3_u32 v18, v18, v2, v15
	v_add_u32_e32 v15, 6, v18
	v_and_b32_e32 v1, 0xfffff, v1
	v_add_u32_e32 v52, v1, v0
	v_cmp_ne_u32_e32 vcc, 0, v15
                                        ; implicit-def: $vgpr0_vgpr1
                                        ; implicit-def: $vgpr2
	s_and_saveexec_b64 s[40:41], vcc
	s_xor_b64 s[40:41], exec, s[40:41]
; %bb.15434:                            ;   in Loop: Header=BB6_14344 Depth=3
	v_cmp_lt_u64_e32 vcc, s[88:89], v[52:53]
	v_add_u32_e32 v0, 7, v18
	v_cndmask_b32_e32 v2, v15, v0, vcc
	v_cndmask_b32_e64 v0, 0, 1, vcc
	v_lshrrev_b64 v[0:1], v0, v[52:53]
; %bb.15435:                            ;   in Loop: Header=BB6_14344 Depth=3
	s_andn2_saveexec_b64 s[40:41], s[40:41]
; %bb.15436:                            ;   in Loop: Header=BB6_14344 Depth=3
	v_mov_b32_e32 v0, v52
	v_bfe_u32 v2, v52, 23, 1
	v_mov_b32_e32 v1, v53
; %bb.15437:                            ;   in Loop: Header=BB6_14344 Depth=3
	s_or_b64 exec, exec, s[40:41]
	v_lshrrev_b64 v[0:1], 20, v[0:1]
	v_cmp_gt_i32_e32 vcc, 16, v2
	v_cndmask_b32_e32 v1, 0, v1, vcc
	v_cndmask_b32_e32 v0, 7, v0, vcc
	v_cmp_ne_u64_e32 vcc, 0, v[0:1]
	v_cmp_ne_u32_e64 s[40:41], 0, v2
	s_or_b64 s[40:41], s[40:41], vcc
                                        ; implicit-def: $vgpr15
	s_and_saveexec_b64 vcc, s[40:41]
	s_xor_b64 s[40:41], exec, vcc
; %bb.15438:                            ;   in Loop: Header=BB6_14344 Depth=3
	v_min_i32_e32 v1, 15, v2
	v_lshl_or_b32 v1, v1, 3, v16
	v_and_or_b32 v15, v0, 7, v1
                                        ; implicit-def: $vgpr16
; %bb.15439:                            ;   in Loop: Header=BB6_14344 Depth=3
	s_andn2_saveexec_b64 s[40:41], s[40:41]
; %bb.15440:                            ;   in Loop: Header=BB6_14344 Depth=3
	v_mov_b32_e32 v15, v16
; %bb.15441:                            ;   in Loop: Header=BB6_14344 Depth=3
	s_or_b64 exec, exec, s[40:41]
.LBB6_15442:                            ;   in Loop: Header=BB6_14344 Depth=3
	s_or_b64 exec, exec, s[52:53]
                                        ; implicit-def: $vgpr16
.LBB6_15443:                            ;   in Loop: Header=BB6_14344 Depth=3
	s_andn2_saveexec_b64 s[40:41], s[50:51]
; %bb.15444:                            ;   in Loop: Header=BB6_14344 Depth=3
	v_or_b32_e32 v15, 0x7e, v16
; %bb.15445:                            ;   in Loop: Header=BB6_14344 Depth=3
	s_or_b64 exec, exec, s[40:41]
                                        ; implicit-def: $vgpr1
.LBB6_15446:                            ;   in Loop: Header=BB6_14344 Depth=3
	s_andn2_saveexec_b64 s[40:41], s[48:49]
; %bb.15447:                            ;   in Loop: Header=BB6_14344 Depth=3
	v_or_b32_sdwa v15, v1, s83 dst_sel:DWORD dst_unused:UNUSED_PAD src0_sel:BYTE_3 src1_sel:DWORD
; %bb.15448:                            ;   in Loop: Header=BB6_14344 Depth=3
	s_or_b64 exec, exec, s[40:41]
	v_and_b32_e32 v0, 0xff, v56
	v_cmp_ne_u16_e64 s[40:41], 0, v0
	s_and_b64 vcc, exec, s[28:29]
	s_mov_b64 s[48:49], -1
                                        ; implicit-def: $vgpr1
	s_cbranch_vccnz .LBB6_15462
; %bb.15449:                            ;   in Loop: Header=BB6_14344 Depth=3
	v_mov_b32_e32 v16, 0
	v_mov_b32_e32 v2, 0
	s_and_saveexec_b64 s[48:49], s[40:41]
	s_cbranch_execz .LBB6_15455
; %bb.15450:                            ;   in Loop: Header=BB6_14344 Depth=3
	v_cmp_ne_u16_e32 vcc, s82, v0
	v_bfrev_b32_e32 v2, 1
	s_and_saveexec_b64 s[50:51], vcc
	s_cbranch_execz .LBB6_15454
; %bb.15451:                            ;   in Loop: Header=BB6_14344 Depth=3
	v_and_b32_e32 v1, 0x7f, v56
	v_cmp_ne_u32_e32 vcc, s83, v1
	v_mov_b32_e32 v2, 0x7f800001
	s_and_saveexec_b64 s[52:53], vcc
	s_cbranch_execz .LBB6_15453
; %bb.15452:                            ;   in Loop: Header=BB6_14344 Depth=3
	v_and_b32_e32 v18, 7, v0
	v_lshrrev_b32_e32 v19, 3, v1
	v_cmp_gt_u32_e32 vcc, 8, v1
	v_ffbh_u32_e32 v1, v18
	v_min_u32_e32 v21, 32, v1
	v_subrev_u32_e32 v1, 28, v21
	v_lshlrev_b64 v[1:2], v1, v[0:1]
	v_sub_u32_e32 v2, 29, v21
	v_and_b32_e32 v1, 7, v1
	v_cndmask_b32_e32 v2, v19, v2, vcc
	v_cndmask_b32_e32 v1, v18, v1, vcc
	v_lshlrev_b32_e32 v18, 24, v56
	v_bfrev_b32_e32 v19, 60
	v_lshlrev_b32_e32 v1, 20, v1
	v_and_b32_e32 v18, 0x80000000, v18
	v_lshl_add_u32 v2, v2, 23, v19
	v_or3_b32 v2, v18, v2, v1
.LBB6_15453:                            ;   in Loop: Header=BB6_14344 Depth=3
	s_or_b64 exec, exec, s[52:53]
.LBB6_15454:                            ;   in Loop: Header=BB6_14344 Depth=3
	s_or_b64 exec, exec, s[50:51]
.LBB6_15455:                            ;   in Loop: Header=BB6_14344 Depth=3
	s_or_b64 exec, exec, s[48:49]
	v_and_b32_e32 v1, 0xff, v23
	v_cmp_ne_u16_e32 vcc, 0, v1
	s_and_saveexec_b64 s[48:49], vcc
	s_cbranch_execz .LBB6_15461
; %bb.15456:                            ;   in Loop: Header=BB6_14344 Depth=3
	v_cmp_ne_u16_e32 vcc, s82, v1
	v_bfrev_b32_e32 v16, 1
	s_and_saveexec_b64 s[50:51], vcc
	s_cbranch_execz .LBB6_15460
; %bb.15457:                            ;   in Loop: Header=BB6_14344 Depth=3
	v_and_b32_e32 v18, 0x7f, v23
	v_cmp_ne_u32_e32 vcc, s83, v18
	v_mov_b32_e32 v16, 0x7f800001
	s_and_saveexec_b64 s[52:53], vcc
	s_cbranch_execz .LBB6_15459
; %bb.15458:                            ;   in Loop: Header=BB6_14344 Depth=3
	v_and_b32_e32 v16, 7, v1
	v_lshrrev_b32_e32 v21, 3, v18
	v_cmp_gt_u32_e32 vcc, 8, v18
	v_ffbh_u32_e32 v18, v16
	v_min_u32_e32 v22, 32, v18
	v_subrev_u32_e32 v18, 28, v22
	v_lshlrev_b64 v[18:19], v18, v[1:2]
	v_sub_u32_e32 v1, 29, v22
	v_and_b32_e32 v18, 7, v18
	v_cndmask_b32_e32 v1, v21, v1, vcc
	v_cndmask_b32_e32 v16, v16, v18, vcc
	v_lshlrev_b32_e32 v18, 24, v23
	v_bfrev_b32_e32 v19, 60
	v_lshlrev_b32_e32 v16, 20, v16
	v_and_b32_e32 v18, 0x80000000, v18
	v_lshl_add_u32 v1, v1, 23, v19
	v_or3_b32 v16, v18, v1, v16
.LBB6_15459:                            ;   in Loop: Header=BB6_14344 Depth=3
	s_or_b64 exec, exec, s[52:53]
.LBB6_15460:                            ;   in Loop: Header=BB6_14344 Depth=3
	s_or_b64 exec, exec, s[50:51]
.LBB6_15461:                            ;   in Loop: Header=BB6_14344 Depth=3
	s_or_b64 exec, exec, s[48:49]
	v_max_f32_e32 v1, v16, v16
	v_max_f32_e32 v2, v2, v2
	;; [unrolled: 1-line block ×3, first 2 shown]
	s_mov_b64 s[48:49], 0
.LBB6_15462:                            ;   in Loop: Header=BB6_14344 Depth=3
	s_and_b64 vcc, exec, s[48:49]
	s_cbranch_vccz .LBB6_15476
; %bb.15463:                            ;   in Loop: Header=BB6_14344 Depth=3
	v_mov_b32_e32 v2, 0
	v_mov_b32_e32 v1, 0
	s_and_saveexec_b64 s[48:49], s[40:41]
	s_cbranch_execz .LBB6_15469
; %bb.15464:                            ;   in Loop: Header=BB6_14344 Depth=3
	v_cmp_ne_u16_e32 vcc, s82, v0
	v_bfrev_b32_e32 v1, 1
	s_and_saveexec_b64 s[40:41], vcc
	s_cbranch_execz .LBB6_15468
; %bb.15465:                            ;   in Loop: Header=BB6_14344 Depth=3
	v_and_b32_e32 v16, 0x7f, v56
	v_cmp_ne_u32_e32 vcc, s83, v16
	v_mov_b32_e32 v1, 0x7f800001
	s_and_saveexec_b64 s[50:51], vcc
	s_cbranch_execz .LBB6_15467
; %bb.15466:                            ;   in Loop: Header=BB6_14344 Depth=3
	v_and_b32_e32 v18, 7, v0
	v_ffbh_u32_e32 v1, v18
	v_lshrrev_b32_e32 v19, 3, v16
	v_cmp_gt_u32_e32 vcc, 8, v16
	v_min_u32_e32 v16, 32, v1
	v_subrev_u32_e32 v1, 28, v16
	v_lshlrev_b64 v[0:1], v1, v[0:1]
	v_sub_u32_e32 v1, 29, v16
	v_and_b32_e32 v0, 7, v0
	v_cndmask_b32_e32 v1, v19, v1, vcc
	v_cndmask_b32_e32 v0, v18, v0, vcc
	v_lshlrev_b32_e32 v16, 24, v56
	v_bfrev_b32_e32 v18, 60
	v_lshlrev_b32_e32 v0, 20, v0
	v_and_b32_e32 v16, 0x80000000, v16
	v_lshl_add_u32 v1, v1, 23, v18
	v_or3_b32 v1, v16, v1, v0
.LBB6_15467:                            ;   in Loop: Header=BB6_14344 Depth=3
	s_or_b64 exec, exec, s[50:51]
.LBB6_15468:                            ;   in Loop: Header=BB6_14344 Depth=3
	s_or_b64 exec, exec, s[40:41]
.LBB6_15469:                            ;   in Loop: Header=BB6_14344 Depth=3
	s_or_b64 exec, exec, s[48:49]
	v_and_b32_e32 v0, 0xff, v23
	v_cmp_ne_u16_e32 vcc, 0, v0
	s_and_saveexec_b64 s[40:41], vcc
	s_cbranch_execz .LBB6_15475
; %bb.15470:                            ;   in Loop: Header=BB6_14344 Depth=3
	v_cmp_ne_u16_e32 vcc, s82, v0
	v_bfrev_b32_e32 v2, 1
	s_and_saveexec_b64 s[48:49], vcc
	s_cbranch_execz .LBB6_15474
; %bb.15471:                            ;   in Loop: Header=BB6_14344 Depth=3
	v_and_b32_e32 v16, 0x7f, v23
	v_cmp_ne_u32_e32 vcc, s83, v16
	v_mov_b32_e32 v2, 0x7f800001
	s_and_saveexec_b64 s[50:51], vcc
	s_cbranch_execz .LBB6_15473
; %bb.15472:                            ;   in Loop: Header=BB6_14344 Depth=3
	v_and_b32_e32 v2, 7, v0
	v_lshrrev_b32_e32 v21, 3, v16
	v_cmp_gt_u32_e32 vcc, 8, v16
	v_ffbh_u32_e32 v16, v2
	v_min_u32_e32 v16, 32, v16
	v_subrev_u32_e32 v18, 28, v16
	v_lshlrev_b64 v[18:19], v18, v[0:1]
	v_sub_u32_e32 v0, 29, v16
	v_and_b32_e32 v16, 7, v18
	v_cndmask_b32_e32 v0, v21, v0, vcc
	v_cndmask_b32_e32 v2, v2, v16, vcc
	v_lshlrev_b32_e32 v16, 24, v23
	v_bfrev_b32_e32 v18, 60
	v_lshlrev_b32_e32 v2, 20, v2
	v_and_b32_e32 v16, 0x80000000, v16
	v_lshl_add_u32 v0, v0, 23, v18
	v_or3_b32 v2, v16, v0, v2
.LBB6_15473:                            ;   in Loop: Header=BB6_14344 Depth=3
	s_or_b64 exec, exec, s[50:51]
.LBB6_15474:                            ;   in Loop: Header=BB6_14344 Depth=3
	s_or_b64 exec, exec, s[48:49]
.LBB6_15475:                            ;   in Loop: Header=BB6_14344 Depth=3
	s_or_b64 exec, exec, s[40:41]
	v_max_f32_e32 v0, v2, v2
	v_max_f32_e32 v1, v1, v1
	v_min_f32_e32 v1, v1, v0
.LBB6_15476:                            ;   in Loop: Header=BB6_14344 Depth=3
	v_and_b32_e32 v52, 0x7f800000, v1
	v_cmp_ne_u64_e32 vcc, s[76:77], v[52:53]
                                        ; implicit-def: $vgpr16
	s_and_saveexec_b64 s[40:41], vcc
	s_xor_b64 s[48:49], exec, s[40:41]
	s_cbranch_execz .LBB6_15494
; %bb.15477:                            ;   in Loop: Header=BB6_14344 Depth=3
	v_and_b32_e32 v52, 0x7fffffff, v1
	v_cmp_gt_u64_e32 vcc, s[78:79], v[52:53]
	v_and_b32_sdwa v18, v1, s82 dst_sel:DWORD dst_unused:UNUSED_PAD src0_sel:BYTE_3 src1_sel:DWORD
                                        ; implicit-def: $vgpr16
	s_and_saveexec_b64 s[40:41], vcc
	s_xor_b64 s[50:51], exec, s[40:41]
	s_cbranch_execz .LBB6_15491
; %bb.15478:                            ;   in Loop: Header=BB6_14344 Depth=3
	v_cmp_ne_u32_e32 vcc, 0, v1
	v_mov_b32_e32 v16, 0
	s_and_saveexec_b64 s[52:53], vcc
	s_cbranch_execz .LBB6_15490
; %bb.15479:                            ;   in Loop: Header=BB6_14344 Depth=3
	v_bfe_u32 v16, v1, 23, 8
	v_and_b32_e32 v0, 0x7fffff, v1
	v_cmp_gt_u32_e64 s[40:41], s85, v16
	v_sub_u32_e32 v1, 0x79, v16
	v_cmp_eq_u32_e32 vcc, 0, v16
	v_cndmask_b32_e64 v1, 0, v1, s[40:41]
	v_mov_b32_e32 v19, 0x78
	v_or_b32_e32 v2, 0x800000, v0
	v_cndmask_b32_e32 v19, v1, v19, vcc
	v_cndmask_b32_e32 v52, v2, v0, vcc
	v_add_u32_e32 v0, 20, v19
	v_lshlrev_b64 v[0:1], v0, -1
	v_add_u32_e32 v2, 19, v19
	v_lshlrev_b64 v[21:22], v2, 1
	v_bfi_b32 v1, v1, 0, 0
	v_bfi_b32 v0, v0, 0, v52
	v_cmp_eq_u64_e64 s[40:41], v[0:1], v[21:22]
	v_lshrrev_b64 v[0:1], v19, v[52:53]
	v_mov_b32_e32 v2, v1
	v_mov_b32_e32 v1, v0
	s_and_saveexec_b64 s[54:55], s[40:41]
; %bb.15480:                            ;   in Loop: Header=BB6_14344 Depth=3
	v_bfe_u32 v1, v0, 20, 1
	v_add_co_u32_e64 v1, s[40:41], v0, v1
	v_add_co_u32_e64 v1, s[40:41], -1, v1
; %bb.15481:                            ;   in Loop: Header=BB6_14344 Depth=3
	s_or_b64 exec, exec, s[54:55]
	v_add_u32_e32 v2, 0xffffff81, v16
	v_mov_b32_e32 v16, 0xffffff82
	v_cndmask_b32_e32 v2, v2, v16, vcc
	v_lshrrev_b32_e32 v16, 23, v0
	v_add3_u32 v19, v19, v2, v16
	v_add_u32_e32 v16, 6, v19
	v_and_b32_e32 v1, 0xfffff, v1
	v_add_u32_e32 v52, v1, v0
	v_cmp_ne_u32_e32 vcc, 0, v16
                                        ; implicit-def: $vgpr0_vgpr1
                                        ; implicit-def: $vgpr2
	s_and_saveexec_b64 s[40:41], vcc
	s_xor_b64 s[40:41], exec, s[40:41]
; %bb.15482:                            ;   in Loop: Header=BB6_14344 Depth=3
	v_cmp_lt_u64_e32 vcc, s[88:89], v[52:53]
	v_add_u32_e32 v0, 7, v19
	v_cndmask_b32_e32 v2, v16, v0, vcc
	v_cndmask_b32_e64 v0, 0, 1, vcc
	v_lshrrev_b64 v[0:1], v0, v[52:53]
; %bb.15483:                            ;   in Loop: Header=BB6_14344 Depth=3
	s_andn2_saveexec_b64 s[40:41], s[40:41]
; %bb.15484:                            ;   in Loop: Header=BB6_14344 Depth=3
	v_mov_b32_e32 v0, v52
	v_bfe_u32 v2, v52, 23, 1
	v_mov_b32_e32 v1, v53
; %bb.15485:                            ;   in Loop: Header=BB6_14344 Depth=3
	s_or_b64 exec, exec, s[40:41]
	v_lshrrev_b64 v[0:1], 20, v[0:1]
	v_cmp_gt_i32_e32 vcc, 16, v2
	v_cndmask_b32_e32 v1, 0, v1, vcc
	v_cndmask_b32_e32 v0, 7, v0, vcc
	v_cmp_ne_u64_e32 vcc, 0, v[0:1]
	v_cmp_ne_u32_e64 s[40:41], 0, v2
	s_or_b64 s[40:41], s[40:41], vcc
                                        ; implicit-def: $vgpr16
	s_and_saveexec_b64 vcc, s[40:41]
	s_xor_b64 s[40:41], exec, vcc
; %bb.15486:                            ;   in Loop: Header=BB6_14344 Depth=3
	v_min_i32_e32 v1, 15, v2
	v_lshl_or_b32 v1, v1, 3, v18
	v_and_or_b32 v16, v0, 7, v1
                                        ; implicit-def: $vgpr18
; %bb.15487:                            ;   in Loop: Header=BB6_14344 Depth=3
	s_andn2_saveexec_b64 s[40:41], s[40:41]
; %bb.15488:                            ;   in Loop: Header=BB6_14344 Depth=3
	v_mov_b32_e32 v16, v18
; %bb.15489:                            ;   in Loop: Header=BB6_14344 Depth=3
	s_or_b64 exec, exec, s[40:41]
.LBB6_15490:                            ;   in Loop: Header=BB6_14344 Depth=3
	s_or_b64 exec, exec, s[52:53]
                                        ; implicit-def: $vgpr18
.LBB6_15491:                            ;   in Loop: Header=BB6_14344 Depth=3
	s_andn2_saveexec_b64 s[40:41], s[50:51]
; %bb.15492:                            ;   in Loop: Header=BB6_14344 Depth=3
	v_or_b32_e32 v16, 0x7e, v18
; %bb.15493:                            ;   in Loop: Header=BB6_14344 Depth=3
	s_or_b64 exec, exec, s[40:41]
                                        ; implicit-def: $vgpr1
.LBB6_15494:                            ;   in Loop: Header=BB6_14344 Depth=3
	s_andn2_saveexec_b64 s[40:41], s[48:49]
; %bb.15495:                            ;   in Loop: Header=BB6_14344 Depth=3
	v_or_b32_sdwa v16, v1, s83 dst_sel:DWORD dst_unused:UNUSED_PAD src0_sel:BYTE_3 src1_sel:DWORD
; %bb.15496:                            ;   in Loop: Header=BB6_14344 Depth=3
	s_or_b64 exec, exec, s[40:41]
	v_and_b32_e32 v0, 0xff, v46
	v_cmp_ne_u16_e64 s[40:41], 0, v0
	s_and_b64 vcc, exec, s[28:29]
	s_mov_b64 s[48:49], -1
                                        ; implicit-def: $vgpr1
	s_cbranch_vccnz .LBB6_15510
; %bb.15497:                            ;   in Loop: Header=BB6_14344 Depth=3
	v_mov_b32_e32 v18, 0
	v_mov_b32_e32 v2, 0
	s_and_saveexec_b64 s[48:49], s[40:41]
	s_cbranch_execz .LBB6_15503
; %bb.15498:                            ;   in Loop: Header=BB6_14344 Depth=3
	v_cmp_ne_u16_e32 vcc, s82, v0
	v_bfrev_b32_e32 v2, 1
	s_and_saveexec_b64 s[50:51], vcc
	s_cbranch_execz .LBB6_15502
; %bb.15499:                            ;   in Loop: Header=BB6_14344 Depth=3
	v_and_b32_e32 v1, 0x7f, v46
	v_cmp_ne_u32_e32 vcc, s83, v1
	v_mov_b32_e32 v2, 0x7f800001
	s_and_saveexec_b64 s[52:53], vcc
	s_cbranch_execz .LBB6_15501
; %bb.15500:                            ;   in Loop: Header=BB6_14344 Depth=3
	v_and_b32_e32 v19, 7, v0
	v_lshrrev_b32_e32 v21, 3, v1
	v_cmp_gt_u32_e32 vcc, 8, v1
	v_ffbh_u32_e32 v1, v19
	v_min_u32_e32 v22, 32, v1
	v_subrev_u32_e32 v1, 28, v22
	v_lshlrev_b64 v[1:2], v1, v[0:1]
	v_sub_u32_e32 v2, 29, v22
	v_and_b32_e32 v1, 7, v1
	v_cndmask_b32_e32 v2, v21, v2, vcc
	v_cndmask_b32_e32 v1, v19, v1, vcc
	v_lshlrev_b32_e32 v19, 24, v46
	v_bfrev_b32_e32 v21, 60
	v_lshlrev_b32_e32 v1, 20, v1
	v_and_b32_e32 v19, 0x80000000, v19
	v_lshl_add_u32 v2, v2, 23, v21
	v_or3_b32 v2, v19, v2, v1
.LBB6_15501:                            ;   in Loop: Header=BB6_14344 Depth=3
	s_or_b64 exec, exec, s[52:53]
.LBB6_15502:                            ;   in Loop: Header=BB6_14344 Depth=3
	s_or_b64 exec, exec, s[50:51]
.LBB6_15503:                            ;   in Loop: Header=BB6_14344 Depth=3
	s_or_b64 exec, exec, s[48:49]
	v_and_b32_e32 v1, 0xff, v24
	v_cmp_ne_u16_e32 vcc, 0, v1
	s_and_saveexec_b64 s[48:49], vcc
	s_cbranch_execz .LBB6_15509
; %bb.15504:                            ;   in Loop: Header=BB6_14344 Depth=3
	v_cmp_ne_u16_e32 vcc, s82, v1
	v_bfrev_b32_e32 v18, 1
	s_and_saveexec_b64 s[50:51], vcc
	s_cbranch_execz .LBB6_15508
; %bb.15505:                            ;   in Loop: Header=BB6_14344 Depth=3
	v_and_b32_e32 v19, 0x7f, v24
	v_cmp_ne_u32_e32 vcc, s83, v19
	v_mov_b32_e32 v18, 0x7f800001
	s_and_saveexec_b64 s[52:53], vcc
	s_cbranch_execz .LBB6_15507
; %bb.15506:                            ;   in Loop: Header=BB6_14344 Depth=3
	v_and_b32_e32 v21, 7, v1
	v_ffbh_u32_e32 v18, v21
	v_min_u32_e32 v23, 32, v18
	v_subrev_u32_e32 v18, 28, v23
	v_lshrrev_b32_e32 v22, 3, v19
	v_cmp_gt_u32_e32 vcc, 8, v19
	v_lshlrev_b64 v[18:19], v18, v[1:2]
	v_sub_u32_e32 v1, 29, v23
	v_and_b32_e32 v18, 7, v18
	v_cndmask_b32_e32 v1, v22, v1, vcc
	v_cndmask_b32_e32 v18, v21, v18, vcc
	v_lshlrev_b32_e32 v19, 24, v24
	v_bfrev_b32_e32 v21, 60
	v_lshlrev_b32_e32 v18, 20, v18
	v_and_b32_e32 v19, 0x80000000, v19
	v_lshl_add_u32 v1, v1, 23, v21
	v_or3_b32 v18, v19, v1, v18
.LBB6_15507:                            ;   in Loop: Header=BB6_14344 Depth=3
	s_or_b64 exec, exec, s[52:53]
.LBB6_15508:                            ;   in Loop: Header=BB6_14344 Depth=3
	s_or_b64 exec, exec, s[50:51]
.LBB6_15509:                            ;   in Loop: Header=BB6_14344 Depth=3
	s_or_b64 exec, exec, s[48:49]
	v_max_f32_e32 v1, v18, v18
	v_max_f32_e32 v2, v2, v2
	;; [unrolled: 1-line block ×3, first 2 shown]
	s_mov_b64 s[48:49], 0
.LBB6_15510:                            ;   in Loop: Header=BB6_14344 Depth=3
	s_and_b64 vcc, exec, s[48:49]
	s_cbranch_vccz .LBB6_15524
; %bb.15511:                            ;   in Loop: Header=BB6_14344 Depth=3
	v_mov_b32_e32 v2, 0
	v_mov_b32_e32 v1, 0
	s_and_saveexec_b64 s[48:49], s[40:41]
	s_cbranch_execz .LBB6_15517
; %bb.15512:                            ;   in Loop: Header=BB6_14344 Depth=3
	v_cmp_ne_u16_e32 vcc, s82, v0
	v_bfrev_b32_e32 v1, 1
	s_and_saveexec_b64 s[40:41], vcc
	s_cbranch_execz .LBB6_15516
; %bb.15513:                            ;   in Loop: Header=BB6_14344 Depth=3
	v_and_b32_e32 v18, 0x7f, v46
	v_cmp_ne_u32_e32 vcc, s83, v18
	v_mov_b32_e32 v1, 0x7f800001
	s_and_saveexec_b64 s[50:51], vcc
	s_cbranch_execz .LBB6_15515
; %bb.15514:                            ;   in Loop: Header=BB6_14344 Depth=3
	v_and_b32_e32 v19, 7, v0
	v_ffbh_u32_e32 v1, v19
	v_lshrrev_b32_e32 v21, 3, v18
	v_cmp_gt_u32_e32 vcc, 8, v18
	v_min_u32_e32 v18, 32, v1
	v_subrev_u32_e32 v1, 28, v18
	v_lshlrev_b64 v[0:1], v1, v[0:1]
	v_sub_u32_e32 v1, 29, v18
	v_and_b32_e32 v0, 7, v0
	v_cndmask_b32_e32 v1, v21, v1, vcc
	v_cndmask_b32_e32 v0, v19, v0, vcc
	v_lshlrev_b32_e32 v18, 24, v46
	v_bfrev_b32_e32 v19, 60
	v_lshlrev_b32_e32 v0, 20, v0
	v_and_b32_e32 v18, 0x80000000, v18
	v_lshl_add_u32 v1, v1, 23, v19
	v_or3_b32 v1, v18, v1, v0
.LBB6_15515:                            ;   in Loop: Header=BB6_14344 Depth=3
	s_or_b64 exec, exec, s[50:51]
.LBB6_15516:                            ;   in Loop: Header=BB6_14344 Depth=3
	s_or_b64 exec, exec, s[40:41]
.LBB6_15517:                            ;   in Loop: Header=BB6_14344 Depth=3
	s_or_b64 exec, exec, s[48:49]
	v_and_b32_e32 v0, 0xff, v24
	v_cmp_ne_u16_e32 vcc, 0, v0
	s_and_saveexec_b64 s[40:41], vcc
	s_cbranch_execz .LBB6_15523
; %bb.15518:                            ;   in Loop: Header=BB6_14344 Depth=3
	v_cmp_ne_u16_e32 vcc, s82, v0
	v_bfrev_b32_e32 v2, 1
	s_and_saveexec_b64 s[48:49], vcc
	s_cbranch_execz .LBB6_15522
; %bb.15519:                            ;   in Loop: Header=BB6_14344 Depth=3
	v_and_b32_e32 v18, 0x7f, v24
	v_cmp_ne_u32_e32 vcc, s83, v18
	v_mov_b32_e32 v2, 0x7f800001
	s_and_saveexec_b64 s[50:51], vcc
	s_cbranch_execz .LBB6_15521
; %bb.15520:                            ;   in Loop: Header=BB6_14344 Depth=3
	v_and_b32_e32 v2, 7, v0
	v_lshrrev_b32_e32 v21, 3, v18
	v_cmp_gt_u32_e32 vcc, 8, v18
	v_ffbh_u32_e32 v18, v2
	v_min_u32_e32 v22, 32, v18
	v_subrev_u32_e32 v18, 28, v22
	v_lshlrev_b64 v[18:19], v18, v[0:1]
	v_sub_u32_e32 v0, 29, v22
	v_and_b32_e32 v18, 7, v18
	v_cndmask_b32_e32 v0, v21, v0, vcc
	v_cndmask_b32_e32 v2, v2, v18, vcc
	v_lshlrev_b32_e32 v18, 24, v24
	v_bfrev_b32_e32 v19, 60
	v_lshlrev_b32_e32 v2, 20, v2
	v_and_b32_e32 v18, 0x80000000, v18
	v_lshl_add_u32 v0, v0, 23, v19
	v_or3_b32 v2, v18, v0, v2
.LBB6_15521:                            ;   in Loop: Header=BB6_14344 Depth=3
	s_or_b64 exec, exec, s[50:51]
.LBB6_15522:                            ;   in Loop: Header=BB6_14344 Depth=3
	s_or_b64 exec, exec, s[48:49]
.LBB6_15523:                            ;   in Loop: Header=BB6_14344 Depth=3
	s_or_b64 exec, exec, s[40:41]
	v_max_f32_e32 v0, v2, v2
	v_max_f32_e32 v1, v1, v1
	v_min_f32_e32 v1, v1, v0
.LBB6_15524:                            ;   in Loop: Header=BB6_14344 Depth=3
	v_and_b32_e32 v52, 0x7f800000, v1
	v_cmp_ne_u64_e32 vcc, s[76:77], v[52:53]
                                        ; implicit-def: $vgpr23
	s_and_saveexec_b64 s[40:41], vcc
	s_xor_b64 s[48:49], exec, s[40:41]
	s_cbranch_execz .LBB6_15542
; %bb.15525:                            ;   in Loop: Header=BB6_14344 Depth=3
	v_and_b32_e32 v52, 0x7fffffff, v1
	v_cmp_gt_u64_e32 vcc, s[78:79], v[52:53]
	v_and_b32_sdwa v18, v1, s82 dst_sel:DWORD dst_unused:UNUSED_PAD src0_sel:BYTE_3 src1_sel:DWORD
                                        ; implicit-def: $vgpr23
	s_and_saveexec_b64 s[40:41], vcc
	s_xor_b64 s[50:51], exec, s[40:41]
	s_cbranch_execz .LBB6_15539
; %bb.15526:                            ;   in Loop: Header=BB6_14344 Depth=3
	v_cmp_ne_u32_e32 vcc, 0, v1
	v_mov_b32_e32 v23, 0
	s_and_saveexec_b64 s[52:53], vcc
	s_cbranch_execz .LBB6_15538
; %bb.15527:                            ;   in Loop: Header=BB6_14344 Depth=3
	v_bfe_u32 v19, v1, 23, 8
	v_and_b32_e32 v0, 0x7fffff, v1
	v_cmp_gt_u32_e64 s[40:41], s85, v19
	v_sub_u32_e32 v1, 0x79, v19
	v_cmp_eq_u32_e32 vcc, 0, v19
	v_cndmask_b32_e64 v1, 0, v1, s[40:41]
	v_mov_b32_e32 v21, 0x78
	v_or_b32_e32 v2, 0x800000, v0
	v_cndmask_b32_e32 v21, v1, v21, vcc
	v_cndmask_b32_e32 v52, v2, v0, vcc
	v_add_u32_e32 v0, 20, v21
	v_lshlrev_b64 v[0:1], v0, -1
	v_add_u32_e32 v2, 19, v21
	v_lshlrev_b64 v[22:23], v2, 1
	v_bfi_b32 v1, v1, 0, 0
	v_bfi_b32 v0, v0, 0, v52
	v_cmp_eq_u64_e64 s[40:41], v[0:1], v[22:23]
	v_lshrrev_b64 v[0:1], v21, v[52:53]
	v_mov_b32_e32 v2, v1
	v_mov_b32_e32 v1, v0
	s_and_saveexec_b64 s[54:55], s[40:41]
; %bb.15528:                            ;   in Loop: Header=BB6_14344 Depth=3
	v_bfe_u32 v1, v0, 20, 1
	v_add_co_u32_e64 v1, s[40:41], v0, v1
	v_add_co_u32_e64 v1, s[40:41], -1, v1
; %bb.15529:                            ;   in Loop: Header=BB6_14344 Depth=3
	s_or_b64 exec, exec, s[54:55]
	v_add_u32_e32 v2, 0xffffff81, v19
	v_mov_b32_e32 v19, 0xffffff82
	v_cndmask_b32_e32 v2, v2, v19, vcc
	v_lshrrev_b32_e32 v19, 23, v0
	v_add3_u32 v21, v21, v2, v19
	v_add_u32_e32 v19, 6, v21
	v_and_b32_e32 v1, 0xfffff, v1
	v_add_u32_e32 v52, v1, v0
	v_cmp_ne_u32_e32 vcc, 0, v19
                                        ; implicit-def: $vgpr0_vgpr1
                                        ; implicit-def: $vgpr2
	s_and_saveexec_b64 s[40:41], vcc
	s_xor_b64 s[40:41], exec, s[40:41]
; %bb.15530:                            ;   in Loop: Header=BB6_14344 Depth=3
	v_cmp_lt_u64_e32 vcc, s[88:89], v[52:53]
	v_add_u32_e32 v0, 7, v21
	v_cndmask_b32_e32 v2, v19, v0, vcc
	v_cndmask_b32_e64 v0, 0, 1, vcc
	v_lshrrev_b64 v[0:1], v0, v[52:53]
; %bb.15531:                            ;   in Loop: Header=BB6_14344 Depth=3
	s_andn2_saveexec_b64 s[40:41], s[40:41]
; %bb.15532:                            ;   in Loop: Header=BB6_14344 Depth=3
	v_mov_b32_e32 v0, v52
	v_bfe_u32 v2, v52, 23, 1
	v_mov_b32_e32 v1, v53
; %bb.15533:                            ;   in Loop: Header=BB6_14344 Depth=3
	s_or_b64 exec, exec, s[40:41]
	v_lshrrev_b64 v[0:1], 20, v[0:1]
	v_cmp_gt_i32_e32 vcc, 16, v2
	v_cndmask_b32_e32 v1, 0, v1, vcc
	v_cndmask_b32_e32 v0, 7, v0, vcc
	v_cmp_ne_u64_e32 vcc, 0, v[0:1]
	v_cmp_ne_u32_e64 s[40:41], 0, v2
	s_or_b64 s[40:41], s[40:41], vcc
                                        ; implicit-def: $vgpr23
	s_and_saveexec_b64 vcc, s[40:41]
	s_xor_b64 s[40:41], exec, vcc
; %bb.15534:                            ;   in Loop: Header=BB6_14344 Depth=3
	v_min_i32_e32 v1, 15, v2
	v_lshl_or_b32 v1, v1, 3, v18
	v_and_or_b32 v23, v0, 7, v1
                                        ; implicit-def: $vgpr18
; %bb.15535:                            ;   in Loop: Header=BB6_14344 Depth=3
	s_andn2_saveexec_b64 s[40:41], s[40:41]
; %bb.15536:                            ;   in Loop: Header=BB6_14344 Depth=3
	v_mov_b32_e32 v23, v18
; %bb.15537:                            ;   in Loop: Header=BB6_14344 Depth=3
	s_or_b64 exec, exec, s[40:41]
.LBB6_15538:                            ;   in Loop: Header=BB6_14344 Depth=3
	s_or_b64 exec, exec, s[52:53]
                                        ; implicit-def: $vgpr18
.LBB6_15539:                            ;   in Loop: Header=BB6_14344 Depth=3
	s_andn2_saveexec_b64 s[40:41], s[50:51]
; %bb.15540:                            ;   in Loop: Header=BB6_14344 Depth=3
	v_or_b32_e32 v23, 0x7e, v18
; %bb.15541:                            ;   in Loop: Header=BB6_14344 Depth=3
	s_or_b64 exec, exec, s[40:41]
                                        ; implicit-def: $vgpr1
.LBB6_15542:                            ;   in Loop: Header=BB6_14344 Depth=3
	s_andn2_saveexec_b64 s[40:41], s[48:49]
; %bb.15543:                            ;   in Loop: Header=BB6_14344 Depth=3
	v_or_b32_sdwa v23, v1, s83 dst_sel:DWORD dst_unused:UNUSED_PAD src0_sel:BYTE_3 src1_sel:DWORD
; %bb.15544:                            ;   in Loop: Header=BB6_14344 Depth=3
	s_or_b64 exec, exec, s[40:41]
	v_and_b32_e32 v0, 0xff, v25
	v_cmp_ne_u16_e64 s[40:41], 0, v0
	s_and_b64 vcc, exec, s[28:29]
	s_mov_b64 s[48:49], -1
                                        ; implicit-def: $vgpr1
	s_cbranch_vccnz .LBB6_15558
; %bb.15545:                            ;   in Loop: Header=BB6_14344 Depth=3
	v_mov_b32_e32 v18, 0
	v_mov_b32_e32 v2, 0
	s_and_saveexec_b64 s[48:49], s[40:41]
	s_cbranch_execz .LBB6_15551
; %bb.15546:                            ;   in Loop: Header=BB6_14344 Depth=3
	v_cmp_ne_u16_e32 vcc, s82, v0
	v_bfrev_b32_e32 v2, 1
	s_and_saveexec_b64 s[50:51], vcc
	s_cbranch_execz .LBB6_15550
; %bb.15547:                            ;   in Loop: Header=BB6_14344 Depth=3
	v_and_b32_e32 v1, 0x7f, v25
	v_cmp_ne_u32_e32 vcc, s83, v1
	v_mov_b32_e32 v2, 0x7f800001
	s_and_saveexec_b64 s[52:53], vcc
	s_cbranch_execz .LBB6_15549
; %bb.15548:                            ;   in Loop: Header=BB6_14344 Depth=3
	v_and_b32_e32 v19, 7, v0
	v_lshrrev_b32_e32 v21, 3, v1
	v_cmp_gt_u32_e32 vcc, 8, v1
	v_ffbh_u32_e32 v1, v19
	v_min_u32_e32 v22, 32, v1
	v_subrev_u32_e32 v1, 28, v22
	v_lshlrev_b64 v[1:2], v1, v[0:1]
	v_sub_u32_e32 v2, 29, v22
	v_and_b32_e32 v1, 7, v1
	v_cndmask_b32_e32 v2, v21, v2, vcc
	v_cndmask_b32_e32 v1, v19, v1, vcc
	v_lshlrev_b32_e32 v19, 24, v25
	v_bfrev_b32_e32 v21, 60
	v_lshlrev_b32_e32 v1, 20, v1
	v_and_b32_e32 v19, 0x80000000, v19
	v_lshl_add_u32 v2, v2, 23, v21
	v_or3_b32 v2, v19, v2, v1
.LBB6_15549:                            ;   in Loop: Header=BB6_14344 Depth=3
	s_or_b64 exec, exec, s[52:53]
.LBB6_15550:                            ;   in Loop: Header=BB6_14344 Depth=3
	s_or_b64 exec, exec, s[50:51]
.LBB6_15551:                            ;   in Loop: Header=BB6_14344 Depth=3
	s_or_b64 exec, exec, s[48:49]
	v_and_b32_e32 v1, 0xff, v42
	v_cmp_ne_u16_e32 vcc, 0, v1
	s_and_saveexec_b64 s[48:49], vcc
	s_cbranch_execz .LBB6_15557
; %bb.15552:                            ;   in Loop: Header=BB6_14344 Depth=3
	v_cmp_ne_u16_e32 vcc, s82, v1
	v_bfrev_b32_e32 v18, 1
	s_and_saveexec_b64 s[50:51], vcc
	s_cbranch_execz .LBB6_15556
; %bb.15553:                            ;   in Loop: Header=BB6_14344 Depth=3
	v_and_b32_e32 v19, 0x7f, v42
	v_cmp_ne_u32_e32 vcc, s83, v19
	v_mov_b32_e32 v18, 0x7f800001
	s_and_saveexec_b64 s[52:53], vcc
	s_cbranch_execz .LBB6_15555
; %bb.15554:                            ;   in Loop: Header=BB6_14344 Depth=3
	v_and_b32_e32 v21, 7, v1
	v_ffbh_u32_e32 v18, v21
	v_min_u32_e32 v24, 32, v18
	v_subrev_u32_e32 v18, 28, v24
	v_lshrrev_b32_e32 v22, 3, v19
	v_cmp_gt_u32_e32 vcc, 8, v19
	v_lshlrev_b64 v[18:19], v18, v[1:2]
	v_sub_u32_e32 v1, 29, v24
	v_and_b32_e32 v18, 7, v18
	v_cndmask_b32_e32 v1, v22, v1, vcc
	v_cndmask_b32_e32 v18, v21, v18, vcc
	v_lshlrev_b32_e32 v19, 24, v42
	v_bfrev_b32_e32 v21, 60
	v_lshlrev_b32_e32 v18, 20, v18
	v_and_b32_e32 v19, 0x80000000, v19
	v_lshl_add_u32 v1, v1, 23, v21
	v_or3_b32 v18, v19, v1, v18
.LBB6_15555:                            ;   in Loop: Header=BB6_14344 Depth=3
	s_or_b64 exec, exec, s[52:53]
.LBB6_15556:                            ;   in Loop: Header=BB6_14344 Depth=3
	s_or_b64 exec, exec, s[50:51]
.LBB6_15557:                            ;   in Loop: Header=BB6_14344 Depth=3
	s_or_b64 exec, exec, s[48:49]
	v_max_f32_e32 v1, v18, v18
	v_max_f32_e32 v2, v2, v2
	v_max_f32_e32 v1, v2, v1
	s_mov_b64 s[48:49], 0
.LBB6_15558:                            ;   in Loop: Header=BB6_14344 Depth=3
	s_and_b64 vcc, exec, s[48:49]
	s_cbranch_vccz .LBB6_15572
; %bb.15559:                            ;   in Loop: Header=BB6_14344 Depth=3
	v_mov_b32_e32 v2, 0
	v_mov_b32_e32 v1, 0
	s_and_saveexec_b64 s[48:49], s[40:41]
	s_cbranch_execz .LBB6_15565
; %bb.15560:                            ;   in Loop: Header=BB6_14344 Depth=3
	v_cmp_ne_u16_e32 vcc, s82, v0
	v_bfrev_b32_e32 v1, 1
	s_and_saveexec_b64 s[40:41], vcc
	s_cbranch_execz .LBB6_15564
; %bb.15561:                            ;   in Loop: Header=BB6_14344 Depth=3
	v_and_b32_e32 v18, 0x7f, v25
	v_cmp_ne_u32_e32 vcc, s83, v18
	v_mov_b32_e32 v1, 0x7f800001
	s_and_saveexec_b64 s[50:51], vcc
	s_cbranch_execz .LBB6_15563
; %bb.15562:                            ;   in Loop: Header=BB6_14344 Depth=3
	v_and_b32_e32 v19, 7, v0
	v_ffbh_u32_e32 v1, v19
	v_lshrrev_b32_e32 v21, 3, v18
	v_cmp_gt_u32_e32 vcc, 8, v18
	v_min_u32_e32 v18, 32, v1
	v_subrev_u32_e32 v1, 28, v18
	v_lshlrev_b64 v[0:1], v1, v[0:1]
	v_sub_u32_e32 v1, 29, v18
	v_and_b32_e32 v0, 7, v0
	v_cndmask_b32_e32 v1, v21, v1, vcc
	v_cndmask_b32_e32 v0, v19, v0, vcc
	v_lshlrev_b32_e32 v18, 24, v25
	v_bfrev_b32_e32 v19, 60
	v_lshlrev_b32_e32 v0, 20, v0
	v_and_b32_e32 v18, 0x80000000, v18
	v_lshl_add_u32 v1, v1, 23, v19
	v_or3_b32 v1, v18, v1, v0
.LBB6_15563:                            ;   in Loop: Header=BB6_14344 Depth=3
	s_or_b64 exec, exec, s[50:51]
.LBB6_15564:                            ;   in Loop: Header=BB6_14344 Depth=3
	s_or_b64 exec, exec, s[40:41]
.LBB6_15565:                            ;   in Loop: Header=BB6_14344 Depth=3
	s_or_b64 exec, exec, s[48:49]
	v_and_b32_e32 v0, 0xff, v42
	v_cmp_ne_u16_e32 vcc, 0, v0
	s_and_saveexec_b64 s[40:41], vcc
	s_cbranch_execz .LBB6_15571
; %bb.15566:                            ;   in Loop: Header=BB6_14344 Depth=3
	v_cmp_ne_u16_e32 vcc, s82, v0
	v_bfrev_b32_e32 v2, 1
	s_and_saveexec_b64 s[48:49], vcc
	s_cbranch_execz .LBB6_15570
; %bb.15567:                            ;   in Loop: Header=BB6_14344 Depth=3
	v_and_b32_e32 v18, 0x7f, v42
	v_cmp_ne_u32_e32 vcc, s83, v18
	v_mov_b32_e32 v2, 0x7f800001
	s_and_saveexec_b64 s[50:51], vcc
	s_cbranch_execz .LBB6_15569
; %bb.15568:                            ;   in Loop: Header=BB6_14344 Depth=3
	v_and_b32_e32 v2, 7, v0
	v_lshrrev_b32_e32 v21, 3, v18
	v_cmp_gt_u32_e32 vcc, 8, v18
	v_ffbh_u32_e32 v18, v2
	v_min_u32_e32 v22, 32, v18
	v_subrev_u32_e32 v18, 28, v22
	v_lshlrev_b64 v[18:19], v18, v[0:1]
	v_sub_u32_e32 v0, 29, v22
	v_and_b32_e32 v18, 7, v18
	v_cndmask_b32_e32 v0, v21, v0, vcc
	v_cndmask_b32_e32 v2, v2, v18, vcc
	v_lshlrev_b32_e32 v18, 24, v42
	v_bfrev_b32_e32 v19, 60
	v_lshlrev_b32_e32 v2, 20, v2
	v_and_b32_e32 v18, 0x80000000, v18
	v_lshl_add_u32 v0, v0, 23, v19
	v_or3_b32 v2, v18, v0, v2
.LBB6_15569:                            ;   in Loop: Header=BB6_14344 Depth=3
	s_or_b64 exec, exec, s[50:51]
.LBB6_15570:                            ;   in Loop: Header=BB6_14344 Depth=3
	s_or_b64 exec, exec, s[48:49]
.LBB6_15571:                            ;   in Loop: Header=BB6_14344 Depth=3
	s_or_b64 exec, exec, s[40:41]
	v_max_f32_e32 v0, v2, v2
	v_max_f32_e32 v1, v1, v1
	v_min_f32_e32 v1, v1, v0
.LBB6_15572:                            ;   in Loop: Header=BB6_14344 Depth=3
	v_and_b32_e32 v52, 0x7f800000, v1
	v_cmp_ne_u64_e32 vcc, s[76:77], v[52:53]
                                        ; implicit-def: $vgpr18
	s_and_saveexec_b64 s[40:41], vcc
	s_xor_b64 s[48:49], exec, s[40:41]
	s_cbranch_execz .LBB6_15590
; %bb.15573:                            ;   in Loop: Header=BB6_14344 Depth=3
	v_and_b32_e32 v52, 0x7fffffff, v1
	v_cmp_gt_u64_e32 vcc, s[78:79], v[52:53]
	v_and_b32_sdwa v19, v1, s82 dst_sel:DWORD dst_unused:UNUSED_PAD src0_sel:BYTE_3 src1_sel:DWORD
                                        ; implicit-def: $vgpr18
	s_and_saveexec_b64 s[40:41], vcc
	s_xor_b64 s[50:51], exec, s[40:41]
	s_cbranch_execz .LBB6_15587
; %bb.15574:                            ;   in Loop: Header=BB6_14344 Depth=3
	v_cmp_ne_u32_e32 vcc, 0, v1
	v_mov_b32_e32 v18, 0
	s_and_saveexec_b64 s[52:53], vcc
	s_cbranch_execz .LBB6_15586
; %bb.15575:                            ;   in Loop: Header=BB6_14344 Depth=3
	v_bfe_u32 v18, v1, 23, 8
	v_and_b32_e32 v0, 0x7fffff, v1
	v_cmp_gt_u32_e64 s[40:41], s85, v18
	v_sub_u32_e32 v1, 0x79, v18
	v_cmp_eq_u32_e32 vcc, 0, v18
	v_cndmask_b32_e64 v1, 0, v1, s[40:41]
	v_mov_b32_e32 v21, 0x78
	v_or_b32_e32 v2, 0x800000, v0
	v_cndmask_b32_e32 v21, v1, v21, vcc
	v_cndmask_b32_e32 v52, v2, v0, vcc
	v_add_u32_e32 v0, 20, v21
	v_lshlrev_b64 v[0:1], v0, -1
	v_add_u32_e32 v2, 19, v21
	v_lshlrev_b64 v[24:25], v2, 1
	v_bfi_b32 v1, v1, 0, 0
	v_bfi_b32 v0, v0, 0, v52
	v_cmp_eq_u64_e64 s[40:41], v[0:1], v[24:25]
	v_lshrrev_b64 v[0:1], v21, v[52:53]
	v_mov_b32_e32 v2, v1
	v_mov_b32_e32 v1, v0
	s_and_saveexec_b64 s[54:55], s[40:41]
; %bb.15576:                            ;   in Loop: Header=BB6_14344 Depth=3
	v_bfe_u32 v1, v0, 20, 1
	v_add_co_u32_e64 v1, s[40:41], v0, v1
	v_add_co_u32_e64 v1, s[40:41], -1, v1
; %bb.15577:                            ;   in Loop: Header=BB6_14344 Depth=3
	s_or_b64 exec, exec, s[54:55]
	v_add_u32_e32 v2, 0xffffff81, v18
	v_mov_b32_e32 v18, 0xffffff82
	v_cndmask_b32_e32 v2, v2, v18, vcc
	v_lshrrev_b32_e32 v18, 23, v0
	v_add3_u32 v21, v21, v2, v18
	v_add_u32_e32 v18, 6, v21
	v_and_b32_e32 v1, 0xfffff, v1
	v_add_u32_e32 v52, v1, v0
	v_cmp_ne_u32_e32 vcc, 0, v18
                                        ; implicit-def: $vgpr0_vgpr1
                                        ; implicit-def: $vgpr2
	s_and_saveexec_b64 s[40:41], vcc
	s_xor_b64 s[40:41], exec, s[40:41]
; %bb.15578:                            ;   in Loop: Header=BB6_14344 Depth=3
	v_cmp_lt_u64_e32 vcc, s[88:89], v[52:53]
	v_add_u32_e32 v0, 7, v21
	v_cndmask_b32_e32 v2, v18, v0, vcc
	v_cndmask_b32_e64 v0, 0, 1, vcc
	v_lshrrev_b64 v[0:1], v0, v[52:53]
; %bb.15579:                            ;   in Loop: Header=BB6_14344 Depth=3
	s_andn2_saveexec_b64 s[40:41], s[40:41]
; %bb.15580:                            ;   in Loop: Header=BB6_14344 Depth=3
	v_mov_b32_e32 v0, v52
	v_bfe_u32 v2, v52, 23, 1
	v_mov_b32_e32 v1, v53
; %bb.15581:                            ;   in Loop: Header=BB6_14344 Depth=3
	s_or_b64 exec, exec, s[40:41]
	v_lshrrev_b64 v[0:1], 20, v[0:1]
	v_cmp_gt_i32_e32 vcc, 16, v2
	v_cndmask_b32_e32 v1, 0, v1, vcc
	v_cndmask_b32_e32 v0, 7, v0, vcc
	v_cmp_ne_u64_e32 vcc, 0, v[0:1]
	v_cmp_ne_u32_e64 s[40:41], 0, v2
	s_or_b64 s[40:41], s[40:41], vcc
                                        ; implicit-def: $vgpr18
	s_and_saveexec_b64 vcc, s[40:41]
	s_xor_b64 s[40:41], exec, vcc
; %bb.15582:                            ;   in Loop: Header=BB6_14344 Depth=3
	v_min_i32_e32 v1, 15, v2
	v_lshl_or_b32 v1, v1, 3, v19
	v_and_or_b32 v18, v0, 7, v1
                                        ; implicit-def: $vgpr19
; %bb.15583:                            ;   in Loop: Header=BB6_14344 Depth=3
	s_andn2_saveexec_b64 s[40:41], s[40:41]
; %bb.15584:                            ;   in Loop: Header=BB6_14344 Depth=3
	v_mov_b32_e32 v18, v19
; %bb.15585:                            ;   in Loop: Header=BB6_14344 Depth=3
	s_or_b64 exec, exec, s[40:41]
.LBB6_15586:                            ;   in Loop: Header=BB6_14344 Depth=3
	s_or_b64 exec, exec, s[52:53]
                                        ; implicit-def: $vgpr19
.LBB6_15587:                            ;   in Loop: Header=BB6_14344 Depth=3
	s_andn2_saveexec_b64 s[40:41], s[50:51]
; %bb.15588:                            ;   in Loop: Header=BB6_14344 Depth=3
	v_or_b32_e32 v18, 0x7e, v19
; %bb.15589:                            ;   in Loop: Header=BB6_14344 Depth=3
	s_or_b64 exec, exec, s[40:41]
                                        ; implicit-def: $vgpr1
.LBB6_15590:                            ;   in Loop: Header=BB6_14344 Depth=3
	s_andn2_saveexec_b64 s[40:41], s[48:49]
; %bb.15591:                            ;   in Loop: Header=BB6_14344 Depth=3
	v_or_b32_sdwa v18, v1, s83 dst_sel:DWORD dst_unused:UNUSED_PAD src0_sel:BYTE_3 src1_sel:DWORD
; %bb.15592:                            ;   in Loop: Header=BB6_14344 Depth=3
	s_or_b64 exec, exec, s[40:41]
	v_and_b32_e32 v0, 0xff, v55
	v_cmp_ne_u16_e64 s[40:41], 0, v0
	s_and_b64 vcc, exec, s[28:29]
	s_mov_b64 s[48:49], -1
                                        ; implicit-def: $vgpr1
	s_cbranch_vccnz .LBB6_15606
; %bb.15593:                            ;   in Loop: Header=BB6_14344 Depth=3
	v_mov_b32_e32 v19, 0
	v_mov_b32_e32 v2, 0
	s_and_saveexec_b64 s[48:49], s[40:41]
	s_cbranch_execz .LBB6_15599
; %bb.15594:                            ;   in Loop: Header=BB6_14344 Depth=3
	v_cmp_ne_u16_e32 vcc, s82, v0
	v_bfrev_b32_e32 v2, 1
	s_and_saveexec_b64 s[50:51], vcc
	s_cbranch_execz .LBB6_15598
; %bb.15595:                            ;   in Loop: Header=BB6_14344 Depth=3
	v_and_b32_e32 v1, 0x7f, v55
	v_cmp_ne_u32_e32 vcc, s83, v1
	v_mov_b32_e32 v2, 0x7f800001
	s_and_saveexec_b64 s[52:53], vcc
	s_cbranch_execz .LBB6_15597
; %bb.15596:                            ;   in Loop: Header=BB6_14344 Depth=3
	v_and_b32_e32 v21, 7, v0
	v_lshrrev_b32_e32 v22, 3, v1
	v_cmp_gt_u32_e32 vcc, 8, v1
	v_ffbh_u32_e32 v1, v21
	v_min_u32_e32 v24, 32, v1
	v_subrev_u32_e32 v1, 28, v24
	v_lshlrev_b64 v[1:2], v1, v[0:1]
	v_sub_u32_e32 v2, 29, v24
	v_and_b32_e32 v1, 7, v1
	v_cndmask_b32_e32 v2, v22, v2, vcc
	v_cndmask_b32_e32 v1, v21, v1, vcc
	v_lshlrev_b32_e32 v21, 24, v55
	v_bfrev_b32_e32 v22, 60
	v_lshlrev_b32_e32 v1, 20, v1
	v_and_b32_e32 v21, 0x80000000, v21
	v_lshl_add_u32 v2, v2, 23, v22
	v_or3_b32 v2, v21, v2, v1
.LBB6_15597:                            ;   in Loop: Header=BB6_14344 Depth=3
	s_or_b64 exec, exec, s[52:53]
.LBB6_15598:                            ;   in Loop: Header=BB6_14344 Depth=3
	s_or_b64 exec, exec, s[50:51]
.LBB6_15599:                            ;   in Loop: Header=BB6_14344 Depth=3
	s_or_b64 exec, exec, s[48:49]
	v_and_b32_e32 v1, 0xff, v26
	v_cmp_ne_u16_e32 vcc, 0, v1
	s_and_saveexec_b64 s[48:49], vcc
	s_cbranch_execz .LBB6_15605
; %bb.15600:                            ;   in Loop: Header=BB6_14344 Depth=3
	v_cmp_ne_u16_e32 vcc, s82, v1
	v_bfrev_b32_e32 v19, 1
	s_and_saveexec_b64 s[50:51], vcc
	s_cbranch_execz .LBB6_15604
; %bb.15601:                            ;   in Loop: Header=BB6_14344 Depth=3
	v_and_b32_e32 v21, 0x7f, v26
	v_cmp_ne_u32_e32 vcc, s83, v21
	v_mov_b32_e32 v19, 0x7f800001
	s_and_saveexec_b64 s[52:53], vcc
	s_cbranch_execz .LBB6_15603
; %bb.15602:                            ;   in Loop: Header=BB6_14344 Depth=3
	v_and_b32_e32 v19, 7, v1
	v_lshrrev_b32_e32 v24, 3, v21
	v_cmp_gt_u32_e32 vcc, 8, v21
	v_ffbh_u32_e32 v21, v19
	v_min_u32_e32 v25, 32, v21
	v_subrev_u32_e32 v21, 28, v25
	v_lshlrev_b64 v[21:22], v21, v[1:2]
	v_sub_u32_e32 v1, 29, v25
	v_and_b32_e32 v21, 7, v21
	v_cndmask_b32_e32 v1, v24, v1, vcc
	v_cndmask_b32_e32 v19, v19, v21, vcc
	v_lshlrev_b32_e32 v21, 24, v26
	v_bfrev_b32_e32 v22, 60
	v_lshlrev_b32_e32 v19, 20, v19
	v_and_b32_e32 v21, 0x80000000, v21
	v_lshl_add_u32 v1, v1, 23, v22
	v_or3_b32 v19, v21, v1, v19
.LBB6_15603:                            ;   in Loop: Header=BB6_14344 Depth=3
	s_or_b64 exec, exec, s[52:53]
.LBB6_15604:                            ;   in Loop: Header=BB6_14344 Depth=3
	s_or_b64 exec, exec, s[50:51]
.LBB6_15605:                            ;   in Loop: Header=BB6_14344 Depth=3
	s_or_b64 exec, exec, s[48:49]
	v_max_f32_e32 v1, v19, v19
	v_max_f32_e32 v2, v2, v2
	v_max_f32_e32 v1, v2, v1
	s_mov_b64 s[48:49], 0
.LBB6_15606:                            ;   in Loop: Header=BB6_14344 Depth=3
	s_and_b64 vcc, exec, s[48:49]
	s_cbranch_vccz .LBB6_15620
; %bb.15607:                            ;   in Loop: Header=BB6_14344 Depth=3
	v_mov_b32_e32 v2, 0
	v_mov_b32_e32 v1, 0
	s_and_saveexec_b64 s[48:49], s[40:41]
	s_cbranch_execz .LBB6_15613
; %bb.15608:                            ;   in Loop: Header=BB6_14344 Depth=3
	v_cmp_ne_u16_e32 vcc, s82, v0
	v_bfrev_b32_e32 v1, 1
	s_and_saveexec_b64 s[40:41], vcc
	s_cbranch_execz .LBB6_15612
; %bb.15609:                            ;   in Loop: Header=BB6_14344 Depth=3
	v_and_b32_e32 v19, 0x7f, v55
	v_cmp_ne_u32_e32 vcc, s83, v19
	v_mov_b32_e32 v1, 0x7f800001
	s_and_saveexec_b64 s[50:51], vcc
	s_cbranch_execz .LBB6_15611
; %bb.15610:                            ;   in Loop: Header=BB6_14344 Depth=3
	v_and_b32_e32 v21, 7, v0
	v_ffbh_u32_e32 v1, v21
	v_lshrrev_b32_e32 v22, 3, v19
	v_cmp_gt_u32_e32 vcc, 8, v19
	v_min_u32_e32 v19, 32, v1
	v_subrev_u32_e32 v1, 28, v19
	v_lshlrev_b64 v[0:1], v1, v[0:1]
	v_sub_u32_e32 v1, 29, v19
	v_and_b32_e32 v0, 7, v0
	v_cndmask_b32_e32 v1, v22, v1, vcc
	v_cndmask_b32_e32 v0, v21, v0, vcc
	v_lshlrev_b32_e32 v19, 24, v55
	v_bfrev_b32_e32 v21, 60
	v_lshlrev_b32_e32 v0, 20, v0
	v_and_b32_e32 v19, 0x80000000, v19
	v_lshl_add_u32 v1, v1, 23, v21
	v_or3_b32 v1, v19, v1, v0
.LBB6_15611:                            ;   in Loop: Header=BB6_14344 Depth=3
	s_or_b64 exec, exec, s[50:51]
.LBB6_15612:                            ;   in Loop: Header=BB6_14344 Depth=3
	s_or_b64 exec, exec, s[40:41]
.LBB6_15613:                            ;   in Loop: Header=BB6_14344 Depth=3
	s_or_b64 exec, exec, s[48:49]
	v_and_b32_e32 v0, 0xff, v26
	v_cmp_ne_u16_e32 vcc, 0, v0
	s_and_saveexec_b64 s[40:41], vcc
	s_cbranch_execz .LBB6_15619
; %bb.15614:                            ;   in Loop: Header=BB6_14344 Depth=3
	v_cmp_ne_u16_e32 vcc, s82, v0
	v_bfrev_b32_e32 v2, 1
	s_and_saveexec_b64 s[48:49], vcc
	s_cbranch_execz .LBB6_15618
; %bb.15615:                            ;   in Loop: Header=BB6_14344 Depth=3
	v_and_b32_e32 v19, 0x7f, v26
	v_cmp_ne_u32_e32 vcc, s83, v19
	v_mov_b32_e32 v2, 0x7f800001
	s_and_saveexec_b64 s[50:51], vcc
	s_cbranch_execz .LBB6_15617
; %bb.15616:                            ;   in Loop: Header=BB6_14344 Depth=3
	v_and_b32_e32 v2, 7, v0
	v_lshrrev_b32_e32 v24, 3, v19
	v_cmp_gt_u32_e32 vcc, 8, v19
	v_ffbh_u32_e32 v19, v2
	v_min_u32_e32 v19, 32, v19
	v_subrev_u32_e32 v21, 28, v19
	v_lshlrev_b64 v[21:22], v21, v[0:1]
	v_sub_u32_e32 v0, 29, v19
	v_and_b32_e32 v19, 7, v21
	v_cndmask_b32_e32 v0, v24, v0, vcc
	v_cndmask_b32_e32 v2, v2, v19, vcc
	v_lshlrev_b32_e32 v19, 24, v26
	v_bfrev_b32_e32 v21, 60
	v_lshlrev_b32_e32 v2, 20, v2
	v_and_b32_e32 v19, 0x80000000, v19
	v_lshl_add_u32 v0, v0, 23, v21
	v_or3_b32 v2, v19, v0, v2
.LBB6_15617:                            ;   in Loop: Header=BB6_14344 Depth=3
	s_or_b64 exec, exec, s[50:51]
.LBB6_15618:                            ;   in Loop: Header=BB6_14344 Depth=3
	s_or_b64 exec, exec, s[48:49]
.LBB6_15619:                            ;   in Loop: Header=BB6_14344 Depth=3
	s_or_b64 exec, exec, s[40:41]
	v_max_f32_e32 v0, v2, v2
	v_max_f32_e32 v1, v1, v1
	v_min_f32_e32 v1, v1, v0
.LBB6_15620:                            ;   in Loop: Header=BB6_14344 Depth=3
	v_and_b32_e32 v52, 0x7f800000, v1
	v_cmp_ne_u64_e32 vcc, s[76:77], v[52:53]
                                        ; implicit-def: $vgpr19
	s_and_saveexec_b64 s[40:41], vcc
	s_xor_b64 s[48:49], exec, s[40:41]
	s_cbranch_execz .LBB6_15638
; %bb.15621:                            ;   in Loop: Header=BB6_14344 Depth=3
	v_and_b32_e32 v52, 0x7fffffff, v1
	v_cmp_gt_u64_e32 vcc, s[78:79], v[52:53]
	v_and_b32_sdwa v21, v1, s82 dst_sel:DWORD dst_unused:UNUSED_PAD src0_sel:BYTE_3 src1_sel:DWORD
                                        ; implicit-def: $vgpr19
	s_and_saveexec_b64 s[40:41], vcc
	s_xor_b64 s[50:51], exec, s[40:41]
	s_cbranch_execz .LBB6_15635
; %bb.15622:                            ;   in Loop: Header=BB6_14344 Depth=3
	v_cmp_ne_u32_e32 vcc, 0, v1
	v_mov_b32_e32 v19, 0
	s_and_saveexec_b64 s[52:53], vcc
	s_cbranch_execz .LBB6_15634
; %bb.15623:                            ;   in Loop: Header=BB6_14344 Depth=3
	v_bfe_u32 v19, v1, 23, 8
	v_and_b32_e32 v0, 0x7fffff, v1
	v_cmp_gt_u32_e64 s[40:41], s85, v19
	v_sub_u32_e32 v1, 0x79, v19
	v_cmp_eq_u32_e32 vcc, 0, v19
	v_cndmask_b32_e64 v1, 0, v1, s[40:41]
	v_mov_b32_e32 v22, 0x78
	v_or_b32_e32 v2, 0x800000, v0
	v_cndmask_b32_e32 v22, v1, v22, vcc
	v_cndmask_b32_e32 v52, v2, v0, vcc
	v_add_u32_e32 v0, 20, v22
	v_lshlrev_b64 v[0:1], v0, -1
	v_add_u32_e32 v2, 19, v22
	v_lshlrev_b64 v[24:25], v2, 1
	v_bfi_b32 v1, v1, 0, 0
	v_bfi_b32 v0, v0, 0, v52
	v_cmp_eq_u64_e64 s[40:41], v[0:1], v[24:25]
	v_lshrrev_b64 v[0:1], v22, v[52:53]
	v_mov_b32_e32 v2, v1
	v_mov_b32_e32 v1, v0
	s_and_saveexec_b64 s[54:55], s[40:41]
; %bb.15624:                            ;   in Loop: Header=BB6_14344 Depth=3
	v_bfe_u32 v1, v0, 20, 1
	v_add_co_u32_e64 v1, s[40:41], v0, v1
	v_add_co_u32_e64 v1, s[40:41], -1, v1
; %bb.15625:                            ;   in Loop: Header=BB6_14344 Depth=3
	s_or_b64 exec, exec, s[54:55]
	v_add_u32_e32 v2, 0xffffff81, v19
	v_mov_b32_e32 v19, 0xffffff82
	v_cndmask_b32_e32 v2, v2, v19, vcc
	v_lshrrev_b32_e32 v19, 23, v0
	v_add3_u32 v22, v22, v2, v19
	v_add_u32_e32 v19, 6, v22
	v_and_b32_e32 v1, 0xfffff, v1
	v_add_u32_e32 v52, v1, v0
	v_cmp_ne_u32_e32 vcc, 0, v19
                                        ; implicit-def: $vgpr0_vgpr1
                                        ; implicit-def: $vgpr2
	s_and_saveexec_b64 s[40:41], vcc
	s_xor_b64 s[40:41], exec, s[40:41]
; %bb.15626:                            ;   in Loop: Header=BB6_14344 Depth=3
	v_cmp_lt_u64_e32 vcc, s[88:89], v[52:53]
	v_add_u32_e32 v0, 7, v22
	v_cndmask_b32_e32 v2, v19, v0, vcc
	v_cndmask_b32_e64 v0, 0, 1, vcc
	v_lshrrev_b64 v[0:1], v0, v[52:53]
; %bb.15627:                            ;   in Loop: Header=BB6_14344 Depth=3
	s_andn2_saveexec_b64 s[40:41], s[40:41]
; %bb.15628:                            ;   in Loop: Header=BB6_14344 Depth=3
	v_mov_b32_e32 v0, v52
	v_bfe_u32 v2, v52, 23, 1
	v_mov_b32_e32 v1, v53
; %bb.15629:                            ;   in Loop: Header=BB6_14344 Depth=3
	s_or_b64 exec, exec, s[40:41]
	v_lshrrev_b64 v[0:1], 20, v[0:1]
	v_cmp_gt_i32_e32 vcc, 16, v2
	v_cndmask_b32_e32 v1, 0, v1, vcc
	v_cndmask_b32_e32 v0, 7, v0, vcc
	v_cmp_ne_u64_e32 vcc, 0, v[0:1]
	v_cmp_ne_u32_e64 s[40:41], 0, v2
	s_or_b64 s[40:41], s[40:41], vcc
                                        ; implicit-def: $vgpr19
	s_and_saveexec_b64 vcc, s[40:41]
	s_xor_b64 s[40:41], exec, vcc
; %bb.15630:                            ;   in Loop: Header=BB6_14344 Depth=3
	v_min_i32_e32 v1, 15, v2
	v_lshl_or_b32 v1, v1, 3, v21
	v_and_or_b32 v19, v0, 7, v1
                                        ; implicit-def: $vgpr21
; %bb.15631:                            ;   in Loop: Header=BB6_14344 Depth=3
	s_andn2_saveexec_b64 s[40:41], s[40:41]
; %bb.15632:                            ;   in Loop: Header=BB6_14344 Depth=3
	v_mov_b32_e32 v19, v21
; %bb.15633:                            ;   in Loop: Header=BB6_14344 Depth=3
	s_or_b64 exec, exec, s[40:41]
.LBB6_15634:                            ;   in Loop: Header=BB6_14344 Depth=3
	s_or_b64 exec, exec, s[52:53]
                                        ; implicit-def: $vgpr21
.LBB6_15635:                            ;   in Loop: Header=BB6_14344 Depth=3
	s_andn2_saveexec_b64 s[40:41], s[50:51]
; %bb.15636:                            ;   in Loop: Header=BB6_14344 Depth=3
	v_or_b32_e32 v19, 0x7e, v21
; %bb.15637:                            ;   in Loop: Header=BB6_14344 Depth=3
	s_or_b64 exec, exec, s[40:41]
                                        ; implicit-def: $vgpr1
.LBB6_15638:                            ;   in Loop: Header=BB6_14344 Depth=3
	s_andn2_saveexec_b64 s[40:41], s[48:49]
; %bb.15639:                            ;   in Loop: Header=BB6_14344 Depth=3
	v_or_b32_sdwa v19, v1, s83 dst_sel:DWORD dst_unused:UNUSED_PAD src0_sel:BYTE_3 src1_sel:DWORD
; %bb.15640:                            ;   in Loop: Header=BB6_14344 Depth=3
	s_or_b64 exec, exec, s[40:41]
	s_waitcnt vmcnt(1)
	v_and_b32_e32 v0, 0xff, v41
	v_cmp_ne_u16_e64 s[40:41], 0, v0
	s_and_b64 vcc, exec, s[28:29]
	s_mov_b64 s[48:49], -1
                                        ; implicit-def: $vgpr1
	s_cbranch_vccnz .LBB6_15654
; %bb.15641:                            ;   in Loop: Header=BB6_14344 Depth=3
	v_mov_b32_e32 v21, 0
	v_mov_b32_e32 v2, 0
	s_and_saveexec_b64 s[48:49], s[40:41]
	s_cbranch_execz .LBB6_15647
; %bb.15642:                            ;   in Loop: Header=BB6_14344 Depth=3
	v_cmp_ne_u16_e32 vcc, s82, v0
	v_bfrev_b32_e32 v2, 1
	s_and_saveexec_b64 s[50:51], vcc
	s_cbranch_execz .LBB6_15646
; %bb.15643:                            ;   in Loop: Header=BB6_14344 Depth=3
	v_and_b32_e32 v1, 0x7f, v41
	v_cmp_ne_u32_e32 vcc, s83, v1
	v_mov_b32_e32 v2, 0x7f800001
	s_and_saveexec_b64 s[52:53], vcc
	s_cbranch_execz .LBB6_15645
; %bb.15644:                            ;   in Loop: Header=BB6_14344 Depth=3
	v_and_b32_e32 v22, 7, v0
	v_lshrrev_b32_e32 v24, 3, v1
	v_cmp_gt_u32_e32 vcc, 8, v1
	v_ffbh_u32_e32 v1, v22
	v_min_u32_e32 v25, 32, v1
	v_subrev_u32_e32 v1, 28, v25
	v_lshlrev_b64 v[1:2], v1, v[0:1]
	v_sub_u32_e32 v2, 29, v25
	v_and_b32_e32 v1, 7, v1
	v_cndmask_b32_e32 v2, v24, v2, vcc
	v_cndmask_b32_e32 v1, v22, v1, vcc
	v_lshlrev_b32_e32 v22, 24, v41
	v_bfrev_b32_e32 v24, 60
	v_lshlrev_b32_e32 v1, 20, v1
	v_and_b32_e32 v22, 0x80000000, v22
	v_lshl_add_u32 v2, v2, 23, v24
	v_or3_b32 v2, v22, v2, v1
.LBB6_15645:                            ;   in Loop: Header=BB6_14344 Depth=3
	s_or_b64 exec, exec, s[52:53]
.LBB6_15646:                            ;   in Loop: Header=BB6_14344 Depth=3
	s_or_b64 exec, exec, s[50:51]
.LBB6_15647:                            ;   in Loop: Header=BB6_14344 Depth=3
	s_or_b64 exec, exec, s[48:49]
	v_and_b32_e32 v1, 0xff, v27
	v_cmp_ne_u16_e32 vcc, 0, v1
	s_and_saveexec_b64 s[48:49], vcc
	s_cbranch_execz .LBB6_15653
; %bb.15648:                            ;   in Loop: Header=BB6_14344 Depth=3
	v_cmp_ne_u16_e32 vcc, s82, v1
	v_bfrev_b32_e32 v21, 1
	s_and_saveexec_b64 s[50:51], vcc
	s_cbranch_execz .LBB6_15652
; %bb.15649:                            ;   in Loop: Header=BB6_14344 Depth=3
	v_and_b32_e32 v22, 0x7f, v27
	v_cmp_ne_u32_e32 vcc, s83, v22
	v_mov_b32_e32 v21, 0x7f800001
	s_and_saveexec_b64 s[52:53], vcc
	s_cbranch_execz .LBB6_15651
; %bb.15650:                            ;   in Loop: Header=BB6_14344 Depth=3
	v_and_b32_e32 v24, 7, v1
	v_ffbh_u32_e32 v21, v24
	v_min_u32_e32 v26, 32, v21
	v_subrev_u32_e32 v21, 28, v26
	v_lshrrev_b32_e32 v25, 3, v22
	v_cmp_gt_u32_e32 vcc, 8, v22
	v_lshlrev_b64 v[21:22], v21, v[1:2]
	v_sub_u32_e32 v1, 29, v26
	v_and_b32_e32 v21, 7, v21
	v_cndmask_b32_e32 v1, v25, v1, vcc
	v_cndmask_b32_e32 v21, v24, v21, vcc
	v_lshlrev_b32_e32 v22, 24, v27
	v_bfrev_b32_e32 v24, 60
	v_lshlrev_b32_e32 v21, 20, v21
	v_and_b32_e32 v22, 0x80000000, v22
	v_lshl_add_u32 v1, v1, 23, v24
	v_or3_b32 v21, v22, v1, v21
.LBB6_15651:                            ;   in Loop: Header=BB6_14344 Depth=3
	s_or_b64 exec, exec, s[52:53]
.LBB6_15652:                            ;   in Loop: Header=BB6_14344 Depth=3
	s_or_b64 exec, exec, s[50:51]
.LBB6_15653:                            ;   in Loop: Header=BB6_14344 Depth=3
	s_or_b64 exec, exec, s[48:49]
	v_max_f32_e32 v1, v21, v21
	v_max_f32_e32 v2, v2, v2
	;; [unrolled: 1-line block ×3, first 2 shown]
	s_mov_b64 s[48:49], 0
.LBB6_15654:                            ;   in Loop: Header=BB6_14344 Depth=3
	s_and_b64 vcc, exec, s[48:49]
	s_cbranch_vccz .LBB6_15668
; %bb.15655:                            ;   in Loop: Header=BB6_14344 Depth=3
	v_mov_b32_e32 v2, 0
	v_mov_b32_e32 v1, 0
	s_and_saveexec_b64 s[48:49], s[40:41]
	s_cbranch_execz .LBB6_15661
; %bb.15656:                            ;   in Loop: Header=BB6_14344 Depth=3
	v_cmp_ne_u16_e32 vcc, s82, v0
	v_bfrev_b32_e32 v1, 1
	s_and_saveexec_b64 s[40:41], vcc
	s_cbranch_execz .LBB6_15660
; %bb.15657:                            ;   in Loop: Header=BB6_14344 Depth=3
	v_and_b32_e32 v21, 0x7f, v41
	v_cmp_ne_u32_e32 vcc, s83, v21
	v_mov_b32_e32 v1, 0x7f800001
	s_and_saveexec_b64 s[50:51], vcc
	s_cbranch_execz .LBB6_15659
; %bb.15658:                            ;   in Loop: Header=BB6_14344 Depth=3
	v_and_b32_e32 v22, 7, v0
	v_ffbh_u32_e32 v1, v22
	v_lshrrev_b32_e32 v24, 3, v21
	v_cmp_gt_u32_e32 vcc, 8, v21
	v_min_u32_e32 v21, 32, v1
	v_subrev_u32_e32 v1, 28, v21
	v_lshlrev_b64 v[0:1], v1, v[0:1]
	v_sub_u32_e32 v1, 29, v21
	v_and_b32_e32 v0, 7, v0
	v_cndmask_b32_e32 v1, v24, v1, vcc
	v_cndmask_b32_e32 v0, v22, v0, vcc
	v_lshlrev_b32_e32 v21, 24, v41
	v_bfrev_b32_e32 v22, 60
	v_lshlrev_b32_e32 v0, 20, v0
	v_and_b32_e32 v21, 0x80000000, v21
	v_lshl_add_u32 v1, v1, 23, v22
	v_or3_b32 v1, v21, v1, v0
.LBB6_15659:                            ;   in Loop: Header=BB6_14344 Depth=3
	s_or_b64 exec, exec, s[50:51]
.LBB6_15660:                            ;   in Loop: Header=BB6_14344 Depth=3
	s_or_b64 exec, exec, s[40:41]
.LBB6_15661:                            ;   in Loop: Header=BB6_14344 Depth=3
	s_or_b64 exec, exec, s[48:49]
	v_and_b32_e32 v0, 0xff, v27
	v_cmp_ne_u16_e32 vcc, 0, v0
	s_and_saveexec_b64 s[40:41], vcc
	s_cbranch_execz .LBB6_15667
; %bb.15662:                            ;   in Loop: Header=BB6_14344 Depth=3
	v_cmp_ne_u16_e32 vcc, s82, v0
	v_bfrev_b32_e32 v2, 1
	s_and_saveexec_b64 s[48:49], vcc
	s_cbranch_execz .LBB6_15666
; %bb.15663:                            ;   in Loop: Header=BB6_14344 Depth=3
	v_and_b32_e32 v21, 0x7f, v27
	v_cmp_ne_u32_e32 vcc, s83, v21
	v_mov_b32_e32 v2, 0x7f800001
	s_and_saveexec_b64 s[50:51], vcc
	s_cbranch_execz .LBB6_15665
; %bb.15664:                            ;   in Loop: Header=BB6_14344 Depth=3
	v_and_b32_e32 v2, 7, v0
	v_lshrrev_b32_e32 v24, 3, v21
	v_cmp_gt_u32_e32 vcc, 8, v21
	v_ffbh_u32_e32 v21, v2
	v_min_u32_e32 v25, 32, v21
	v_subrev_u32_e32 v21, 28, v25
	v_lshlrev_b64 v[21:22], v21, v[0:1]
	v_sub_u32_e32 v0, 29, v25
	v_and_b32_e32 v21, 7, v21
	v_cndmask_b32_e32 v0, v24, v0, vcc
	v_cndmask_b32_e32 v2, v2, v21, vcc
	v_lshlrev_b32_e32 v21, 24, v27
	v_bfrev_b32_e32 v22, 60
	v_lshlrev_b32_e32 v2, 20, v2
	v_and_b32_e32 v21, 0x80000000, v21
	v_lshl_add_u32 v0, v0, 23, v22
	v_or3_b32 v2, v21, v0, v2
.LBB6_15665:                            ;   in Loop: Header=BB6_14344 Depth=3
	s_or_b64 exec, exec, s[50:51]
.LBB6_15666:                            ;   in Loop: Header=BB6_14344 Depth=3
	s_or_b64 exec, exec, s[48:49]
.LBB6_15667:                            ;   in Loop: Header=BB6_14344 Depth=3
	s_or_b64 exec, exec, s[40:41]
	v_max_f32_e32 v0, v2, v2
	v_max_f32_e32 v1, v1, v1
	v_min_f32_e32 v1, v1, v0
.LBB6_15668:                            ;   in Loop: Header=BB6_14344 Depth=3
	v_and_b32_e32 v52, 0x7f800000, v1
	v_cmp_ne_u64_e32 vcc, s[76:77], v[52:53]
                                        ; implicit-def: $vgpr26
	s_and_saveexec_b64 s[40:41], vcc
	s_xor_b64 s[48:49], exec, s[40:41]
	s_cbranch_execz .LBB6_15686
; %bb.15669:                            ;   in Loop: Header=BB6_14344 Depth=3
	v_and_b32_e32 v52, 0x7fffffff, v1
	v_cmp_gt_u64_e32 vcc, s[78:79], v[52:53]
	v_and_b32_sdwa v21, v1, s82 dst_sel:DWORD dst_unused:UNUSED_PAD src0_sel:BYTE_3 src1_sel:DWORD
                                        ; implicit-def: $vgpr26
	s_and_saveexec_b64 s[40:41], vcc
	s_xor_b64 s[50:51], exec, s[40:41]
	s_cbranch_execz .LBB6_15683
; %bb.15670:                            ;   in Loop: Header=BB6_14344 Depth=3
	v_cmp_ne_u32_e32 vcc, 0, v1
	v_mov_b32_e32 v26, 0
	s_and_saveexec_b64 s[52:53], vcc
	s_cbranch_execz .LBB6_15682
; %bb.15671:                            ;   in Loop: Header=BB6_14344 Depth=3
	v_bfe_u32 v22, v1, 23, 8
	v_and_b32_e32 v0, 0x7fffff, v1
	v_cmp_gt_u32_e64 s[40:41], s85, v22
	v_sub_u32_e32 v1, 0x79, v22
	v_cmp_eq_u32_e32 vcc, 0, v22
	v_cndmask_b32_e64 v1, 0, v1, s[40:41]
	v_mov_b32_e32 v24, 0x78
	v_or_b32_e32 v2, 0x800000, v0
	v_cndmask_b32_e32 v24, v1, v24, vcc
	v_cndmask_b32_e32 v52, v2, v0, vcc
	v_add_u32_e32 v0, 20, v24
	v_lshlrev_b64 v[0:1], v0, -1
	v_add_u32_e32 v2, 19, v24
	v_lshlrev_b64 v[25:26], v2, 1
	v_bfi_b32 v1, v1, 0, 0
	v_bfi_b32 v0, v0, 0, v52
	v_cmp_eq_u64_e64 s[40:41], v[0:1], v[25:26]
	v_lshrrev_b64 v[0:1], v24, v[52:53]
	v_mov_b32_e32 v2, v1
	v_mov_b32_e32 v1, v0
	s_and_saveexec_b64 s[54:55], s[40:41]
; %bb.15672:                            ;   in Loop: Header=BB6_14344 Depth=3
	v_bfe_u32 v1, v0, 20, 1
	v_add_co_u32_e64 v1, s[40:41], v0, v1
	v_add_co_u32_e64 v1, s[40:41], -1, v1
; %bb.15673:                            ;   in Loop: Header=BB6_14344 Depth=3
	s_or_b64 exec, exec, s[54:55]
	v_add_u32_e32 v2, 0xffffff81, v22
	v_mov_b32_e32 v22, 0xffffff82
	v_cndmask_b32_e32 v2, v2, v22, vcc
	v_lshrrev_b32_e32 v22, 23, v0
	v_add3_u32 v24, v24, v2, v22
	v_add_u32_e32 v22, 6, v24
	v_and_b32_e32 v1, 0xfffff, v1
	v_add_u32_e32 v52, v1, v0
	v_cmp_ne_u32_e32 vcc, 0, v22
                                        ; implicit-def: $vgpr0_vgpr1
                                        ; implicit-def: $vgpr2
	s_and_saveexec_b64 s[40:41], vcc
	s_xor_b64 s[40:41], exec, s[40:41]
; %bb.15674:                            ;   in Loop: Header=BB6_14344 Depth=3
	v_cmp_lt_u64_e32 vcc, s[88:89], v[52:53]
	v_add_u32_e32 v0, 7, v24
	v_cndmask_b32_e32 v2, v22, v0, vcc
	v_cndmask_b32_e64 v0, 0, 1, vcc
	v_lshrrev_b64 v[0:1], v0, v[52:53]
; %bb.15675:                            ;   in Loop: Header=BB6_14344 Depth=3
	s_andn2_saveexec_b64 s[40:41], s[40:41]
; %bb.15676:                            ;   in Loop: Header=BB6_14344 Depth=3
	v_mov_b32_e32 v0, v52
	v_bfe_u32 v2, v52, 23, 1
	v_mov_b32_e32 v1, v53
; %bb.15677:                            ;   in Loop: Header=BB6_14344 Depth=3
	s_or_b64 exec, exec, s[40:41]
	v_lshrrev_b64 v[0:1], 20, v[0:1]
	v_cmp_gt_i32_e32 vcc, 16, v2
	v_cndmask_b32_e32 v1, 0, v1, vcc
	v_cndmask_b32_e32 v0, 7, v0, vcc
	v_cmp_ne_u64_e32 vcc, 0, v[0:1]
	v_cmp_ne_u32_e64 s[40:41], 0, v2
	s_or_b64 s[40:41], s[40:41], vcc
                                        ; implicit-def: $vgpr26
	s_and_saveexec_b64 vcc, s[40:41]
	s_xor_b64 s[40:41], exec, vcc
; %bb.15678:                            ;   in Loop: Header=BB6_14344 Depth=3
	v_min_i32_e32 v1, 15, v2
	v_lshl_or_b32 v1, v1, 3, v21
	v_and_or_b32 v26, v0, 7, v1
                                        ; implicit-def: $vgpr21
; %bb.15679:                            ;   in Loop: Header=BB6_14344 Depth=3
	s_andn2_saveexec_b64 s[40:41], s[40:41]
; %bb.15680:                            ;   in Loop: Header=BB6_14344 Depth=3
	v_mov_b32_e32 v26, v21
; %bb.15681:                            ;   in Loop: Header=BB6_14344 Depth=3
	s_or_b64 exec, exec, s[40:41]
.LBB6_15682:                            ;   in Loop: Header=BB6_14344 Depth=3
	s_or_b64 exec, exec, s[52:53]
                                        ; implicit-def: $vgpr21
.LBB6_15683:                            ;   in Loop: Header=BB6_14344 Depth=3
	s_andn2_saveexec_b64 s[40:41], s[50:51]
; %bb.15684:                            ;   in Loop: Header=BB6_14344 Depth=3
	v_or_b32_e32 v26, 0x7e, v21
; %bb.15685:                            ;   in Loop: Header=BB6_14344 Depth=3
	s_or_b64 exec, exec, s[40:41]
                                        ; implicit-def: $vgpr1
.LBB6_15686:                            ;   in Loop: Header=BB6_14344 Depth=3
	s_andn2_saveexec_b64 s[40:41], s[48:49]
; %bb.15687:                            ;   in Loop: Header=BB6_14344 Depth=3
	v_or_b32_sdwa v26, v1, s83 dst_sel:DWORD dst_unused:UNUSED_PAD src0_sel:BYTE_3 src1_sel:DWORD
; %bb.15688:                            ;   in Loop: Header=BB6_14344 Depth=3
	s_or_b64 exec, exec, s[40:41]
	v_and_b32_e32 v0, 0xff, v36
	v_cmp_ne_u16_e64 s[40:41], 0, v0
	s_and_b64 vcc, exec, s[28:29]
	s_mov_b64 s[48:49], -1
                                        ; implicit-def: $vgpr1
	s_cbranch_vccnz .LBB6_15702
; %bb.15689:                            ;   in Loop: Header=BB6_14344 Depth=3
	v_mov_b32_e32 v21, 0
	v_mov_b32_e32 v2, 0
	s_and_saveexec_b64 s[48:49], s[40:41]
	s_cbranch_execz .LBB6_15695
; %bb.15690:                            ;   in Loop: Header=BB6_14344 Depth=3
	v_cmp_ne_u16_e32 vcc, s82, v0
	v_bfrev_b32_e32 v2, 1
	s_and_saveexec_b64 s[50:51], vcc
	s_cbranch_execz .LBB6_15694
; %bb.15691:                            ;   in Loop: Header=BB6_14344 Depth=3
	v_and_b32_e32 v1, 0x7f, v36
	v_cmp_ne_u32_e32 vcc, s83, v1
	v_mov_b32_e32 v2, 0x7f800001
	s_and_saveexec_b64 s[52:53], vcc
	s_cbranch_execz .LBB6_15693
; %bb.15692:                            ;   in Loop: Header=BB6_14344 Depth=3
	v_and_b32_e32 v22, 7, v0
	v_lshrrev_b32_e32 v24, 3, v1
	v_cmp_gt_u32_e32 vcc, 8, v1
	v_ffbh_u32_e32 v1, v22
	v_min_u32_e32 v25, 32, v1
	v_subrev_u32_e32 v1, 28, v25
	v_lshlrev_b64 v[1:2], v1, v[0:1]
	v_sub_u32_e32 v2, 29, v25
	v_and_b32_e32 v1, 7, v1
	v_cndmask_b32_e32 v2, v24, v2, vcc
	v_cndmask_b32_e32 v1, v22, v1, vcc
	v_lshlrev_b32_e32 v22, 24, v36
	v_bfrev_b32_e32 v24, 60
	v_lshlrev_b32_e32 v1, 20, v1
	v_and_b32_e32 v22, 0x80000000, v22
	v_lshl_add_u32 v2, v2, 23, v24
	v_or3_b32 v2, v22, v2, v1
.LBB6_15693:                            ;   in Loop: Header=BB6_14344 Depth=3
	s_or_b64 exec, exec, s[52:53]
.LBB6_15694:                            ;   in Loop: Header=BB6_14344 Depth=3
	s_or_b64 exec, exec, s[50:51]
.LBB6_15695:                            ;   in Loop: Header=BB6_14344 Depth=3
	s_or_b64 exec, exec, s[48:49]
	v_and_b32_e32 v1, 0xff, v28
	v_cmp_ne_u16_e32 vcc, 0, v1
	s_and_saveexec_b64 s[48:49], vcc
	s_cbranch_execz .LBB6_15701
; %bb.15696:                            ;   in Loop: Header=BB6_14344 Depth=3
	v_cmp_ne_u16_e32 vcc, s82, v1
	v_bfrev_b32_e32 v21, 1
	s_and_saveexec_b64 s[50:51], vcc
	s_cbranch_execz .LBB6_15700
; %bb.15697:                            ;   in Loop: Header=BB6_14344 Depth=3
	v_and_b32_e32 v22, 0x7f, v28
	v_cmp_ne_u32_e32 vcc, s83, v22
	v_mov_b32_e32 v21, 0x7f800001
	s_and_saveexec_b64 s[52:53], vcc
	s_cbranch_execz .LBB6_15699
; %bb.15698:                            ;   in Loop: Header=BB6_14344 Depth=3
	v_and_b32_e32 v24, 7, v1
	v_ffbh_u32_e32 v21, v24
	v_min_u32_e32 v27, 32, v21
	v_subrev_u32_e32 v21, 28, v27
	v_lshrrev_b32_e32 v25, 3, v22
	v_cmp_gt_u32_e32 vcc, 8, v22
	v_lshlrev_b64 v[21:22], v21, v[1:2]
	v_sub_u32_e32 v1, 29, v27
	v_and_b32_e32 v21, 7, v21
	v_cndmask_b32_e32 v1, v25, v1, vcc
	v_cndmask_b32_e32 v21, v24, v21, vcc
	v_lshlrev_b32_e32 v22, 24, v28
	v_bfrev_b32_e32 v24, 60
	v_lshlrev_b32_e32 v21, 20, v21
	v_and_b32_e32 v22, 0x80000000, v22
	v_lshl_add_u32 v1, v1, 23, v24
	v_or3_b32 v21, v22, v1, v21
.LBB6_15699:                            ;   in Loop: Header=BB6_14344 Depth=3
	s_or_b64 exec, exec, s[52:53]
.LBB6_15700:                            ;   in Loop: Header=BB6_14344 Depth=3
	s_or_b64 exec, exec, s[50:51]
.LBB6_15701:                            ;   in Loop: Header=BB6_14344 Depth=3
	s_or_b64 exec, exec, s[48:49]
	v_max_f32_e32 v1, v21, v21
	v_max_f32_e32 v2, v2, v2
	;; [unrolled: 1-line block ×3, first 2 shown]
	s_mov_b64 s[48:49], 0
.LBB6_15702:                            ;   in Loop: Header=BB6_14344 Depth=3
	s_and_b64 vcc, exec, s[48:49]
	s_cbranch_vccz .LBB6_15716
; %bb.15703:                            ;   in Loop: Header=BB6_14344 Depth=3
	v_mov_b32_e32 v2, 0
	v_mov_b32_e32 v1, 0
	s_and_saveexec_b64 s[48:49], s[40:41]
	s_cbranch_execz .LBB6_15709
; %bb.15704:                            ;   in Loop: Header=BB6_14344 Depth=3
	v_cmp_ne_u16_e32 vcc, s82, v0
	v_bfrev_b32_e32 v1, 1
	s_and_saveexec_b64 s[40:41], vcc
	s_cbranch_execz .LBB6_15708
; %bb.15705:                            ;   in Loop: Header=BB6_14344 Depth=3
	v_and_b32_e32 v21, 0x7f, v36
	v_cmp_ne_u32_e32 vcc, s83, v21
	v_mov_b32_e32 v1, 0x7f800001
	s_and_saveexec_b64 s[50:51], vcc
	s_cbranch_execz .LBB6_15707
; %bb.15706:                            ;   in Loop: Header=BB6_14344 Depth=3
	v_and_b32_e32 v22, 7, v0
	v_ffbh_u32_e32 v1, v22
	v_lshrrev_b32_e32 v24, 3, v21
	v_cmp_gt_u32_e32 vcc, 8, v21
	v_min_u32_e32 v21, 32, v1
	v_subrev_u32_e32 v1, 28, v21
	v_lshlrev_b64 v[0:1], v1, v[0:1]
	v_sub_u32_e32 v1, 29, v21
	v_and_b32_e32 v0, 7, v0
	v_cndmask_b32_e32 v1, v24, v1, vcc
	v_cndmask_b32_e32 v0, v22, v0, vcc
	v_lshlrev_b32_e32 v21, 24, v36
	v_bfrev_b32_e32 v22, 60
	v_lshlrev_b32_e32 v0, 20, v0
	v_and_b32_e32 v21, 0x80000000, v21
	v_lshl_add_u32 v1, v1, 23, v22
	v_or3_b32 v1, v21, v1, v0
.LBB6_15707:                            ;   in Loop: Header=BB6_14344 Depth=3
	s_or_b64 exec, exec, s[50:51]
.LBB6_15708:                            ;   in Loop: Header=BB6_14344 Depth=3
	s_or_b64 exec, exec, s[40:41]
.LBB6_15709:                            ;   in Loop: Header=BB6_14344 Depth=3
	s_or_b64 exec, exec, s[48:49]
	v_and_b32_e32 v0, 0xff, v28
	v_cmp_ne_u16_e32 vcc, 0, v0
	s_and_saveexec_b64 s[40:41], vcc
	s_cbranch_execz .LBB6_15715
; %bb.15710:                            ;   in Loop: Header=BB6_14344 Depth=3
	v_cmp_ne_u16_e32 vcc, s82, v0
	v_bfrev_b32_e32 v2, 1
	s_and_saveexec_b64 s[48:49], vcc
	s_cbranch_execz .LBB6_15714
; %bb.15711:                            ;   in Loop: Header=BB6_14344 Depth=3
	v_and_b32_e32 v21, 0x7f, v28
	v_cmp_ne_u32_e32 vcc, s83, v21
	v_mov_b32_e32 v2, 0x7f800001
	s_and_saveexec_b64 s[50:51], vcc
	s_cbranch_execz .LBB6_15713
; %bb.15712:                            ;   in Loop: Header=BB6_14344 Depth=3
	v_and_b32_e32 v2, 7, v0
	v_lshrrev_b32_e32 v24, 3, v21
	v_cmp_gt_u32_e32 vcc, 8, v21
	v_ffbh_u32_e32 v21, v2
	v_min_u32_e32 v25, 32, v21
	v_subrev_u32_e32 v21, 28, v25
	v_lshlrev_b64 v[21:22], v21, v[0:1]
	v_sub_u32_e32 v0, 29, v25
	v_and_b32_e32 v21, 7, v21
	v_cndmask_b32_e32 v0, v24, v0, vcc
	v_cndmask_b32_e32 v2, v2, v21, vcc
	v_lshlrev_b32_e32 v21, 24, v28
	v_bfrev_b32_e32 v22, 60
	v_lshlrev_b32_e32 v2, 20, v2
	v_and_b32_e32 v21, 0x80000000, v21
	v_lshl_add_u32 v0, v0, 23, v22
	v_or3_b32 v2, v21, v0, v2
.LBB6_15713:                            ;   in Loop: Header=BB6_14344 Depth=3
	s_or_b64 exec, exec, s[50:51]
.LBB6_15714:                            ;   in Loop: Header=BB6_14344 Depth=3
	s_or_b64 exec, exec, s[48:49]
.LBB6_15715:                            ;   in Loop: Header=BB6_14344 Depth=3
	s_or_b64 exec, exec, s[40:41]
	v_max_f32_e32 v0, v2, v2
	v_max_f32_e32 v1, v1, v1
	v_min_f32_e32 v1, v1, v0
.LBB6_15716:                            ;   in Loop: Header=BB6_14344 Depth=3
	v_and_b32_e32 v52, 0x7f800000, v1
	v_cmp_ne_u64_e32 vcc, s[76:77], v[52:53]
                                        ; implicit-def: $vgpr21
	s_and_saveexec_b64 s[40:41], vcc
	s_xor_b64 s[48:49], exec, s[40:41]
	s_cbranch_execz .LBB6_15734
; %bb.15717:                            ;   in Loop: Header=BB6_14344 Depth=3
	v_and_b32_e32 v52, 0x7fffffff, v1
	v_cmp_gt_u64_e32 vcc, s[78:79], v[52:53]
	v_and_b32_sdwa v22, v1, s82 dst_sel:DWORD dst_unused:UNUSED_PAD src0_sel:BYTE_3 src1_sel:DWORD
                                        ; implicit-def: $vgpr21
	s_and_saveexec_b64 s[40:41], vcc
	s_xor_b64 s[50:51], exec, s[40:41]
	s_cbranch_execz .LBB6_15731
; %bb.15718:                            ;   in Loop: Header=BB6_14344 Depth=3
	v_cmp_ne_u32_e32 vcc, 0, v1
	v_mov_b32_e32 v21, 0
	s_and_saveexec_b64 s[52:53], vcc
	s_cbranch_execz .LBB6_15730
; %bb.15719:                            ;   in Loop: Header=BB6_14344 Depth=3
	v_bfe_u32 v21, v1, 23, 8
	v_and_b32_e32 v0, 0x7fffff, v1
	v_cmp_gt_u32_e64 s[40:41], s85, v21
	v_sub_u32_e32 v1, 0x79, v21
	v_cmp_eq_u32_e32 vcc, 0, v21
	v_cndmask_b32_e64 v1, 0, v1, s[40:41]
	v_mov_b32_e32 v24, 0x78
	v_or_b32_e32 v2, 0x800000, v0
	v_cndmask_b32_e32 v24, v1, v24, vcc
	v_cndmask_b32_e32 v52, v2, v0, vcc
	v_add_u32_e32 v0, 20, v24
	v_lshlrev_b64 v[0:1], v0, -1
	v_add_u32_e32 v2, 19, v24
	v_lshlrev_b64 v[27:28], v2, 1
	v_bfi_b32 v1, v1, 0, 0
	v_bfi_b32 v0, v0, 0, v52
	v_cmp_eq_u64_e64 s[40:41], v[0:1], v[27:28]
	v_lshrrev_b64 v[0:1], v24, v[52:53]
	v_mov_b32_e32 v2, v1
	v_mov_b32_e32 v1, v0
	s_and_saveexec_b64 s[54:55], s[40:41]
; %bb.15720:                            ;   in Loop: Header=BB6_14344 Depth=3
	v_bfe_u32 v1, v0, 20, 1
	v_add_co_u32_e64 v1, s[40:41], v0, v1
	v_add_co_u32_e64 v1, s[40:41], -1, v1
; %bb.15721:                            ;   in Loop: Header=BB6_14344 Depth=3
	s_or_b64 exec, exec, s[54:55]
	v_add_u32_e32 v2, 0xffffff81, v21
	v_mov_b32_e32 v21, 0xffffff82
	v_cndmask_b32_e32 v2, v2, v21, vcc
	v_lshrrev_b32_e32 v21, 23, v0
	v_add3_u32 v24, v24, v2, v21
	v_add_u32_e32 v21, 6, v24
	v_and_b32_e32 v1, 0xfffff, v1
	v_add_u32_e32 v52, v1, v0
	v_cmp_ne_u32_e32 vcc, 0, v21
                                        ; implicit-def: $vgpr0_vgpr1
                                        ; implicit-def: $vgpr2
	s_and_saveexec_b64 s[40:41], vcc
	s_xor_b64 s[40:41], exec, s[40:41]
; %bb.15722:                            ;   in Loop: Header=BB6_14344 Depth=3
	v_cmp_lt_u64_e32 vcc, s[88:89], v[52:53]
	v_add_u32_e32 v0, 7, v24
	v_cndmask_b32_e32 v2, v21, v0, vcc
	v_cndmask_b32_e64 v0, 0, 1, vcc
	v_lshrrev_b64 v[0:1], v0, v[52:53]
; %bb.15723:                            ;   in Loop: Header=BB6_14344 Depth=3
	s_andn2_saveexec_b64 s[40:41], s[40:41]
; %bb.15724:                            ;   in Loop: Header=BB6_14344 Depth=3
	v_mov_b32_e32 v0, v52
	v_bfe_u32 v2, v52, 23, 1
	v_mov_b32_e32 v1, v53
; %bb.15725:                            ;   in Loop: Header=BB6_14344 Depth=3
	s_or_b64 exec, exec, s[40:41]
	v_lshrrev_b64 v[0:1], 20, v[0:1]
	v_cmp_gt_i32_e32 vcc, 16, v2
	v_cndmask_b32_e32 v1, 0, v1, vcc
	v_cndmask_b32_e32 v0, 7, v0, vcc
	v_cmp_ne_u64_e32 vcc, 0, v[0:1]
	v_cmp_ne_u32_e64 s[40:41], 0, v2
	s_or_b64 s[40:41], s[40:41], vcc
                                        ; implicit-def: $vgpr21
	s_and_saveexec_b64 vcc, s[40:41]
	s_xor_b64 s[40:41], exec, vcc
; %bb.15726:                            ;   in Loop: Header=BB6_14344 Depth=3
	v_min_i32_e32 v1, 15, v2
	v_lshl_or_b32 v1, v1, 3, v22
	v_and_or_b32 v21, v0, 7, v1
                                        ; implicit-def: $vgpr22
; %bb.15727:                            ;   in Loop: Header=BB6_14344 Depth=3
	s_andn2_saveexec_b64 s[40:41], s[40:41]
; %bb.15728:                            ;   in Loop: Header=BB6_14344 Depth=3
	v_mov_b32_e32 v21, v22
; %bb.15729:                            ;   in Loop: Header=BB6_14344 Depth=3
	s_or_b64 exec, exec, s[40:41]
.LBB6_15730:                            ;   in Loop: Header=BB6_14344 Depth=3
	s_or_b64 exec, exec, s[52:53]
                                        ; implicit-def: $vgpr22
.LBB6_15731:                            ;   in Loop: Header=BB6_14344 Depth=3
	s_andn2_saveexec_b64 s[40:41], s[50:51]
; %bb.15732:                            ;   in Loop: Header=BB6_14344 Depth=3
	v_or_b32_e32 v21, 0x7e, v22
; %bb.15733:                            ;   in Loop: Header=BB6_14344 Depth=3
	s_or_b64 exec, exec, s[40:41]
                                        ; implicit-def: $vgpr1
.LBB6_15734:                            ;   in Loop: Header=BB6_14344 Depth=3
	s_andn2_saveexec_b64 s[40:41], s[48:49]
; %bb.15735:                            ;   in Loop: Header=BB6_14344 Depth=3
	v_or_b32_sdwa v21, v1, s83 dst_sel:DWORD dst_unused:UNUSED_PAD src0_sel:BYTE_3 src1_sel:DWORD
; %bb.15736:                            ;   in Loop: Header=BB6_14344 Depth=3
	s_or_b64 exec, exec, s[40:41]
	v_and_b32_e32 v0, 0xff, v33
	v_cmp_ne_u16_e64 s[40:41], 0, v0
	s_and_b64 vcc, exec, s[28:29]
	s_mov_b64 s[48:49], -1
                                        ; implicit-def: $vgpr1
	s_cbranch_vccnz .LBB6_15750
; %bb.15737:                            ;   in Loop: Header=BB6_14344 Depth=3
	v_mov_b32_e32 v22, 0
	v_mov_b32_e32 v2, 0
	s_and_saveexec_b64 s[48:49], s[40:41]
	s_cbranch_execz .LBB6_15743
; %bb.15738:                            ;   in Loop: Header=BB6_14344 Depth=3
	v_cmp_ne_u16_e32 vcc, s82, v0
	v_bfrev_b32_e32 v2, 1
	s_and_saveexec_b64 s[50:51], vcc
	s_cbranch_execz .LBB6_15742
; %bb.15739:                            ;   in Loop: Header=BB6_14344 Depth=3
	v_and_b32_e32 v1, 0x7f, v33
	v_cmp_ne_u32_e32 vcc, s83, v1
	v_mov_b32_e32 v2, 0x7f800001
	s_and_saveexec_b64 s[52:53], vcc
	s_cbranch_execz .LBB6_15741
; %bb.15740:                            ;   in Loop: Header=BB6_14344 Depth=3
	v_and_b32_e32 v24, 7, v0
	v_lshrrev_b32_e32 v25, 3, v1
	v_cmp_gt_u32_e32 vcc, 8, v1
	v_ffbh_u32_e32 v1, v24
	v_min_u32_e32 v27, 32, v1
	v_subrev_u32_e32 v1, 28, v27
	v_lshlrev_b64 v[1:2], v1, v[0:1]
	v_sub_u32_e32 v2, 29, v27
	v_and_b32_e32 v1, 7, v1
	v_cndmask_b32_e32 v2, v25, v2, vcc
	v_cndmask_b32_e32 v1, v24, v1, vcc
	v_lshlrev_b32_e32 v24, 24, v33
	v_bfrev_b32_e32 v25, 60
	v_lshlrev_b32_e32 v1, 20, v1
	v_and_b32_e32 v24, 0x80000000, v24
	v_lshl_add_u32 v2, v2, 23, v25
	v_or3_b32 v2, v24, v2, v1
.LBB6_15741:                            ;   in Loop: Header=BB6_14344 Depth=3
	s_or_b64 exec, exec, s[52:53]
.LBB6_15742:                            ;   in Loop: Header=BB6_14344 Depth=3
	s_or_b64 exec, exec, s[50:51]
.LBB6_15743:                            ;   in Loop: Header=BB6_14344 Depth=3
	s_or_b64 exec, exec, s[48:49]
	v_and_b32_e32 v1, 0xff, v29
	v_cmp_ne_u16_e32 vcc, 0, v1
	s_and_saveexec_b64 s[48:49], vcc
	s_cbranch_execz .LBB6_15749
; %bb.15744:                            ;   in Loop: Header=BB6_14344 Depth=3
	v_cmp_ne_u16_e32 vcc, s82, v1
	v_bfrev_b32_e32 v22, 1
	s_and_saveexec_b64 s[50:51], vcc
	s_cbranch_execz .LBB6_15748
; %bb.15745:                            ;   in Loop: Header=BB6_14344 Depth=3
	v_and_b32_e32 v24, 0x7f, v29
	v_cmp_ne_u32_e32 vcc, s83, v24
	v_mov_b32_e32 v22, 0x7f800001
	s_and_saveexec_b64 s[52:53], vcc
	s_cbranch_execz .LBB6_15747
; %bb.15746:                            ;   in Loop: Header=BB6_14344 Depth=3
	v_and_b32_e32 v22, 7, v1
	v_lshrrev_b32_e32 v27, 3, v24
	v_cmp_gt_u32_e32 vcc, 8, v24
	v_ffbh_u32_e32 v24, v22
	v_min_u32_e32 v28, 32, v24
	v_subrev_u32_e32 v24, 28, v28
	v_lshlrev_b64 v[24:25], v24, v[1:2]
	v_sub_u32_e32 v1, 29, v28
	v_and_b32_e32 v24, 7, v24
	v_cndmask_b32_e32 v1, v27, v1, vcc
	v_cndmask_b32_e32 v22, v22, v24, vcc
	v_lshlrev_b32_e32 v24, 24, v29
	v_bfrev_b32_e32 v25, 60
	v_lshlrev_b32_e32 v22, 20, v22
	v_and_b32_e32 v24, 0x80000000, v24
	v_lshl_add_u32 v1, v1, 23, v25
	v_or3_b32 v22, v24, v1, v22
.LBB6_15747:                            ;   in Loop: Header=BB6_14344 Depth=3
	s_or_b64 exec, exec, s[52:53]
.LBB6_15748:                            ;   in Loop: Header=BB6_14344 Depth=3
	s_or_b64 exec, exec, s[50:51]
.LBB6_15749:                            ;   in Loop: Header=BB6_14344 Depth=3
	s_or_b64 exec, exec, s[48:49]
	v_max_f32_e32 v1, v22, v22
	v_max_f32_e32 v2, v2, v2
	;; [unrolled: 1-line block ×3, first 2 shown]
	s_mov_b64 s[48:49], 0
.LBB6_15750:                            ;   in Loop: Header=BB6_14344 Depth=3
	s_and_b64 vcc, exec, s[48:49]
	s_cbranch_vccz .LBB6_15764
; %bb.15751:                            ;   in Loop: Header=BB6_14344 Depth=3
	v_mov_b32_e32 v2, 0
	v_mov_b32_e32 v1, 0
	s_and_saveexec_b64 s[48:49], s[40:41]
	s_cbranch_execz .LBB6_15757
; %bb.15752:                            ;   in Loop: Header=BB6_14344 Depth=3
	v_cmp_ne_u16_e32 vcc, s82, v0
	v_bfrev_b32_e32 v1, 1
	s_and_saveexec_b64 s[40:41], vcc
	s_cbranch_execz .LBB6_15756
; %bb.15753:                            ;   in Loop: Header=BB6_14344 Depth=3
	v_and_b32_e32 v22, 0x7f, v33
	v_cmp_ne_u32_e32 vcc, s83, v22
	v_mov_b32_e32 v1, 0x7f800001
	s_and_saveexec_b64 s[50:51], vcc
	s_cbranch_execz .LBB6_15755
; %bb.15754:                            ;   in Loop: Header=BB6_14344 Depth=3
	v_and_b32_e32 v24, 7, v0
	v_ffbh_u32_e32 v1, v24
	v_lshrrev_b32_e32 v25, 3, v22
	v_cmp_gt_u32_e32 vcc, 8, v22
	v_min_u32_e32 v22, 32, v1
	v_subrev_u32_e32 v1, 28, v22
	v_lshlrev_b64 v[0:1], v1, v[0:1]
	v_sub_u32_e32 v1, 29, v22
	v_and_b32_e32 v0, 7, v0
	v_cndmask_b32_e32 v1, v25, v1, vcc
	v_cndmask_b32_e32 v0, v24, v0, vcc
	v_lshlrev_b32_e32 v22, 24, v33
	v_bfrev_b32_e32 v24, 60
	v_lshlrev_b32_e32 v0, 20, v0
	v_and_b32_e32 v22, 0x80000000, v22
	v_lshl_add_u32 v1, v1, 23, v24
	v_or3_b32 v1, v22, v1, v0
.LBB6_15755:                            ;   in Loop: Header=BB6_14344 Depth=3
	s_or_b64 exec, exec, s[50:51]
.LBB6_15756:                            ;   in Loop: Header=BB6_14344 Depth=3
	s_or_b64 exec, exec, s[40:41]
.LBB6_15757:                            ;   in Loop: Header=BB6_14344 Depth=3
	s_or_b64 exec, exec, s[48:49]
	v_and_b32_e32 v0, 0xff, v29
	v_cmp_ne_u16_e32 vcc, 0, v0
	s_and_saveexec_b64 s[40:41], vcc
	s_cbranch_execz .LBB6_15763
; %bb.15758:                            ;   in Loop: Header=BB6_14344 Depth=3
	v_cmp_ne_u16_e32 vcc, s82, v0
	v_bfrev_b32_e32 v2, 1
	s_and_saveexec_b64 s[48:49], vcc
	s_cbranch_execz .LBB6_15762
; %bb.15759:                            ;   in Loop: Header=BB6_14344 Depth=3
	v_and_b32_e32 v22, 0x7f, v29
	v_cmp_ne_u32_e32 vcc, s83, v22
	v_mov_b32_e32 v2, 0x7f800001
	s_and_saveexec_b64 s[50:51], vcc
	s_cbranch_execz .LBB6_15761
; %bb.15760:                            ;   in Loop: Header=BB6_14344 Depth=3
	v_and_b32_e32 v2, 7, v0
	v_lshrrev_b32_e32 v27, 3, v22
	v_cmp_gt_u32_e32 vcc, 8, v22
	v_ffbh_u32_e32 v22, v2
	v_min_u32_e32 v22, 32, v22
	v_subrev_u32_e32 v24, 28, v22
	v_lshlrev_b64 v[24:25], v24, v[0:1]
	v_sub_u32_e32 v0, 29, v22
	v_and_b32_e32 v22, 7, v24
	v_cndmask_b32_e32 v0, v27, v0, vcc
	v_cndmask_b32_e32 v2, v2, v22, vcc
	v_lshlrev_b32_e32 v22, 24, v29
	v_bfrev_b32_e32 v24, 60
	v_lshlrev_b32_e32 v2, 20, v2
	v_and_b32_e32 v22, 0x80000000, v22
	v_lshl_add_u32 v0, v0, 23, v24
	v_or3_b32 v2, v22, v0, v2
.LBB6_15761:                            ;   in Loop: Header=BB6_14344 Depth=3
	s_or_b64 exec, exec, s[50:51]
.LBB6_15762:                            ;   in Loop: Header=BB6_14344 Depth=3
	s_or_b64 exec, exec, s[48:49]
.LBB6_15763:                            ;   in Loop: Header=BB6_14344 Depth=3
	s_or_b64 exec, exec, s[40:41]
	v_max_f32_e32 v0, v2, v2
	v_max_f32_e32 v1, v1, v1
	v_min_f32_e32 v1, v1, v0
.LBB6_15764:                            ;   in Loop: Header=BB6_14344 Depth=3
	v_and_b32_e32 v52, 0x7f800000, v1
	v_cmp_ne_u64_e32 vcc, s[76:77], v[52:53]
                                        ; implicit-def: $vgpr22
	s_and_saveexec_b64 s[40:41], vcc
	s_xor_b64 s[48:49], exec, s[40:41]
	s_cbranch_execz .LBB6_15782
; %bb.15765:                            ;   in Loop: Header=BB6_14344 Depth=3
	v_and_b32_e32 v52, 0x7fffffff, v1
	v_cmp_gt_u64_e32 vcc, s[78:79], v[52:53]
	v_and_b32_sdwa v24, v1, s82 dst_sel:DWORD dst_unused:UNUSED_PAD src0_sel:BYTE_3 src1_sel:DWORD
                                        ; implicit-def: $vgpr22
	s_and_saveexec_b64 s[40:41], vcc
	s_xor_b64 s[50:51], exec, s[40:41]
	s_cbranch_execz .LBB6_15779
; %bb.15766:                            ;   in Loop: Header=BB6_14344 Depth=3
	v_cmp_ne_u32_e32 vcc, 0, v1
	v_mov_b32_e32 v22, 0
	s_and_saveexec_b64 s[52:53], vcc
	s_cbranch_execz .LBB6_15778
; %bb.15767:                            ;   in Loop: Header=BB6_14344 Depth=3
	v_bfe_u32 v22, v1, 23, 8
	v_and_b32_e32 v0, 0x7fffff, v1
	v_cmp_gt_u32_e64 s[40:41], s85, v22
	v_sub_u32_e32 v1, 0x79, v22
	v_cmp_eq_u32_e32 vcc, 0, v22
	v_cndmask_b32_e64 v1, 0, v1, s[40:41]
	v_mov_b32_e32 v25, 0x78
	v_or_b32_e32 v2, 0x800000, v0
	v_cndmask_b32_e32 v25, v1, v25, vcc
	v_cndmask_b32_e32 v52, v2, v0, vcc
	v_add_u32_e32 v0, 20, v25
	v_lshlrev_b64 v[0:1], v0, -1
	v_add_u32_e32 v2, 19, v25
	v_lshlrev_b64 v[27:28], v2, 1
	v_bfi_b32 v1, v1, 0, 0
	v_bfi_b32 v0, v0, 0, v52
	v_cmp_eq_u64_e64 s[40:41], v[0:1], v[27:28]
	v_lshrrev_b64 v[0:1], v25, v[52:53]
	v_mov_b32_e32 v2, v1
	v_mov_b32_e32 v1, v0
	s_and_saveexec_b64 s[54:55], s[40:41]
; %bb.15768:                            ;   in Loop: Header=BB6_14344 Depth=3
	v_bfe_u32 v1, v0, 20, 1
	v_add_co_u32_e64 v1, s[40:41], v0, v1
	v_add_co_u32_e64 v1, s[40:41], -1, v1
; %bb.15769:                            ;   in Loop: Header=BB6_14344 Depth=3
	s_or_b64 exec, exec, s[54:55]
	v_add_u32_e32 v2, 0xffffff81, v22
	v_mov_b32_e32 v22, 0xffffff82
	v_cndmask_b32_e32 v2, v2, v22, vcc
	v_lshrrev_b32_e32 v22, 23, v0
	v_add3_u32 v25, v25, v2, v22
	v_add_u32_e32 v22, 6, v25
	v_and_b32_e32 v1, 0xfffff, v1
	v_add_u32_e32 v52, v1, v0
	v_cmp_ne_u32_e32 vcc, 0, v22
                                        ; implicit-def: $vgpr0_vgpr1
                                        ; implicit-def: $vgpr2
	s_and_saveexec_b64 s[40:41], vcc
	s_xor_b64 s[40:41], exec, s[40:41]
; %bb.15770:                            ;   in Loop: Header=BB6_14344 Depth=3
	v_cmp_lt_u64_e32 vcc, s[88:89], v[52:53]
	v_add_u32_e32 v0, 7, v25
	v_cndmask_b32_e32 v2, v22, v0, vcc
	v_cndmask_b32_e64 v0, 0, 1, vcc
	v_lshrrev_b64 v[0:1], v0, v[52:53]
; %bb.15771:                            ;   in Loop: Header=BB6_14344 Depth=3
	s_andn2_saveexec_b64 s[40:41], s[40:41]
; %bb.15772:                            ;   in Loop: Header=BB6_14344 Depth=3
	v_mov_b32_e32 v0, v52
	v_bfe_u32 v2, v52, 23, 1
	v_mov_b32_e32 v1, v53
; %bb.15773:                            ;   in Loop: Header=BB6_14344 Depth=3
	s_or_b64 exec, exec, s[40:41]
	v_lshrrev_b64 v[0:1], 20, v[0:1]
	v_cmp_gt_i32_e32 vcc, 16, v2
	v_cndmask_b32_e32 v1, 0, v1, vcc
	v_cndmask_b32_e32 v0, 7, v0, vcc
	v_cmp_ne_u64_e32 vcc, 0, v[0:1]
	v_cmp_ne_u32_e64 s[40:41], 0, v2
	s_or_b64 s[40:41], s[40:41], vcc
                                        ; implicit-def: $vgpr22
	s_and_saveexec_b64 vcc, s[40:41]
	s_xor_b64 s[40:41], exec, vcc
; %bb.15774:                            ;   in Loop: Header=BB6_14344 Depth=3
	v_min_i32_e32 v1, 15, v2
	v_lshl_or_b32 v1, v1, 3, v24
	v_and_or_b32 v22, v0, 7, v1
                                        ; implicit-def: $vgpr24
; %bb.15775:                            ;   in Loop: Header=BB6_14344 Depth=3
	s_andn2_saveexec_b64 s[40:41], s[40:41]
; %bb.15776:                            ;   in Loop: Header=BB6_14344 Depth=3
	v_mov_b32_e32 v22, v24
; %bb.15777:                            ;   in Loop: Header=BB6_14344 Depth=3
	s_or_b64 exec, exec, s[40:41]
.LBB6_15778:                            ;   in Loop: Header=BB6_14344 Depth=3
	s_or_b64 exec, exec, s[52:53]
                                        ; implicit-def: $vgpr24
.LBB6_15779:                            ;   in Loop: Header=BB6_14344 Depth=3
	s_andn2_saveexec_b64 s[40:41], s[50:51]
; %bb.15780:                            ;   in Loop: Header=BB6_14344 Depth=3
	v_or_b32_e32 v22, 0x7e, v24
; %bb.15781:                            ;   in Loop: Header=BB6_14344 Depth=3
	s_or_b64 exec, exec, s[40:41]
                                        ; implicit-def: $vgpr1
.LBB6_15782:                            ;   in Loop: Header=BB6_14344 Depth=3
	s_andn2_saveexec_b64 s[40:41], s[48:49]
; %bb.15783:                            ;   in Loop: Header=BB6_14344 Depth=3
	v_or_b32_sdwa v22, v1, s83 dst_sel:DWORD dst_unused:UNUSED_PAD src0_sel:BYTE_3 src1_sel:DWORD
; %bb.15784:                            ;   in Loop: Header=BB6_14344 Depth=3
	s_or_b64 exec, exec, s[40:41]
	v_and_b32_e32 v0, 0xff, v31
	v_cmp_ne_u16_e64 s[40:41], 0, v0
	s_and_b64 vcc, exec, s[28:29]
	s_mov_b64 s[48:49], -1
                                        ; implicit-def: $vgpr1
	s_cbranch_vccnz .LBB6_15798
; %bb.15785:                            ;   in Loop: Header=BB6_14344 Depth=3
	v_mov_b32_e32 v24, 0
	v_mov_b32_e32 v2, 0
	s_and_saveexec_b64 s[48:49], s[40:41]
	s_cbranch_execz .LBB6_15791
; %bb.15786:                            ;   in Loop: Header=BB6_14344 Depth=3
	v_cmp_ne_u16_e32 vcc, s82, v0
	v_bfrev_b32_e32 v2, 1
	s_and_saveexec_b64 s[50:51], vcc
	s_cbranch_execz .LBB6_15790
; %bb.15787:                            ;   in Loop: Header=BB6_14344 Depth=3
	v_and_b32_e32 v1, 0x7f, v31
	v_cmp_ne_u32_e32 vcc, s83, v1
	v_mov_b32_e32 v2, 0x7f800001
	s_and_saveexec_b64 s[52:53], vcc
	s_cbranch_execz .LBB6_15789
; %bb.15788:                            ;   in Loop: Header=BB6_14344 Depth=3
	v_and_b32_e32 v25, 7, v0
	v_lshrrev_b32_e32 v27, 3, v1
	v_cmp_gt_u32_e32 vcc, 8, v1
	v_ffbh_u32_e32 v1, v25
	v_min_u32_e32 v28, 32, v1
	v_subrev_u32_e32 v1, 28, v28
	v_lshlrev_b64 v[1:2], v1, v[0:1]
	v_sub_u32_e32 v2, 29, v28
	v_and_b32_e32 v1, 7, v1
	v_cndmask_b32_e32 v2, v27, v2, vcc
	v_cndmask_b32_e32 v1, v25, v1, vcc
	v_lshlrev_b32_e32 v25, 24, v31
	v_bfrev_b32_e32 v27, 60
	v_lshlrev_b32_e32 v1, 20, v1
	v_and_b32_e32 v25, 0x80000000, v25
	v_lshl_add_u32 v2, v2, 23, v27
	v_or3_b32 v2, v25, v2, v1
.LBB6_15789:                            ;   in Loop: Header=BB6_14344 Depth=3
	s_or_b64 exec, exec, s[52:53]
.LBB6_15790:                            ;   in Loop: Header=BB6_14344 Depth=3
	s_or_b64 exec, exec, s[50:51]
.LBB6_15791:                            ;   in Loop: Header=BB6_14344 Depth=3
	s_or_b64 exec, exec, s[48:49]
	v_and_b32_e32 v1, 0xff, v30
	v_cmp_ne_u16_e32 vcc, 0, v1
	s_and_saveexec_b64 s[48:49], vcc
	s_cbranch_execz .LBB6_15797
; %bb.15792:                            ;   in Loop: Header=BB6_14344 Depth=3
	v_cmp_ne_u16_e32 vcc, s82, v1
	v_bfrev_b32_e32 v24, 1
	s_and_saveexec_b64 s[50:51], vcc
	s_cbranch_execz .LBB6_15796
; %bb.15793:                            ;   in Loop: Header=BB6_14344 Depth=3
	v_and_b32_e32 v25, 0x7f, v30
	v_cmp_ne_u32_e32 vcc, s83, v25
	v_mov_b32_e32 v24, 0x7f800001
	s_and_saveexec_b64 s[52:53], vcc
	s_cbranch_execz .LBB6_15795
; %bb.15794:                            ;   in Loop: Header=BB6_14344 Depth=3
	v_and_b32_e32 v27, 7, v1
	v_ffbh_u32_e32 v24, v27
	v_min_u32_e32 v29, 32, v24
	v_subrev_u32_e32 v24, 28, v29
	v_lshrrev_b32_e32 v28, 3, v25
	v_cmp_gt_u32_e32 vcc, 8, v25
	v_lshlrev_b64 v[24:25], v24, v[1:2]
	v_sub_u32_e32 v1, 29, v29
	v_and_b32_e32 v24, 7, v24
	v_cndmask_b32_e32 v1, v28, v1, vcc
	v_cndmask_b32_e32 v24, v27, v24, vcc
	v_lshlrev_b32_e32 v25, 24, v30
	v_bfrev_b32_e32 v27, 60
	v_lshlrev_b32_e32 v24, 20, v24
	v_and_b32_e32 v25, 0x80000000, v25
	v_lshl_add_u32 v1, v1, 23, v27
	v_or3_b32 v24, v25, v1, v24
.LBB6_15795:                            ;   in Loop: Header=BB6_14344 Depth=3
	s_or_b64 exec, exec, s[52:53]
.LBB6_15796:                            ;   in Loop: Header=BB6_14344 Depth=3
	s_or_b64 exec, exec, s[50:51]
.LBB6_15797:                            ;   in Loop: Header=BB6_14344 Depth=3
	s_or_b64 exec, exec, s[48:49]
	v_max_f32_e32 v1, v24, v24
	v_max_f32_e32 v2, v2, v2
	;; [unrolled: 1-line block ×3, first 2 shown]
	s_mov_b64 s[48:49], 0
.LBB6_15798:                            ;   in Loop: Header=BB6_14344 Depth=3
	s_and_b64 vcc, exec, s[48:49]
	s_cbranch_vccz .LBB6_15812
; %bb.15799:                            ;   in Loop: Header=BB6_14344 Depth=3
	v_mov_b32_e32 v2, 0
	v_mov_b32_e32 v1, 0
	s_and_saveexec_b64 s[48:49], s[40:41]
	s_cbranch_execz .LBB6_15805
; %bb.15800:                            ;   in Loop: Header=BB6_14344 Depth=3
	v_cmp_ne_u16_e32 vcc, s82, v0
	v_bfrev_b32_e32 v1, 1
	s_and_saveexec_b64 s[40:41], vcc
	s_cbranch_execz .LBB6_15804
; %bb.15801:                            ;   in Loop: Header=BB6_14344 Depth=3
	v_and_b32_e32 v24, 0x7f, v31
	v_cmp_ne_u32_e32 vcc, s83, v24
	v_mov_b32_e32 v1, 0x7f800001
	s_and_saveexec_b64 s[50:51], vcc
	s_cbranch_execz .LBB6_15803
; %bb.15802:                            ;   in Loop: Header=BB6_14344 Depth=3
	v_and_b32_e32 v25, 7, v0
	v_ffbh_u32_e32 v1, v25
	v_lshrrev_b32_e32 v27, 3, v24
	v_cmp_gt_u32_e32 vcc, 8, v24
	v_min_u32_e32 v24, 32, v1
	v_subrev_u32_e32 v1, 28, v24
	v_lshlrev_b64 v[0:1], v1, v[0:1]
	v_sub_u32_e32 v1, 29, v24
	v_and_b32_e32 v0, 7, v0
	v_cndmask_b32_e32 v1, v27, v1, vcc
	v_cndmask_b32_e32 v0, v25, v0, vcc
	v_lshlrev_b32_e32 v24, 24, v31
	v_bfrev_b32_e32 v25, 60
	v_lshlrev_b32_e32 v0, 20, v0
	v_and_b32_e32 v24, 0x80000000, v24
	v_lshl_add_u32 v1, v1, 23, v25
	v_or3_b32 v1, v24, v1, v0
.LBB6_15803:                            ;   in Loop: Header=BB6_14344 Depth=3
	s_or_b64 exec, exec, s[50:51]
.LBB6_15804:                            ;   in Loop: Header=BB6_14344 Depth=3
	s_or_b64 exec, exec, s[40:41]
.LBB6_15805:                            ;   in Loop: Header=BB6_14344 Depth=3
	s_or_b64 exec, exec, s[48:49]
	v_and_b32_e32 v0, 0xff, v30
	v_cmp_ne_u16_e32 vcc, 0, v0
	s_and_saveexec_b64 s[40:41], vcc
	s_cbranch_execz .LBB6_15811
; %bb.15806:                            ;   in Loop: Header=BB6_14344 Depth=3
	v_cmp_ne_u16_e32 vcc, s82, v0
	v_bfrev_b32_e32 v2, 1
	s_and_saveexec_b64 s[48:49], vcc
	s_cbranch_execz .LBB6_15810
; %bb.15807:                            ;   in Loop: Header=BB6_14344 Depth=3
	v_and_b32_e32 v24, 0x7f, v30
	v_cmp_ne_u32_e32 vcc, s83, v24
	v_mov_b32_e32 v2, 0x7f800001
	s_and_saveexec_b64 s[50:51], vcc
	s_cbranch_execz .LBB6_15809
; %bb.15808:                            ;   in Loop: Header=BB6_14344 Depth=3
	v_and_b32_e32 v2, 7, v0
	v_lshrrev_b32_e32 v27, 3, v24
	v_cmp_gt_u32_e32 vcc, 8, v24
	v_ffbh_u32_e32 v24, v2
	v_min_u32_e32 v28, 32, v24
	v_subrev_u32_e32 v24, 28, v28
	v_lshlrev_b64 v[24:25], v24, v[0:1]
	v_sub_u32_e32 v0, 29, v28
	v_and_b32_e32 v24, 7, v24
	v_cndmask_b32_e32 v0, v27, v0, vcc
	v_cndmask_b32_e32 v2, v2, v24, vcc
	v_lshlrev_b32_e32 v24, 24, v30
	v_bfrev_b32_e32 v25, 60
	v_lshlrev_b32_e32 v2, 20, v2
	v_and_b32_e32 v24, 0x80000000, v24
	v_lshl_add_u32 v0, v0, 23, v25
	v_or3_b32 v2, v24, v0, v2
.LBB6_15809:                            ;   in Loop: Header=BB6_14344 Depth=3
	s_or_b64 exec, exec, s[50:51]
.LBB6_15810:                            ;   in Loop: Header=BB6_14344 Depth=3
	s_or_b64 exec, exec, s[48:49]
.LBB6_15811:                            ;   in Loop: Header=BB6_14344 Depth=3
	s_or_b64 exec, exec, s[40:41]
	v_max_f32_e32 v0, v2, v2
	v_max_f32_e32 v1, v1, v1
	v_min_f32_e32 v1, v1, v0
.LBB6_15812:                            ;   in Loop: Header=BB6_14344 Depth=3
	v_and_b32_e32 v52, 0x7f800000, v1
	v_cmp_ne_u64_e32 vcc, s[76:77], v[52:53]
                                        ; implicit-def: $vgpr24
	s_and_saveexec_b64 s[40:41], vcc
	s_xor_b64 s[48:49], exec, s[40:41]
	s_cbranch_execz .LBB6_15830
; %bb.15813:                            ;   in Loop: Header=BB6_14344 Depth=3
	v_and_b32_e32 v52, 0x7fffffff, v1
	v_cmp_gt_u64_e32 vcc, s[78:79], v[52:53]
	v_and_b32_sdwa v25, v1, s82 dst_sel:DWORD dst_unused:UNUSED_PAD src0_sel:BYTE_3 src1_sel:DWORD
                                        ; implicit-def: $vgpr24
	s_and_saveexec_b64 s[40:41], vcc
	s_xor_b64 s[50:51], exec, s[40:41]
	s_cbranch_execz .LBB6_15827
; %bb.15814:                            ;   in Loop: Header=BB6_14344 Depth=3
	v_cmp_ne_u32_e32 vcc, 0, v1
	v_mov_b32_e32 v24, 0
	s_and_saveexec_b64 s[52:53], vcc
	s_cbranch_execz .LBB6_15826
; %bb.15815:                            ;   in Loop: Header=BB6_14344 Depth=3
	v_bfe_u32 v24, v1, 23, 8
	v_and_b32_e32 v0, 0x7fffff, v1
	v_cmp_gt_u32_e64 s[40:41], s85, v24
	v_sub_u32_e32 v1, 0x79, v24
	v_cmp_eq_u32_e32 vcc, 0, v24
	v_cndmask_b32_e64 v1, 0, v1, s[40:41]
	v_mov_b32_e32 v27, 0x78
	v_or_b32_e32 v2, 0x800000, v0
	v_cndmask_b32_e32 v27, v1, v27, vcc
	v_cndmask_b32_e32 v52, v2, v0, vcc
	v_add_u32_e32 v0, 20, v27
	v_lshlrev_b64 v[0:1], v0, -1
	v_add_u32_e32 v2, 19, v27
	v_lshlrev_b64 v[28:29], v2, 1
	v_bfi_b32 v1, v1, 0, 0
	v_bfi_b32 v0, v0, 0, v52
	v_cmp_eq_u64_e64 s[40:41], v[0:1], v[28:29]
	v_lshrrev_b64 v[0:1], v27, v[52:53]
	v_mov_b32_e32 v2, v1
	v_mov_b32_e32 v1, v0
	s_and_saveexec_b64 s[54:55], s[40:41]
; %bb.15816:                            ;   in Loop: Header=BB6_14344 Depth=3
	v_bfe_u32 v1, v0, 20, 1
	v_add_co_u32_e64 v1, s[40:41], v0, v1
	v_add_co_u32_e64 v1, s[40:41], -1, v1
; %bb.15817:                            ;   in Loop: Header=BB6_14344 Depth=3
	s_or_b64 exec, exec, s[54:55]
	v_add_u32_e32 v2, 0xffffff81, v24
	v_mov_b32_e32 v24, 0xffffff82
	v_cndmask_b32_e32 v2, v2, v24, vcc
	v_lshrrev_b32_e32 v24, 23, v0
	v_add3_u32 v27, v27, v2, v24
	v_add_u32_e32 v24, 6, v27
	v_and_b32_e32 v1, 0xfffff, v1
	v_add_u32_e32 v52, v1, v0
	v_cmp_ne_u32_e32 vcc, 0, v24
                                        ; implicit-def: $vgpr0_vgpr1
                                        ; implicit-def: $vgpr2
	s_and_saveexec_b64 s[40:41], vcc
	s_xor_b64 s[40:41], exec, s[40:41]
; %bb.15818:                            ;   in Loop: Header=BB6_14344 Depth=3
	v_cmp_lt_u64_e32 vcc, s[88:89], v[52:53]
	v_add_u32_e32 v0, 7, v27
	v_cndmask_b32_e32 v2, v24, v0, vcc
	v_cndmask_b32_e64 v0, 0, 1, vcc
	v_lshrrev_b64 v[0:1], v0, v[52:53]
; %bb.15819:                            ;   in Loop: Header=BB6_14344 Depth=3
	s_andn2_saveexec_b64 s[40:41], s[40:41]
; %bb.15820:                            ;   in Loop: Header=BB6_14344 Depth=3
	v_mov_b32_e32 v0, v52
	v_bfe_u32 v2, v52, 23, 1
	v_mov_b32_e32 v1, v53
; %bb.15821:                            ;   in Loop: Header=BB6_14344 Depth=3
	s_or_b64 exec, exec, s[40:41]
	v_lshrrev_b64 v[0:1], 20, v[0:1]
	v_cmp_gt_i32_e32 vcc, 16, v2
	v_cndmask_b32_e32 v1, 0, v1, vcc
	v_cndmask_b32_e32 v0, 7, v0, vcc
	v_cmp_ne_u64_e32 vcc, 0, v[0:1]
	v_cmp_ne_u32_e64 s[40:41], 0, v2
	s_or_b64 s[40:41], s[40:41], vcc
                                        ; implicit-def: $vgpr24
	s_and_saveexec_b64 vcc, s[40:41]
	s_xor_b64 s[40:41], exec, vcc
; %bb.15822:                            ;   in Loop: Header=BB6_14344 Depth=3
	v_min_i32_e32 v1, 15, v2
	v_lshl_or_b32 v1, v1, 3, v25
	v_and_or_b32 v24, v0, 7, v1
                                        ; implicit-def: $vgpr25
; %bb.15823:                            ;   in Loop: Header=BB6_14344 Depth=3
	s_andn2_saveexec_b64 s[40:41], s[40:41]
; %bb.15824:                            ;   in Loop: Header=BB6_14344 Depth=3
	v_mov_b32_e32 v24, v25
; %bb.15825:                            ;   in Loop: Header=BB6_14344 Depth=3
	s_or_b64 exec, exec, s[40:41]
.LBB6_15826:                            ;   in Loop: Header=BB6_14344 Depth=3
	s_or_b64 exec, exec, s[52:53]
                                        ; implicit-def: $vgpr25
.LBB6_15827:                            ;   in Loop: Header=BB6_14344 Depth=3
	s_andn2_saveexec_b64 s[40:41], s[50:51]
; %bb.15828:                            ;   in Loop: Header=BB6_14344 Depth=3
	v_or_b32_e32 v24, 0x7e, v25
; %bb.15829:                            ;   in Loop: Header=BB6_14344 Depth=3
	s_or_b64 exec, exec, s[40:41]
                                        ; implicit-def: $vgpr1
.LBB6_15830:                            ;   in Loop: Header=BB6_14344 Depth=3
	s_andn2_saveexec_b64 s[40:41], s[48:49]
; %bb.15831:                            ;   in Loop: Header=BB6_14344 Depth=3
	v_or_b32_sdwa v24, v1, s83 dst_sel:DWORD dst_unused:UNUSED_PAD src0_sel:BYTE_3 src1_sel:DWORD
; %bb.15832:                            ;   in Loop: Header=BB6_14344 Depth=3
	s_or_b64 exec, exec, s[40:41]
	v_and_b32_e32 v0, 0xff, v50
	v_cmp_ne_u16_e64 s[40:41], 0, v0
	s_and_b64 vcc, exec, s[28:29]
	s_mov_b64 s[28:29], -1
                                        ; implicit-def: $vgpr2
	s_cbranch_vccnz .LBB6_15846
; %bb.15833:                            ;   in Loop: Header=BB6_14344 Depth=3
	v_mov_b32_e32 v25, 0
	v_mov_b32_e32 v2, 0
	s_and_saveexec_b64 s[28:29], s[40:41]
	s_cbranch_execz .LBB6_15839
; %bb.15834:                            ;   in Loop: Header=BB6_14344 Depth=3
	v_cmp_ne_u16_e32 vcc, s82, v0
	v_bfrev_b32_e32 v2, 1
	s_and_saveexec_b64 s[48:49], vcc
	s_cbranch_execz .LBB6_15838
; %bb.15835:                            ;   in Loop: Header=BB6_14344 Depth=3
	v_and_b32_e32 v1, 0x7f, v50
	v_cmp_ne_u32_e32 vcc, s83, v1
	v_mov_b32_e32 v2, 0x7f800001
	s_and_saveexec_b64 s[50:51], vcc
	s_cbranch_execz .LBB6_15837
; %bb.15836:                            ;   in Loop: Header=BB6_14344 Depth=3
	v_and_b32_e32 v27, 7, v0
	v_lshrrev_b32_e32 v28, 3, v1
	v_cmp_gt_u32_e32 vcc, 8, v1
	v_ffbh_u32_e32 v1, v27
	v_min_u32_e32 v29, 32, v1
	v_subrev_u32_e32 v1, 28, v29
	v_lshlrev_b64 v[1:2], v1, v[0:1]
	v_sub_u32_e32 v2, 29, v29
	v_and_b32_e32 v1, 7, v1
	v_cndmask_b32_e32 v2, v28, v2, vcc
	v_cndmask_b32_e32 v1, v27, v1, vcc
	v_lshlrev_b32_e32 v27, 24, v50
	v_bfrev_b32_e32 v28, 60
	v_lshlrev_b32_e32 v1, 20, v1
	v_and_b32_e32 v27, 0x80000000, v27
	v_lshl_add_u32 v2, v2, 23, v28
	v_or3_b32 v2, v27, v2, v1
.LBB6_15837:                            ;   in Loop: Header=BB6_14344 Depth=3
	s_or_b64 exec, exec, s[50:51]
.LBB6_15838:                            ;   in Loop: Header=BB6_14344 Depth=3
	s_or_b64 exec, exec, s[48:49]
.LBB6_15839:                            ;   in Loop: Header=BB6_14344 Depth=3
	s_or_b64 exec, exec, s[28:29]
	v_and_b32_e32 v1, 0xff, v51
	v_cmp_ne_u16_e32 vcc, 0, v1
	s_and_saveexec_b64 s[28:29], vcc
	s_cbranch_execz .LBB6_15845
; %bb.15840:                            ;   in Loop: Header=BB6_14344 Depth=3
	v_cmp_ne_u16_e32 vcc, s82, v1
	v_bfrev_b32_e32 v25, 1
	s_and_saveexec_b64 s[48:49], vcc
	s_cbranch_execz .LBB6_15844
; %bb.15841:                            ;   in Loop: Header=BB6_14344 Depth=3
	v_and_b32_e32 v27, 0x7f, v51
	v_cmp_ne_u32_e32 vcc, s83, v27
	v_mov_b32_e32 v25, 0x7f800001
	s_and_saveexec_b64 s[50:51], vcc
	s_cbranch_execz .LBB6_15843
; %bb.15842:                            ;   in Loop: Header=BB6_14344 Depth=3
	v_and_b32_e32 v25, 7, v1
	v_lshrrev_b32_e32 v29, 3, v27
	v_cmp_gt_u32_e32 vcc, 8, v27
	v_ffbh_u32_e32 v27, v25
	v_min_u32_e32 v30, 32, v27
	v_subrev_u32_e32 v27, 28, v30
	v_lshlrev_b64 v[27:28], v27, v[1:2]
	v_sub_u32_e32 v1, 29, v30
	v_and_b32_e32 v27, 7, v27
	v_cndmask_b32_e32 v1, v29, v1, vcc
	v_cndmask_b32_e32 v25, v25, v27, vcc
	v_lshlrev_b32_e32 v27, 24, v51
	v_bfrev_b32_e32 v28, 60
	v_lshlrev_b32_e32 v25, 20, v25
	v_and_b32_e32 v27, 0x80000000, v27
	v_lshl_add_u32 v1, v1, 23, v28
	v_or3_b32 v25, v27, v1, v25
.LBB6_15843:                            ;   in Loop: Header=BB6_14344 Depth=3
	s_or_b64 exec, exec, s[50:51]
.LBB6_15844:                            ;   in Loop: Header=BB6_14344 Depth=3
	s_or_b64 exec, exec, s[48:49]
.LBB6_15845:                            ;   in Loop: Header=BB6_14344 Depth=3
	s_or_b64 exec, exec, s[28:29]
	v_max_f32_e32 v1, v25, v25
	v_max_f32_e32 v2, v2, v2
	;; [unrolled: 1-line block ×3, first 2 shown]
	s_mov_b64 s[28:29], 0
.LBB6_15846:                            ;   in Loop: Header=BB6_14344 Depth=3
	s_and_b64 vcc, exec, s[28:29]
	s_cbranch_vccz .LBB6_15860
; %bb.15847:                            ;   in Loop: Header=BB6_14344 Depth=3
	v_mov_b32_e32 v2, 0
	v_mov_b32_e32 v1, 0
	s_and_saveexec_b64 s[28:29], s[40:41]
	s_cbranch_execz .LBB6_15853
; %bb.15848:                            ;   in Loop: Header=BB6_14344 Depth=3
	v_cmp_ne_u16_e32 vcc, s82, v0
	v_bfrev_b32_e32 v1, 1
	s_and_saveexec_b64 s[40:41], vcc
	s_cbranch_execz .LBB6_15852
; %bb.15849:                            ;   in Loop: Header=BB6_14344 Depth=3
	v_and_b32_e32 v25, 0x7f, v50
	v_cmp_ne_u32_e32 vcc, s83, v25
	v_mov_b32_e32 v1, 0x7f800001
	s_and_saveexec_b64 s[48:49], vcc
	s_cbranch_execz .LBB6_15851
; %bb.15850:                            ;   in Loop: Header=BB6_14344 Depth=3
	v_and_b32_e32 v27, 7, v0
	v_ffbh_u32_e32 v1, v27
	v_lshrrev_b32_e32 v28, 3, v25
	v_cmp_gt_u32_e32 vcc, 8, v25
	v_min_u32_e32 v25, 32, v1
	v_subrev_u32_e32 v1, 28, v25
	v_lshlrev_b64 v[0:1], v1, v[0:1]
	v_sub_u32_e32 v1, 29, v25
	v_and_b32_e32 v0, 7, v0
	v_cndmask_b32_e32 v1, v28, v1, vcc
	v_cndmask_b32_e32 v0, v27, v0, vcc
	v_lshlrev_b32_e32 v25, 24, v50
	v_bfrev_b32_e32 v27, 60
	v_lshlrev_b32_e32 v0, 20, v0
	v_and_b32_e32 v25, 0x80000000, v25
	v_lshl_add_u32 v1, v1, 23, v27
	v_or3_b32 v1, v25, v1, v0
.LBB6_15851:                            ;   in Loop: Header=BB6_14344 Depth=3
	s_or_b64 exec, exec, s[48:49]
.LBB6_15852:                            ;   in Loop: Header=BB6_14344 Depth=3
	s_or_b64 exec, exec, s[40:41]
.LBB6_15853:                            ;   in Loop: Header=BB6_14344 Depth=3
	s_or_b64 exec, exec, s[28:29]
	v_and_b32_e32 v0, 0xff, v51
	v_cmp_ne_u16_e32 vcc, 0, v0
	s_and_saveexec_b64 s[28:29], vcc
	s_cbranch_execz .LBB6_15859
; %bb.15854:                            ;   in Loop: Header=BB6_14344 Depth=3
	v_cmp_ne_u16_e32 vcc, s82, v0
	v_bfrev_b32_e32 v2, 1
	s_and_saveexec_b64 s[40:41], vcc
	s_cbranch_execz .LBB6_15858
; %bb.15855:                            ;   in Loop: Header=BB6_14344 Depth=3
	v_and_b32_e32 v25, 0x7f, v51
	v_cmp_ne_u32_e32 vcc, s83, v25
	v_mov_b32_e32 v2, 0x7f800001
	s_and_saveexec_b64 s[48:49], vcc
	s_cbranch_execz .LBB6_15857
; %bb.15856:                            ;   in Loop: Header=BB6_14344 Depth=3
	v_and_b32_e32 v2, 7, v0
	v_lshrrev_b32_e32 v29, 3, v25
	v_cmp_gt_u32_e32 vcc, 8, v25
	v_ffbh_u32_e32 v25, v2
	v_min_u32_e32 v25, 32, v25
	v_subrev_u32_e32 v27, 28, v25
	v_lshlrev_b64 v[27:28], v27, v[0:1]
	v_sub_u32_e32 v0, 29, v25
	v_and_b32_e32 v25, 7, v27
	v_cndmask_b32_e32 v0, v29, v0, vcc
	v_cndmask_b32_e32 v2, v2, v25, vcc
	v_lshlrev_b32_e32 v25, 24, v51
	v_bfrev_b32_e32 v27, 60
	v_lshlrev_b32_e32 v2, 20, v2
	v_and_b32_e32 v25, 0x80000000, v25
	v_lshl_add_u32 v0, v0, 23, v27
	v_or3_b32 v2, v25, v0, v2
.LBB6_15857:                            ;   in Loop: Header=BB6_14344 Depth=3
	s_or_b64 exec, exec, s[48:49]
.LBB6_15858:                            ;   in Loop: Header=BB6_14344 Depth=3
	s_or_b64 exec, exec, s[40:41]
.LBB6_15859:                            ;   in Loop: Header=BB6_14344 Depth=3
	s_or_b64 exec, exec, s[28:29]
	v_max_f32_e32 v0, v2, v2
	v_max_f32_e32 v1, v1, v1
	v_min_f32_e32 v2, v1, v0
.LBB6_15860:                            ;   in Loop: Header=BB6_14344 Depth=3
	v_and_b32_e32 v52, 0x7f800000, v2
	v_cmp_ne_u64_e32 vcc, s[76:77], v[52:53]
                                        ; implicit-def: $vgpr1
	s_and_saveexec_b64 s[28:29], vcc
	s_xor_b64 s[40:41], exec, s[28:29]
	s_cbranch_execz .LBB6_15878
; %bb.15861:                            ;   in Loop: Header=BB6_14344 Depth=3
	v_and_b32_e32 v52, 0x7fffffff, v2
	v_cmp_gt_u64_e32 vcc, s[78:79], v[52:53]
	v_and_b32_sdwa v25, v2, s82 dst_sel:DWORD dst_unused:UNUSED_PAD src0_sel:BYTE_3 src1_sel:DWORD
                                        ; implicit-def: $vgpr1
	s_and_saveexec_b64 s[28:29], vcc
	s_xor_b64 s[48:49], exec, s[28:29]
	s_cbranch_execz .LBB6_15875
; %bb.15862:                            ;   in Loop: Header=BB6_14344 Depth=3
	v_cmp_ne_u32_e32 vcc, 0, v2
	v_mov_b32_e32 v1, 0
	s_and_saveexec_b64 s[50:51], vcc
	s_cbranch_execz .LBB6_15874
; %bb.15863:                            ;   in Loop: Header=BB6_14344 Depth=3
	v_bfe_u32 v27, v2, 23, 8
	v_cmp_gt_u32_e64 s[28:29], s85, v27
	v_sub_u32_e32 v1, 0x79, v27
	v_and_b32_e32 v0, 0x7fffff, v2
	v_cmp_eq_u32_e32 vcc, 0, v27
	v_cndmask_b32_e64 v1, 0, v1, s[28:29]
	v_mov_b32_e32 v28, 0x78
	v_or_b32_e32 v2, 0x800000, v0
	v_cndmask_b32_e32 v28, v1, v28, vcc
	v_cndmask_b32_e32 v52, v2, v0, vcc
	v_add_u32_e32 v0, 20, v28
	v_lshlrev_b64 v[0:1], v0, -1
	v_add_u32_e32 v2, 19, v28
	v_lshlrev_b64 v[29:30], v2, 1
	v_bfi_b32 v1, v1, 0, 0
	v_bfi_b32 v0, v0, 0, v52
	v_cmp_eq_u64_e64 s[28:29], v[0:1], v[29:30]
	v_lshrrev_b64 v[0:1], v28, v[52:53]
	v_mov_b32_e32 v2, v1
	v_mov_b32_e32 v1, v0
	s_and_saveexec_b64 s[52:53], s[28:29]
; %bb.15864:                            ;   in Loop: Header=BB6_14344 Depth=3
	v_bfe_u32 v1, v0, 20, 1
	v_add_co_u32_e64 v1, s[28:29], v0, v1
	v_add_co_u32_e64 v1, s[28:29], -1, v1
; %bb.15865:                            ;   in Loop: Header=BB6_14344 Depth=3
	s_or_b64 exec, exec, s[52:53]
	v_add_u32_e32 v2, 0xffffff81, v27
	v_mov_b32_e32 v27, 0xffffff82
	v_cndmask_b32_e32 v2, v2, v27, vcc
	v_lshrrev_b32_e32 v27, 23, v0
	v_add3_u32 v28, v28, v2, v27
	v_add_u32_e32 v27, 6, v28
	v_and_b32_e32 v1, 0xfffff, v1
	v_add_u32_e32 v52, v1, v0
	v_cmp_ne_u32_e32 vcc, 0, v27
                                        ; implicit-def: $vgpr0_vgpr1
                                        ; implicit-def: $vgpr2
	s_and_saveexec_b64 s[28:29], vcc
	s_xor_b64 s[28:29], exec, s[28:29]
; %bb.15866:                            ;   in Loop: Header=BB6_14344 Depth=3
	v_cmp_lt_u64_e32 vcc, s[88:89], v[52:53]
	v_add_u32_e32 v0, 7, v28
	v_cndmask_b32_e32 v2, v27, v0, vcc
	v_cndmask_b32_e64 v0, 0, 1, vcc
	v_lshrrev_b64 v[0:1], v0, v[52:53]
; %bb.15867:                            ;   in Loop: Header=BB6_14344 Depth=3
	s_andn2_saveexec_b64 s[28:29], s[28:29]
; %bb.15868:                            ;   in Loop: Header=BB6_14344 Depth=3
	v_mov_b32_e32 v0, v52
	v_bfe_u32 v2, v52, 23, 1
	v_mov_b32_e32 v1, v53
; %bb.15869:                            ;   in Loop: Header=BB6_14344 Depth=3
	s_or_b64 exec, exec, s[28:29]
	v_lshrrev_b64 v[0:1], 20, v[0:1]
	v_cmp_gt_i32_e32 vcc, 16, v2
	v_cndmask_b32_e32 v1, 0, v1, vcc
	v_cndmask_b32_e32 v0, 7, v0, vcc
	v_cmp_ne_u64_e32 vcc, 0, v[0:1]
	v_cmp_ne_u32_e64 s[28:29], 0, v2
	s_or_b64 s[28:29], s[28:29], vcc
                                        ; implicit-def: $vgpr1
	s_and_saveexec_b64 vcc, s[28:29]
	s_xor_b64 s[28:29], exec, vcc
; %bb.15870:                            ;   in Loop: Header=BB6_14344 Depth=3
	v_min_i32_e32 v1, 15, v2
	v_lshl_or_b32 v1, v1, 3, v25
	v_and_or_b32 v1, v0, 7, v1
                                        ; implicit-def: $vgpr25
; %bb.15871:                            ;   in Loop: Header=BB6_14344 Depth=3
	s_andn2_saveexec_b64 s[28:29], s[28:29]
; %bb.15872:                            ;   in Loop: Header=BB6_14344 Depth=3
	v_mov_b32_e32 v1, v25
; %bb.15873:                            ;   in Loop: Header=BB6_14344 Depth=3
	s_or_b64 exec, exec, s[28:29]
.LBB6_15874:                            ;   in Loop: Header=BB6_14344 Depth=3
	s_or_b64 exec, exec, s[50:51]
                                        ; implicit-def: $vgpr25
.LBB6_15875:                            ;   in Loop: Header=BB6_14344 Depth=3
	s_andn2_saveexec_b64 s[28:29], s[48:49]
; %bb.15876:                            ;   in Loop: Header=BB6_14344 Depth=3
	v_or_b32_e32 v1, 0x7e, v25
; %bb.15877:                            ;   in Loop: Header=BB6_14344 Depth=3
	s_or_b64 exec, exec, s[28:29]
                                        ; implicit-def: $vgpr2
.LBB6_15878:                            ;   in Loop: Header=BB6_14344 Depth=3
	s_andn2_saveexec_b64 s[28:29], s[40:41]
	s_cbranch_execz .LBB6_14343
; %bb.15879:                            ;   in Loop: Header=BB6_14344 Depth=3
	v_or_b32_sdwa v1, v2, s83 dst_sel:DWORD dst_unused:UNUSED_PAD src0_sel:BYTE_3 src1_sel:DWORD
	s_branch .LBB6_14343
.LBB6_15880:                            ;   in Loop: Header=BB6_5595 Depth=2
	s_or_b64 exec, exec, s[38:39]
	buffer_load_dword v3, off, s[0:3], s33 offset:172 ; 4-byte Folded Reload
	buffer_load_dword v4, off, s[0:3], s33 offset:176 ; 4-byte Folded Reload
	;; [unrolled: 1-line block ×5, first 2 shown]
.LBB6_15881:                            ;   in Loop: Header=BB6_5595 Depth=2
	s_or_b64 exec, exec, s[42:43]
	s_waitcnt vmcnt(0)
	v_lshlrev_b32_e32 v0, 11, v1
	v_cmp_ne_u32_e32 vcc, v4, v0
	s_and_b64 exec, exec, vcc
	s_cbranch_execz .LBB6_15933
; %bb.15882:                            ;   in Loop: Header=BB6_5595 Depth=2
	v_lshlrev_b32_e32 v1, 6, v7
	v_sub_u32_e32 v1, v2, v1
	v_lshlrev_b32_e32 v2, 6, v13
	v_sub_u32_e32 v1, v1, v2
	v_add_u32_e32 v0, v0, v1
	v_sub_u32_e32 v10, v4, v0
	v_cmp_lt_i32_e32 vcc, 0, v10
	s_and_b64 exec, exec, vcc
	s_cbranch_execz .LBB6_15933
; %bb.15883:                            ;   in Loop: Header=BB6_5595 Depth=2
	v_add_u32_e32 v6, v0, v3
	s_trap 2
	ds_read_b128 v[2:5], v0
	ds_read_b64 v[0:1], v0
	v_ashrrev_i32_e32 v7, 31, v6
	s_bitcmp1_b32 s8, 0
	s_mov_b64 s[46:47], 0
	s_waitcnt lgkmcnt(0)
	v_add_co_u32_e32 v2, vcc, v2, v6
	v_addc_co_u32_e32 v3, vcc, v3, v7, vcc
	v_add_co_u32_e32 v4, vcc, v4, v6
	v_addc_co_u32_e32 v5, vcc, v5, v7, vcc
	;; [unrolled: 2-line block ×3, first 2 shown]
	s_cselect_b64 s[38:39], -1, 0
	s_branch .LBB6_15885
.LBB6_15884:                            ;   in Loop: Header=BB6_15885 Depth=3
	s_or_b64 exec, exec, s[28:29]
	buffer_load_dword v0, off, s[0:3], s33 offset:188 ; 4-byte Folded Reload
	s_waitcnt vmcnt(0)
	v_add_co_u32_e32 v2, vcc, v2, v0
	v_addc_co_u32_e32 v3, vcc, 0, v3, vcc
	v_add_co_u32_e32 v4, vcc, v4, v0
	v_addc_co_u32_e32 v5, vcc, 0, v5, vcc
	v_sub_u32_e32 v10, v10, v0
	v_cmp_gt_i32_e32 vcc, 1, v10
	flat_store_byte v[8:9], v1 glc slc
	s_or_b64 s[46:47], vcc, s[46:47]
	v_add_co_u32_e32 v8, vcc, v8, v0
	v_addc_co_u32_e32 v9, vcc, 0, v9, vcc
	s_andn2_b64 exec, exec, s[46:47]
	s_cbranch_execz .LBB6_15933
.LBB6_15885:                            ;   Parent Loop BB6_47 Depth=1
                                        ;     Parent Loop BB6_5595 Depth=2
                                        ; =>    This Inner Loop Header: Depth=3
	flat_load_ubyte v6, v[4:5] glc slc
	flat_load_ubyte v7, v[2:3] glc slc
	s_mov_b64 s[48:49], -1
	s_and_b64 vcc, exec, s[38:39]
                                        ; implicit-def: $vgpr0
	s_waitcnt vmcnt(0) lgkmcnt(0)
	v_cmp_ne_u16_e64 s[40:41], 0, v6
	v_cmp_ne_u16_e64 s[28:29], s82, v6
	v_and_b32_sdwa v1, sext(v6), s84 dst_sel:DWORD dst_unused:UNUSED_PAD src0_sel:BYTE_0 src1_sel:DWORD
	v_cmp_ne_u16_e64 s[42:43], 0, v7
	s_cbranch_vccz .LBB6_15899
; %bb.15886:                            ;   in Loop: Header=BB6_15885 Depth=3
	v_mov_b32_e32 v11, 0
	v_mov_b32_e32 v12, 0
	s_and_saveexec_b64 s[48:49], s[42:43]
	s_cbranch_execz .LBB6_15892
; %bb.15887:                            ;   in Loop: Header=BB6_15885 Depth=3
	v_cmp_ne_u16_e32 vcc, s82, v7
	v_bfrev_b32_e32 v12, 1
	s_and_saveexec_b64 s[50:51], vcc
	s_cbranch_execz .LBB6_15891
; %bb.15888:                            ;   in Loop: Header=BB6_15885 Depth=3
	v_and_b32_e32 v0, 0xffff, v7
	v_and_b32_e32 v13, 0x7f, v0
	v_cmp_ne_u32_e32 vcc, s83, v13
	v_mov_b32_e32 v12, 0x7f800001
	s_and_saveexec_b64 s[52:53], vcc
	s_cbranch_execz .LBB6_15890
; %bb.15889:                            ;   in Loop: Header=BB6_15885 Depth=3
	v_and_b32_e32 v14, 7, v0
	v_ffbh_u32_e32 v12, v14
	v_min_u32_e32 v16, 32, v12
	v_subrev_u32_e32 v12, 28, v16
	v_lshrrev_b32_e32 v15, 3, v13
	v_cmp_gt_u32_e32 vcc, 8, v13
	v_lshlrev_b64 v[12:13], v12, v[0:1]
	v_sub_u32_e32 v0, 29, v16
	v_and_b32_e32 v12, 7, v12
	v_cndmask_b32_e32 v0, v15, v0, vcc
	v_cndmask_b32_e32 v12, v14, v12, vcc
	v_lshlrev_b32_e32 v13, 24, v7
	v_bfrev_b32_e32 v14, 60
	v_lshlrev_b32_e32 v12, 20, v12
	v_and_b32_e32 v13, 0x80000000, v13
	v_lshl_add_u32 v0, v0, 23, v14
	v_or3_b32 v12, v13, v0, v12
.LBB6_15890:                            ;   in Loop: Header=BB6_15885 Depth=3
	s_or_b64 exec, exec, s[52:53]
.LBB6_15891:                            ;   in Loop: Header=BB6_15885 Depth=3
	s_or_b64 exec, exec, s[50:51]
.LBB6_15892:                            ;   in Loop: Header=BB6_15885 Depth=3
	s_or_b64 exec, exec, s[48:49]
	s_and_saveexec_b64 s[48:49], s[40:41]
	s_cbranch_execz .LBB6_15898
; %bb.15893:                            ;   in Loop: Header=BB6_15885 Depth=3
	v_bfrev_b32_e32 v11, 1
	s_and_saveexec_b64 s[50:51], s[28:29]
	s_cbranch_execz .LBB6_15897
; %bb.15894:                            ;   in Loop: Header=BB6_15885 Depth=3
	v_and_b32_e32 v0, 0xffff, v6
	v_and_b32_e32 v13, 0x7f, v0
	v_cmp_ne_u32_e32 vcc, s83, v13
	v_mov_b32_e32 v11, 0x7f800001
	s_and_saveexec_b64 s[52:53], vcc
	s_cbranch_execz .LBB6_15896
; %bb.15895:                            ;   in Loop: Header=BB6_15885 Depth=3
	v_and_b32_e32 v11, 7, v0
	v_lshrrev_b32_e32 v15, 3, v13
	v_cmp_gt_u32_e32 vcc, 8, v13
	v_ffbh_u32_e32 v13, v11
	v_min_u32_e32 v16, 32, v13
	v_subrev_u32_e32 v13, 28, v16
	v_lshlrev_b64 v[13:14], v13, v[0:1]
	v_sub_u32_e32 v0, 29, v16
	v_and_b32_e32 v13, 7, v13
	v_cndmask_b32_e32 v11, v11, v13, vcc
	v_cndmask_b32_e32 v0, v15, v0, vcc
	v_lshlrev_b32_e32 v11, 20, v11
	v_lshl_or_b32 v0, v0, 23, v11
	v_add_u32_e32 v0, 0x3c000000, v0
	v_or_b32_e32 v11, v0, v1
.LBB6_15896:                            ;   in Loop: Header=BB6_15885 Depth=3
	s_or_b64 exec, exec, s[52:53]
.LBB6_15897:                            ;   in Loop: Header=BB6_15885 Depth=3
	s_or_b64 exec, exec, s[50:51]
.LBB6_15898:                            ;   in Loop: Header=BB6_15885 Depth=3
	s_or_b64 exec, exec, s[48:49]
	v_max_f32_e32 v0, v11, v11
	v_max_f32_e32 v11, v12, v12
	;; [unrolled: 1-line block ×3, first 2 shown]
	s_mov_b64 s[48:49], 0
.LBB6_15899:                            ;   in Loop: Header=BB6_15885 Depth=3
	s_and_b64 vcc, exec, s[48:49]
	s_cbranch_vccz .LBB6_15913
; %bb.15900:                            ;   in Loop: Header=BB6_15885 Depth=3
	v_mov_b32_e32 v11, 0
	v_mov_b32_e32 v12, 0
	s_and_saveexec_b64 s[48:49], s[42:43]
	s_cbranch_execz .LBB6_15906
; %bb.15901:                            ;   in Loop: Header=BB6_15885 Depth=3
	v_cmp_ne_u16_e32 vcc, s82, v7
	v_bfrev_b32_e32 v12, 1
	s_and_saveexec_b64 s[42:43], vcc
	s_cbranch_execz .LBB6_15905
; %bb.15902:                            ;   in Loop: Header=BB6_15885 Depth=3
	v_and_b32_e32 v0, 0xffff, v7
	v_and_b32_e32 v13, 0x7f, v0
	v_cmp_ne_u32_e32 vcc, s83, v13
	v_mov_b32_e32 v12, 0x7f800001
	s_and_saveexec_b64 s[50:51], vcc
	s_cbranch_execz .LBB6_15904
; %bb.15903:                            ;   in Loop: Header=BB6_15885 Depth=3
	v_and_b32_e32 v14, 7, v0
	v_ffbh_u32_e32 v12, v14
	v_min_u32_e32 v16, 32, v12
	v_subrev_u32_e32 v12, 28, v16
	v_lshrrev_b32_e32 v15, 3, v13
	v_cmp_gt_u32_e32 vcc, 8, v13
	v_lshlrev_b64 v[12:13], v12, v[0:1]
	v_sub_u32_e32 v0, 29, v16
	v_and_b32_e32 v12, 7, v12
	v_cndmask_b32_e32 v0, v15, v0, vcc
	v_cndmask_b32_e32 v12, v14, v12, vcc
	v_lshlrev_b32_e32 v7, 24, v7
	v_bfrev_b32_e32 v13, 60
	v_lshlrev_b32_e32 v12, 20, v12
	v_and_b32_e32 v7, 0x80000000, v7
	v_lshl_add_u32 v0, v0, 23, v13
	v_or3_b32 v12, v7, v0, v12
.LBB6_15904:                            ;   in Loop: Header=BB6_15885 Depth=3
	s_or_b64 exec, exec, s[50:51]
.LBB6_15905:                            ;   in Loop: Header=BB6_15885 Depth=3
	s_or_b64 exec, exec, s[42:43]
.LBB6_15906:                            ;   in Loop: Header=BB6_15885 Depth=3
	s_or_b64 exec, exec, s[48:49]
	s_and_saveexec_b64 s[42:43], s[40:41]
	s_cbranch_execz .LBB6_15912
; %bb.15907:                            ;   in Loop: Header=BB6_15885 Depth=3
	v_bfrev_b32_e32 v11, 1
	s_and_saveexec_b64 s[40:41], s[28:29]
	s_cbranch_execz .LBB6_15911
; %bb.15908:                            ;   in Loop: Header=BB6_15885 Depth=3
	v_and_b32_e32 v0, 0xffff, v6
	v_and_b32_e32 v6, 0x7f, v0
	v_cmp_ne_u32_e32 vcc, s83, v6
	v_mov_b32_e32 v11, 0x7f800001
	s_and_saveexec_b64 s[28:29], vcc
	s_cbranch_execz .LBB6_15910
; %bb.15909:                            ;   in Loop: Header=BB6_15885 Depth=3
	v_and_b32_e32 v11, 7, v0
	v_lshrrev_b32_e32 v13, 3, v6
	v_cmp_gt_u32_e32 vcc, 8, v6
	v_ffbh_u32_e32 v6, v11
	v_min_u32_e32 v14, 32, v6
	v_subrev_u32_e32 v6, 28, v14
	v_lshlrev_b64 v[6:7], v6, v[0:1]
	v_sub_u32_e32 v0, 29, v14
	v_and_b32_e32 v6, 7, v6
	v_cndmask_b32_e32 v6, v11, v6, vcc
	v_cndmask_b32_e32 v0, v13, v0, vcc
	v_lshlrev_b32_e32 v6, 20, v6
	v_lshl_or_b32 v0, v0, 23, v6
	v_add_u32_e32 v0, 0x3c000000, v0
	v_or_b32_e32 v11, v0, v1
.LBB6_15910:                            ;   in Loop: Header=BB6_15885 Depth=3
	s_or_b64 exec, exec, s[28:29]
.LBB6_15911:                            ;   in Loop: Header=BB6_15885 Depth=3
	s_or_b64 exec, exec, s[40:41]
.LBB6_15912:                            ;   in Loop: Header=BB6_15885 Depth=3
	s_or_b64 exec, exec, s[42:43]
	v_max_f32_e32 v0, v11, v11
	v_max_f32_e32 v1, v12, v12
	v_min_f32_e32 v0, v1, v0
.LBB6_15913:                            ;   in Loop: Header=BB6_15885 Depth=3
	v_and_b32_e32 v52, 0x7f800000, v0
	v_cmp_ne_u64_e32 vcc, s[76:77], v[52:53]
                                        ; implicit-def: $vgpr1
	s_and_saveexec_b64 s[28:29], vcc
	s_xor_b64 s[40:41], exec, s[28:29]
	s_cbranch_execz .LBB6_15931
; %bb.15914:                            ;   in Loop: Header=BB6_15885 Depth=3
	v_and_b32_e32 v52, 0x7fffffff, v0
	v_cmp_gt_u64_e32 vcc, s[78:79], v[52:53]
	v_and_b32_sdwa v11, v0, s82 dst_sel:DWORD dst_unused:UNUSED_PAD src0_sel:BYTE_3 src1_sel:DWORD
                                        ; implicit-def: $vgpr1
	s_and_saveexec_b64 s[28:29], vcc
	s_xor_b64 s[42:43], exec, s[28:29]
	s_cbranch_execz .LBB6_15928
; %bb.15915:                            ;   in Loop: Header=BB6_15885 Depth=3
	v_cmp_ne_u32_e32 vcc, 0, v0
	v_mov_b32_e32 v1, 0
	s_and_saveexec_b64 s[48:49], vcc
	s_cbranch_execz .LBB6_15927
; %bb.15916:                            ;   in Loop: Header=BB6_15885 Depth=3
	v_bfe_u32 v12, v0, 23, 8
	v_and_b32_e32 v1, 0x7fffff, v0
	v_cmp_gt_u32_e64 s[28:29], s85, v12
	v_sub_u32_e32 v0, 0x79, v12
	v_cmp_eq_u32_e32 vcc, 0, v12
	v_cndmask_b32_e64 v0, 0, v0, s[28:29]
	v_mov_b32_e32 v7, 0x78
	v_cndmask_b32_e32 v13, v0, v7, vcc
	v_or_b32_e32 v6, 0x800000, v1
	v_add_u32_e32 v0, 20, v13
	v_cndmask_b32_e32 v52, v6, v1, vcc
	v_lshlrev_b64 v[0:1], v0, -1
	v_add_u32_e32 v6, 19, v13
	v_lshlrev_b64 v[6:7], v6, 1
	v_bfi_b32 v1, v1, 0, 0
	v_bfi_b32 v0, v0, 0, v52
	v_cmp_eq_u64_e64 s[28:29], v[0:1], v[6:7]
	v_lshrrev_b64 v[0:1], v13, v[52:53]
	v_mov_b32_e32 v7, v1
	v_mov_b32_e32 v6, v0
	s_and_saveexec_b64 s[50:51], s[28:29]
; %bb.15917:                            ;   in Loop: Header=BB6_15885 Depth=3
	v_bfe_u32 v1, v0, 20, 1
	v_add_co_u32_e64 v1, s[28:29], v0, v1
	v_add_co_u32_e64 v6, s[28:29], -1, v1
; %bb.15918:                            ;   in Loop: Header=BB6_15885 Depth=3
	s_or_b64 exec, exec, s[50:51]
	v_add_u32_e32 v1, 0xffffff81, v12
	v_mov_b32_e32 v7, 0xffffff82
	v_cndmask_b32_e32 v1, v1, v7, vcc
	v_lshrrev_b32_e32 v7, 23, v0
	v_add3_u32 v12, v13, v1, v7
	v_add_u32_e32 v7, 6, v12
	v_and_b32_e32 v1, 0xfffff, v6
	v_add_u32_e32 v52, v1, v0
	v_cmp_ne_u32_e32 vcc, 0, v7
                                        ; implicit-def: $vgpr0_vgpr1
                                        ; implicit-def: $vgpr6
	s_and_saveexec_b64 s[28:29], vcc
	s_xor_b64 s[28:29], exec, s[28:29]
; %bb.15919:                            ;   in Loop: Header=BB6_15885 Depth=3
	v_cmp_lt_u64_e32 vcc, s[88:89], v[52:53]
	v_add_u32_e32 v0, 7, v12
	v_cndmask_b32_e32 v6, v7, v0, vcc
	v_cndmask_b32_e64 v0, 0, 1, vcc
	v_lshrrev_b64 v[0:1], v0, v[52:53]
; %bb.15920:                            ;   in Loop: Header=BB6_15885 Depth=3
	s_andn2_saveexec_b64 s[28:29], s[28:29]
; %bb.15921:                            ;   in Loop: Header=BB6_15885 Depth=3
	v_mov_b32_e32 v0, v52
	v_bfe_u32 v6, v52, 23, 1
	v_mov_b32_e32 v1, v53
; %bb.15922:                            ;   in Loop: Header=BB6_15885 Depth=3
	s_or_b64 exec, exec, s[28:29]
	v_lshrrev_b64 v[0:1], 20, v[0:1]
	v_cmp_gt_i32_e32 vcc, 16, v6
	v_cndmask_b32_e32 v1, 0, v1, vcc
	v_cndmask_b32_e32 v0, 7, v0, vcc
	v_cmp_ne_u64_e32 vcc, 0, v[0:1]
	v_cmp_ne_u32_e64 s[28:29], 0, v6
	s_or_b64 s[28:29], s[28:29], vcc
                                        ; implicit-def: $vgpr1
	s_and_saveexec_b64 vcc, s[28:29]
	s_xor_b64 s[28:29], exec, vcc
; %bb.15923:                            ;   in Loop: Header=BB6_15885 Depth=3
	v_min_i32_e32 v1, 15, v6
	v_lshl_or_b32 v1, v1, 3, v11
	v_and_or_b32 v1, v0, 7, v1
                                        ; implicit-def: $vgpr11
; %bb.15924:                            ;   in Loop: Header=BB6_15885 Depth=3
	s_andn2_saveexec_b64 s[28:29], s[28:29]
; %bb.15925:                            ;   in Loop: Header=BB6_15885 Depth=3
	v_mov_b32_e32 v1, v11
; %bb.15926:                            ;   in Loop: Header=BB6_15885 Depth=3
	s_or_b64 exec, exec, s[28:29]
.LBB6_15927:                            ;   in Loop: Header=BB6_15885 Depth=3
	s_or_b64 exec, exec, s[48:49]
                                        ; implicit-def: $vgpr11
.LBB6_15928:                            ;   in Loop: Header=BB6_15885 Depth=3
	s_andn2_saveexec_b64 s[28:29], s[42:43]
; %bb.15929:                            ;   in Loop: Header=BB6_15885 Depth=3
	v_or_b32_e32 v1, 0x7e, v11
; %bb.15930:                            ;   in Loop: Header=BB6_15885 Depth=3
	s_or_b64 exec, exec, s[28:29]
                                        ; implicit-def: $vgpr0
.LBB6_15931:                            ;   in Loop: Header=BB6_15885 Depth=3
	s_andn2_saveexec_b64 s[28:29], s[40:41]
	s_cbranch_execz .LBB6_15884
; %bb.15932:                            ;   in Loop: Header=BB6_15885 Depth=3
	v_or_b32_sdwa v1, v0, s83 dst_sel:DWORD dst_unused:UNUSED_PAD src0_sel:BYTE_3 src1_sel:DWORD
	s_branch .LBB6_15884
.LBB6_15933:                            ;   in Loop: Header=BB6_5595 Depth=2
	s_or_b64 exec, exec, s[44:45]
.LBB6_15934:                            ;   in Loop: Header=BB6_5595 Depth=2
	buffer_load_dword v0, off, s[0:3], s33 offset:320 ; 4-byte Folded Reload
	s_waitcnt vmcnt(0)
	v_cmp_lt_i32_e64 s[28:29], 0, v0
	s_and_saveexec_b64 s[40:41], s[10:11]
	s_cbranch_execnz .LBB6_15935
; %bb.16615:                            ;   in Loop: Header=BB6_5595 Depth=2
	s_getpc_b64 s[98:99]
.Lpost_getpc44:
	s_add_u32 s98, s98, (.LBB6_5671-.Lpost_getpc44)&4294967295
	s_addc_u32 s99, s99, (.LBB6_5671-.Lpost_getpc44)>>32
	s_setpc_b64 s[98:99]
.LBB6_15935:                            ;   in Loop: Header=BB6_5595 Depth=2
	s_and_saveexec_b64 s[42:43], s[72:73]
	s_xor_b64 s[42:43], exec, s[42:43]
	s_cbranch_execz .LBB6_15950
; %bb.15936:                            ;   in Loop: Header=BB6_5595 Depth=2
	s_and_saveexec_b64 s[44:45], s[16:17]
	s_cbranch_execz .LBB6_15949
; %bb.15937:                            ;   in Loop: Header=BB6_5595 Depth=2
	s_mov_b64 s[38:39], exec
	v_mbcnt_lo_u32_b32 v0, s38, 0
	v_mbcnt_hi_u32_b32 v0, s39, v0
	v_cmp_eq_u32_e32 vcc, 0, v0
	s_waitcnt vmcnt(0) lgkmcnt(0)
	buffer_wbinvl1_vol
	s_and_saveexec_b64 s[46:47], vcc
	s_cbranch_execz .LBB6_15939
; %bb.15938:                            ;   in Loop: Header=BB6_5595 Depth=2
	s_bcnt1_i32_b64 s8, s[38:39]
	v_mov_b32_e32 v0, s8
	v_mov_b32_e32 v1, v53
	ds_add_u64 v0, v[0:1]
	s_trap 2
.LBB6_15939:                            ;   in Loop: Header=BB6_5595 Depth=2
	s_or_b64 exec, exec, s[46:47]
	s_trap 2
	ds_read_b64 v[0:1], v0
	s_waitcnt lgkmcnt(0)
	buffer_load_dword v2, off, s[0:3], s33 offset:76 ; 4-byte Folded Reload
	buffer_load_dword v3, off, s[0:3], s33 offset:80 ; 4-byte Folded Reload
	s_waitcnt vmcnt(1)
	v_add_co_u32_e32 v2, vcc, v2, v48
	s_waitcnt vmcnt(0)
	v_addc_co_u32_e32 v3, vcc, 0, v3, vcc
	buffer_store_dword v2, off, s[0:3], s33 offset:76 ; 4-byte Folded Spill
	s_nop 0
	buffer_store_dword v3, off, s[0:3], s33 offset:80 ; 4-byte Folded Spill
	v_cmp_lt_u64_e32 vcc, v[0:1], v[2:3]
	s_and_saveexec_b64 s[46:47], vcc
	s_cbranch_execz .LBB6_15948
; %bb.15940:                            ;   in Loop: Header=BB6_5595 Depth=2
	s_mov_b32 s8, 0
	s_mov_b64 s[38:39], 0
                                        ; implicit-def: $sgpr48_sgpr49
                                        ; implicit-def: $sgpr50_sgpr51
	s_branch .LBB6_15942
.LBB6_15941:                            ;   in Loop: Header=BB6_15942 Depth=3
	s_or_b64 exec, exec, s[54:55]
	s_and_b64 vcc, exec, vcc
	s_or_b64 s[38:39], vcc, s[38:39]
	s_andn2_b64 vcc, s[48:49], exec
	s_and_b64 s[48:49], s[50:51], exec
	s_or_b64 s[48:49], vcc, s[48:49]
	s_andn2_b64 exec, exec, s[38:39]
	s_cbranch_execz .LBB6_15946
.LBB6_15942:                            ;   Parent Loop BB6_47 Depth=1
                                        ;     Parent Loop BB6_5595 Depth=2
                                        ; =>    This Inner Loop Header: Depth=3
	s_add_i32 s8, s8, 1
	s_cmpk_lg_i32 s8, 0x2710
	s_cselect_b64 s[52:53], -1, 0
	s_and_b64 vcc, exec, s[52:53]
	s_cbranch_vccz .LBB6_15944
; %bb.15943:                            ;   in Loop: Header=BB6_15942 Depth=3
	s_mov_b64 vcc, -1
	s_or_b64 s[50:51], s[50:51], exec
	s_and_saveexec_b64 s[54:55], s[52:53]
	s_cbranch_execz .LBB6_15941
	s_branch .LBB6_15945
.LBB6_15944:                            ;   in Loop: Header=BB6_15942 Depth=3
	s_trap 2
	ds_read_b64 v[0:1], v0
	s_andn2_b64 s[52:53], s[52:53], exec
	s_mov_b32 s8, 0
	s_waitcnt vmcnt(0) lgkmcnt(0)
	flat_load_dword v0, v[0:1] glc
	s_waitcnt vmcnt(0) lgkmcnt(0)
	buffer_wbinvl1_vol
	v_cmp_eq_u32_e32 vcc, 0, v0
	s_and_b64 vcc, vcc, exec
	s_or_b64 s[52:53], s[52:53], vcc
	s_mov_b64 vcc, -1
	s_or_b64 s[50:51], s[50:51], exec
	s_and_saveexec_b64 s[54:55], s[52:53]
	s_cbranch_execz .LBB6_15941
.LBB6_15945:                            ;   in Loop: Header=BB6_15942 Depth=3
	s_sleep 1
	s_trap 2
	ds_read_b64 v[0:1], v0
	s_waitcnt lgkmcnt(0)
	buffer_load_dword v2, off, s[0:3], s33 offset:76 ; 4-byte Folded Reload
	buffer_load_dword v3, off, s[0:3], s33 offset:80 ; 4-byte Folded Reload
	s_andn2_b64 s[50:51], s[50:51], exec
	s_waitcnt vmcnt(0)
	v_cmp_ge_u64_e32 vcc, v[0:1], v[2:3]
	s_orn2_b64 vcc, vcc, exec
	s_branch .LBB6_15941
.LBB6_15946:                            ;   in Loop: Header=BB6_5595 Depth=2
	s_or_b64 exec, exec, s[38:39]
	s_and_saveexec_b64 vcc, s[48:49]
	s_xor_b64 vcc, exec, vcc
	s_cbranch_execz .LBB6_15948
; %bb.15947:                            ;   in Loop: Header=BB6_5595 Depth=2
	v_mov_b32_e32 v0, 1
	ds_write_b32 v0, v0
	s_trap 2
.LBB6_15948:                            ;   in Loop: Header=BB6_5595 Depth=2
	s_or_b64 exec, exec, s[46:47]
	;;#ASMSTART
	s_wakeup
	;;#ASMEND
.LBB6_15949:                            ;   in Loop: Header=BB6_5595 Depth=2
	s_or_b64 exec, exec, s[44:45]
.LBB6_15950:                            ;   in Loop: Header=BB6_5595 Depth=2
	s_andn2_saveexec_b64 s[42:43], s[42:43]
	s_cbranch_execz .LBB6_15952
; %bb.15951:                            ;   in Loop: Header=BB6_5595 Depth=2
	s_waitcnt vmcnt(0) lgkmcnt(0)
	buffer_wbinvl1_vol
	s_barrier
.LBB6_15952:                            ;   in Loop: Header=BB6_5595 Depth=2
	s_or_b64 exec, exec, s[42:43]
	s_or_b64 exec, exec, s[40:41]
                                        ; implicit-def: $vgpr0
	s_and_saveexec_b64 s[40:41], s[24:25]
	s_xor_b64 s[40:41], exec, s[40:41]
	s_cbranch_execz .LBB6_15953
; %bb.16617:                            ;   in Loop: Header=BB6_5595 Depth=2
	s_getpc_b64 s[98:99]
.Lpost_getpc45:
	s_add_u32 s98, s98, (.LBB6_5672-.Lpost_getpc45)&4294967295
	s_addc_u32 s99, s99, (.LBB6_5672-.Lpost_getpc45)>>32
	s_setpc_b64 s[98:99]
.LBB6_15953:                            ;   in Loop: Header=BB6_5595 Depth=2
	s_andn2_saveexec_b64 s[28:29], s[40:41]
	s_cbranch_execz .LBB6_15972
.LBB6_15954:                            ;   in Loop: Header=BB6_5595 Depth=2
	s_and_saveexec_b64 s[40:41], s[72:73]
	s_xor_b64 s[40:41], exec, s[40:41]
	s_cbranch_execz .LBB6_15969
; %bb.15955:                            ;   in Loop: Header=BB6_5595 Depth=2
	s_and_saveexec_b64 s[42:43], s[16:17]
	s_cbranch_execz .LBB6_15968
; %bb.15956:                            ;   in Loop: Header=BB6_5595 Depth=2
	s_mov_b64 s[46:47], exec
	v_mbcnt_lo_u32_b32 v0, s46, 0
	v_mbcnt_hi_u32_b32 v0, s47, v0
	v_cmp_eq_u32_e32 vcc, 0, v0
	;;#ASMSTART
	s_waitcnt lgkmcnt(0) vmcnt(0)
	;;#ASMEND
	s_and_saveexec_b64 s[44:45], vcc
	s_cbranch_execz .LBB6_15958
; %bb.15957:                            ;   in Loop: Header=BB6_5595 Depth=2
	s_bcnt1_i32_b64 s8, s[46:47]
	v_mov_b32_e32 v0, s8
	v_mov_b32_e32 v1, v53
	s_waitcnt lgkmcnt(0)
	ds_add_u64 v0, v[0:1]
	s_trap 2
.LBB6_15958:                            ;   in Loop: Header=BB6_5595 Depth=2
	s_or_b64 exec, exec, s[44:45]
	s_trap 2
	ds_read_b64 v[0:1], v0
	s_waitcnt lgkmcnt(0)
	buffer_load_dword v2, off, s[0:3], s33 offset:76 ; 4-byte Folded Reload
	buffer_load_dword v3, off, s[0:3], s33 offset:80 ; 4-byte Folded Reload
	s_waitcnt vmcnt(1)
	v_add_co_u32_e32 v2, vcc, v2, v48
	s_waitcnt vmcnt(0)
	v_addc_co_u32_e32 v3, vcc, 0, v3, vcc
	buffer_store_dword v2, off, s[0:3], s33 offset:76 ; 4-byte Folded Spill
	s_nop 0
	buffer_store_dword v3, off, s[0:3], s33 offset:80 ; 4-byte Folded Spill
	v_cmp_lt_u64_e32 vcc, v[0:1], v[2:3]
	s_and_saveexec_b64 s[44:45], vcc
	s_cbranch_execz .LBB6_15967
; %bb.15959:                            ;   in Loop: Header=BB6_5595 Depth=2
	s_mov_b32 s8, 0
	s_mov_b64 s[46:47], 0
                                        ; implicit-def: $sgpr38_sgpr39
                                        ; implicit-def: $sgpr48_sgpr49
	s_branch .LBB6_15961
.LBB6_15960:                            ;   in Loop: Header=BB6_15961 Depth=3
	s_or_b64 exec, exec, s[52:53]
	s_and_b64 vcc, exec, vcc
	s_or_b64 s[46:47], vcc, s[46:47]
	s_andn2_b64 vcc, s[38:39], exec
	s_and_b64 s[38:39], s[48:49], exec
	s_or_b64 s[38:39], vcc, s[38:39]
	s_andn2_b64 exec, exec, s[46:47]
	s_cbranch_execz .LBB6_15965
.LBB6_15961:                            ;   Parent Loop BB6_47 Depth=1
                                        ;     Parent Loop BB6_5595 Depth=2
                                        ; =>    This Inner Loop Header: Depth=3
	s_add_i32 s8, s8, 1
	s_cmpk_lg_i32 s8, 0x2710
	s_cselect_b64 s[50:51], -1, 0
	s_and_b64 vcc, exec, s[50:51]
	s_cbranch_vccz .LBB6_15963
; %bb.15962:                            ;   in Loop: Header=BB6_15961 Depth=3
	s_mov_b64 vcc, -1
	s_or_b64 s[48:49], s[48:49], exec
	s_and_saveexec_b64 s[52:53], s[50:51]
	s_cbranch_execz .LBB6_15960
	s_branch .LBB6_15964
.LBB6_15963:                            ;   in Loop: Header=BB6_15961 Depth=3
	s_trap 2
	ds_read_b64 v[0:1], v0
	s_andn2_b64 s[50:51], s[50:51], exec
	s_mov_b32 s8, 0
	s_waitcnt vmcnt(0) lgkmcnt(0)
	flat_load_dword v0, v[0:1] glc
	s_waitcnt vmcnt(0) lgkmcnt(0)
	buffer_wbinvl1_vol
	v_cmp_eq_u32_e32 vcc, 0, v0
	s_and_b64 vcc, vcc, exec
	s_or_b64 s[50:51], s[50:51], vcc
	s_mov_b64 vcc, -1
	s_or_b64 s[48:49], s[48:49], exec
	s_and_saveexec_b64 s[52:53], s[50:51]
	s_cbranch_execz .LBB6_15960
.LBB6_15964:                            ;   in Loop: Header=BB6_15961 Depth=3
	s_sleep 1
	s_trap 2
	ds_read_b64 v[0:1], v0
	s_waitcnt lgkmcnt(0)
	buffer_load_dword v2, off, s[0:3], s33 offset:76 ; 4-byte Folded Reload
	buffer_load_dword v3, off, s[0:3], s33 offset:80 ; 4-byte Folded Reload
	s_andn2_b64 s[48:49], s[48:49], exec
	s_waitcnt vmcnt(0)
	v_cmp_ge_u64_e32 vcc, v[0:1], v[2:3]
	s_orn2_b64 vcc, vcc, exec
	s_branch .LBB6_15960
.LBB6_15965:                            ;   in Loop: Header=BB6_5595 Depth=2
	s_or_b64 exec, exec, s[46:47]
	s_and_saveexec_b64 s[46:47], s[38:39]
	s_xor_b64 s[46:47], exec, s[46:47]
	s_cbranch_execz .LBB6_15967
; %bb.15966:                            ;   in Loop: Header=BB6_5595 Depth=2
	v_mov_b32_e32 v0, 1
	ds_write_b32 v0, v0
	s_trap 2
.LBB6_15967:                            ;   in Loop: Header=BB6_5595 Depth=2
	s_or_b64 exec, exec, s[44:45]
	;;#ASMSTART
	s_wakeup
	;;#ASMEND
.LBB6_15968:                            ;   in Loop: Header=BB6_5595 Depth=2
	s_or_b64 exec, exec, s[42:43]
.LBB6_15969:                            ;   in Loop: Header=BB6_5595 Depth=2
	s_andn2_saveexec_b64 s[40:41], s[40:41]
	s_cbranch_execz .LBB6_15971
; %bb.15970:                            ;   in Loop: Header=BB6_5595 Depth=2
	;;#ASMSTART
	s_waitcnt lgkmcnt(0) vmcnt(0)
	;;#ASMEND
	s_waitcnt vmcnt(0) lgkmcnt(0)
	s_barrier
.LBB6_15971:                            ;   in Loop: Header=BB6_5595 Depth=2
	s_or_b64 exec, exec, s[40:41]
	buffer_load_dword v0, off, s[0:3], s33 offset:72 ; 4-byte Folded Reload
	s_waitcnt vmcnt(0)
	v_and_b32_e32 v0, 16, v0
.LBB6_15972:                            ;   in Loop: Header=BB6_5595 Depth=2
	s_or_b64 exec, exec, s[28:29]
	v_cmp_ne_u32_e32 vcc, 0, v0
	s_xor_b64 s[28:29], s[12:13], -1
	s_and_b64 s[40:41], vcc, s[28:29]
	s_and_saveexec_b64 s[28:29], s[40:41]
	s_cbranch_execz .LBB6_15974
; %bb.15973:                            ;   in Loop: Header=BB6_5595 Depth=2
	buffer_load_dword v0, off, s[0:3], s33 offset:220 ; 4-byte Folded Reload
	buffer_load_dword v1, off, s[0:3], s33 offset:224 ; 4-byte Folded Reload
	v_mov_b32_e32 v2, 1
	s_waitcnt vmcnt(0)
	flat_store_dword v[0:1], v2
.LBB6_15974:                            ;   in Loop: Header=BB6_5595 Depth=2
	s_or_b64 exec, exec, s[28:29]
	buffer_load_dword v0, off, s[0:3], s33 offset:72 ; 4-byte Folded Reload
	s_waitcnt vmcnt(0)
	v_and_b32_e32 v0, 48, v0
	v_cmp_ne_u32_e32 vcc, 0, v0
	s_and_saveexec_b64 s[28:29], vcc
	s_cbranch_execnz .LBB6_15975
; %bb.16619:                            ;   in Loop: Header=BB6_5595 Depth=2
	s_getpc_b64 s[98:99]
.Lpost_getpc46:
	s_add_u32 s98, s98, (.LBB6_5594-.Lpost_getpc46)&4294967295
	s_addc_u32 s99, s99, (.LBB6_5594-.Lpost_getpc46)>>32
	s_setpc_b64 s[98:99]
.LBB6_15975:                            ;   in Loop: Header=BB6_5595 Depth=2
	buffer_load_dword v2, off, s[0:3], s33 offset:84 ; 4-byte Folded Reload
	buffer_load_dword v3, off, s[0:3], s33 offset:88 ; 4-byte Folded Reload
	;; [unrolled: 1-line block ×4, first 2 shown]
	s_waitcnt vmcnt(0)
	v_add_co_u32_e32 v2, vcc, 2, v2
	v_addc_co_u32_e32 v3, vcc, 0, v3, vcc
	buffer_store_dword v2, off, s[0:3], s33 offset:84 ; 4-byte Folded Spill
	s_nop 0
	buffer_store_dword v3, off, s[0:3], s33 offset:88 ; 4-byte Folded Spill
	flat_store_dwordx2 v[0:1], v[2:3]
; %bb.16569:                            ;   in Loop: Header=BB6_5595 Depth=2
	s_getpc_b64 s[98:99]
.Lpost_getpc21:
	s_add_u32 s98, s98, (.LBB6_5594-.Lpost_getpc21)&4294967295
	s_addc_u32 s99, s99, (.LBB6_5594-.Lpost_getpc21)>>32
	s_setpc_b64 s[98:99]
.LBB6_15976:                            ;   in Loop: Header=BB6_47 Depth=1
	s_or_b64 exec, exec, s[30:31]
	v_cmp_gt_i32_e32 vcc, 2, v2
	s_and_saveexec_b64 s[40:41], vcc
	s_cbranch_execz .LBB6_16052
.LBB6_15977:                            ;   in Loop: Header=BB6_47 Depth=1
	buffer_load_dword v13, off, s[0:3], s33 offset:96 ; 4-byte Folded Reload
	buffer_load_dword v14, off, s[0:3], s33 offset:100 ; 4-byte Folded Reload
	;; [unrolled: 1-line block ×3, first 2 shown]
	v_cmp_eq_u32_e64 s[44:45], 0, v2
	s_mov_b64 s[42:43], 0
	s_branch .LBB6_15979
.LBB6_15978:                            ;   in Loop: Header=BB6_15979 Depth=2
	s_or_b64 exec, exec, s[28:29]
	v_mov_b32_e32 v1, v14
	v_add_u32_e32 v1, v13, v1
	s_mov_b64 s[44:45], 0
	s_andn2_b64 exec, exec, s[42:43]
	s_cbranch_execz .LBB6_16053
.LBB6_15979:                            ;   Parent Loop BB6_47 Depth=1
                                        ; =>  This Loop Header: Depth=2
                                        ;       Child Loop BB6_15985 Depth 3
                                        ;       Child Loop BB6_16013 Depth 3
	;; [unrolled: 1-line block ×3, first 2 shown]
	buffer_load_dword v0, off, s[0:3], s33 offset:284 ; 4-byte Folded Reload
	s_waitcnt vmcnt(0)
	v_mov_b32_e32 v14, v1
	v_sub_u32_e32 v0, v0, v1
	v_min_i32_e32 v13, v13, v0
	buffer_load_dword v0, off, s[0:3], s33 offset:72 ; 4-byte Folded Reload
	s_waitcnt vmcnt(0)
	v_and_b32_e32 v0, 12, v0
	v_cmp_ne_u32_e32 vcc, 0, v0
	s_and_saveexec_b64 s[46:47], vcc
	s_cbranch_execz .LBB6_16005
; %bb.15980:                            ;   in Loop: Header=BB6_15979 Depth=2
	buffer_load_dword v0, off, s[0:3], s33 offset:72 ; 4-byte Folded Reload
	s_waitcnt vmcnt(0)
	v_and_b32_e32 v8, 8, v0
	buffer_load_dword v0, off, s[0:3], s33 offset:56 ; 4-byte Folded Reload
	buffer_load_dword v1, off, s[0:3], s33 offset:60 ; 4-byte Folded Reload
	;; [unrolled: 1-line block ×4, first 2 shown]
	s_waitcnt vmcnt(0)
	v_add_co_u32_e32 v0, vcc, v0, v8
	v_addc_co_u32_e32 v1, vcc, 0, v1, vcc
	v_add_co_u32_e32 v2, vcc, 2, v2
	v_addc_co_u32_e32 v3, vcc, 0, v3, vcc
	v_cmp_lt_u64_e32 vcc, v[0:1], v[2:3]
	s_and_saveexec_b64 s[30:31], vcc
	s_cbranch_execz .LBB6_15992
; %bb.15981:                            ;   in Loop: Header=BB6_15979 Depth=2
	buffer_load_dword v0, off, s[0:3], s33 offset:72 ; 4-byte Folded Reload
	s_mov_b32 s8, 0
	s_mov_b64 s[34:35], 0
                                        ; implicit-def: $sgpr36_sgpr37
                                        ; implicit-def: $sgpr38_sgpr39
                                        ; implicit-def: $sgpr48_sgpr49
	s_waitcnt vmcnt(0)
	v_and_b32_e32 v0, 64, v0
	v_cmp_eq_u32_e32 vcc, 0, v0
	s_branch .LBB6_15985
.LBB6_15982:                            ;   in Loop: Header=BB6_15985 Depth=3
	buffer_load_dword v4, off, s[0:3], s33 offset:56 ; 4-byte Folded Reload
	buffer_load_dword v5, off, s[0:3], s33 offset:60 ; 4-byte Folded Reload
	s_or_b64 s[54:55], s[54:55], exec
	s_waitcnt vmcnt(1)
	v_add_co_u32_e64 v4, s[28:29], v4, v8
	s_waitcnt vmcnt(0)
	v_addc_co_u32_e64 v5, s[28:29], 0, v5, s[28:29]
	v_cmp_ge_u64_e64 s[28:29], v[4:5], v[2:3]
	s_orn2_b64 s[52:53], s[28:29], exec
.LBB6_15983:                            ;   in Loop: Header=BB6_15985 Depth=3
	s_or_b64 exec, exec, s[66:67]
	s_andn2_b64 s[28:29], s[48:49], exec
	s_and_b64 s[48:49], s[54:55], exec
	s_or_b64 s[48:49], s[28:29], s[48:49]
	s_andn2_b64 s[28:29], s[38:39], exec
	s_and_b64 s[38:39], s[52:53], exec
	s_or_b64 s[38:39], s[28:29], s[38:39]
.LBB6_15984:                            ;   in Loop: Header=BB6_15985 Depth=3
	s_or_b64 exec, exec, s[50:51]
	s_and_b64 s[28:29], exec, s[38:39]
	s_or_b64 s[34:35], s[28:29], s[34:35]
	s_andn2_b64 s[28:29], s[36:37], exec
	s_and_b64 s[36:37], s[48:49], exec
	s_or_b64 s[36:37], s[28:29], s[36:37]
	s_andn2_b64 exec, exec, s[34:35]
	s_cbranch_execz .LBB6_15989
.LBB6_15985:                            ;   Parent Loop BB6_47 Depth=1
                                        ;     Parent Loop BB6_15979 Depth=2
                                        ; =>    This Inner Loop Header: Depth=3
	s_sleep 1
	buffer_load_dword v0, off, s[0:3], s33 offset:64 ; 4-byte Folded Reload
	buffer_load_dword v1, off, s[0:3], s33 offset:68 ; 4-byte Folded Reload
	s_or_b64 s[48:49], s[48:49], exec
	s_or_b64 s[38:39], s[38:39], exec
	s_waitcnt vmcnt(0)
	flat_load_dwordx2 v[0:1], v[0:1] glc
	s_waitcnt vmcnt(0) lgkmcnt(0)
	buffer_store_dword v0, off, s[0:3], s33 offset:56 ; 4-byte Folded Spill
	s_nop 0
	buffer_store_dword v1, off, s[0:3], s33 offset:60 ; 4-byte Folded Spill
                                        ; implicit-def: $vgpr0
	s_and_saveexec_b64 s[50:51], vcc
	s_cbranch_execz .LBB6_15984
; %bb.15986:                            ;   in Loop: Header=BB6_15985 Depth=3
	s_cmpk_lt_i32 s8, 0x270f
	s_cselect_b64 s[64:65], -1, 0
	s_cmpk_gt_i32 s8, 0x270e
	s_mov_b64 s[52:53], -1
	s_cbranch_scc0 .LBB6_15988
; %bb.15987:                            ;   in Loop: Header=BB6_15985 Depth=3
	s_trap 2
	ds_read_b64 v[0:1], v0
	s_andn2_b64 s[64:65], s[64:65], exec
	s_mov_b32 s8, 0
	s_mov_b64 s[54:55], 0
	s_waitcnt vmcnt(0) lgkmcnt(0)
	flat_load_dword v0, v[0:1] glc
	s_waitcnt vmcnt(0) lgkmcnt(0)
	buffer_wbinvl1_vol
	v_cmp_eq_u32_e64 s[28:29], 0, v0
	s_and_b64 s[28:29], s[28:29], exec
	s_or_b64 s[64:65], s[64:65], s[28:29]
	s_and_saveexec_b64 s[66:67], s[64:65]
	s_cbranch_execz .LBB6_15983
	s_branch .LBB6_15982
.LBB6_15988:                            ;   in Loop: Header=BB6_15985 Depth=3
	s_add_i32 s8, s8, 1
	s_mov_b64 s[54:55], -1
                                        ; implicit-def: $vgpr0
	s_and_saveexec_b64 s[66:67], s[64:65]
	s_cbranch_execz .LBB6_15983
	s_branch .LBB6_15982
.LBB6_15989:                            ;   in Loop: Header=BB6_15979 Depth=2
	s_or_b64 exec, exec, s[34:35]
	s_xor_b64 s[8:9], s[36:37], -1
	s_and_saveexec_b64 s[28:29], s[8:9]
	s_xor_b64 s[28:29], exec, s[28:29]
	s_cbranch_execz .LBB6_15991
; %bb.15990:                            ;   in Loop: Header=BB6_15979 Depth=2
	ds_write_b32 v0, v0
	s_trap 2
	buffer_load_dword v0, off, s[0:3], s33 offset:72 ; 4-byte Folded Reload
	s_waitcnt vmcnt(0)
	v_or_b32_e32 v0, 64, v0
	buffer_store_dword v0, off, s[0:3], s33 offset:72 ; 4-byte Folded Spill
.LBB6_15991:                            ;   in Loop: Header=BB6_15979 Depth=2
	s_or_b64 exec, exec, s[28:29]
.LBB6_15992:                            ;   in Loop: Header=BB6_15979 Depth=2
	s_or_b64 exec, exec, s[30:31]
	;;#ASMSTART
	s_wakeup
	;;#ASMEND
	buffer_load_dword v0, off, s[0:3], s33 offset:72 ; 4-byte Folded Reload
                                        ; implicit-def: $vgpr4_vgpr5
	s_waitcnt vmcnt(0)
	v_and_b32_e32 v0, 0x108, v0
	v_cmp_ne_u32_e32 vcc, s81, v0
	s_and_saveexec_b64 s[8:9], vcc
	s_xor_b64 s[28:29], exec, s[8:9]
	s_cbranch_execz .LBB6_15994
; %bb.15993:                            ;   in Loop: Header=BB6_15979 Depth=2
	buffer_load_dword v0, off, s[0:3], s33 offset:84 ; 4-byte Folded Reload
	buffer_load_dword v1, off, s[0:3], s33 offset:88 ; 4-byte Folded Reload
	v_mov_b32_e32 v5, v53
	s_waitcnt vmcnt(0)
	v_and_b32_e32 v4, 7, v0
                                        ; implicit-def: $vgpr0_vgpr1
                                        ; kill: killed $vgpr0_vgpr1
.LBB6_15994:                            ;   in Loop: Header=BB6_15979 Depth=2
	s_andn2_saveexec_b64 s[28:29], s[28:29]
	s_cbranch_execz .LBB6_15996
; %bb.15995:                            ;   in Loop: Header=BB6_15979 Depth=2
	buffer_load_dword v0, off, s[0:3], s33 offset:84 ; 4-byte Folded Reload
	buffer_load_dword v1, off, s[0:3], s33 offset:88 ; 4-byte Folded Reload
	;; [unrolled: 1-line block ×6, first 2 shown]
	v_mov_b32_e32 v6, v13
	v_mov_b32_e32 v5, v53
	v_ashrrev_i32_e32 v7, 31, v6
	s_waitcnt vmcnt(0)
	v_and_b32_e32 v4, 7, v0
	v_mad_u64_u32 v[0:1], s[8:9], v4, 24, v[9:10]
	flat_store_dwordx2 v[0:1], v[6:7] offset:8
.LBB6_15996:                            ;   in Loop: Header=BB6_15979 Depth=2
	s_or_b64 exec, exec, s[28:29]
	buffer_load_dword v0, off, s[0:3], s33 offset:72 ; 4-byte Folded Reload
	s_mov_b64 s[28:29], -1
	s_waitcnt vmcnt(0)
	v_and_b32_e32 v0, 0x100, v0
	v_cmp_ne_u32_e32 vcc, 0, v0
                                        ; implicit-def: $vgpr0_vgpr1
	s_and_saveexec_b64 s[30:31], vcc
	s_cbranch_execz .LBB6_16000
; %bb.15997:                            ;   in Loop: Header=BB6_15979 Depth=2
	buffer_load_dword v9, off, s[0:3], s33 offset:204 ; 4-byte Folded Reload
	buffer_load_dword v10, off, s[0:3], s33 offset:208 ; 4-byte Folded Reload
	;; [unrolled: 1-line block ×4, first 2 shown]
	s_waitcnt vmcnt(0)
	v_mad_u64_u32 v[6:7], s[8:9], v4, 24, v[9:10]
	v_mov_b32_e32 v0, v7
	v_mad_u64_u32 v[0:1], s[8:9], v5, 24, v[0:1]
	v_mov_b32_e32 v7, v0
	flat_load_dword v0, v[6:7]
	s_waitcnt vmcnt(0) lgkmcnt(0)
	v_cmp_ne_u32_e32 vcc, 1, v0
	v_cmp_eq_u32_e64 s[28:29], 1, v0
                                        ; implicit-def: $vgpr0_vgpr1
	s_and_saveexec_b64 s[34:35], s[28:29]
	s_cbranch_execz .LBB6_15999
; %bb.15998:                            ;   in Loop: Header=BB6_15979 Depth=2
	flat_load_dword v0, v[6:7] offset:4 glc
	s_waitcnt vmcnt(0) lgkmcnt(0)
	v_ashrrev_i32_e32 v1, 31, v0
.LBB6_15999:                            ;   in Loop: Header=BB6_15979 Depth=2
	s_or_b64 exec, exec, s[34:35]
	s_orn2_b64 s[28:29], vcc, exec
.LBB6_16000:                            ;   in Loop: Header=BB6_15979 Depth=2
	s_or_b64 exec, exec, s[30:31]
	s_and_saveexec_b64 vcc, s[28:29]
	s_cbranch_execz .LBB6_16002
; %bb.16001:                            ;   in Loop: Header=BB6_15979 Depth=2
	buffer_load_dword v0, off, s[0:3], s33 offset:232 ; 4-byte Folded Reload
	buffer_load_dword v1, off, s[0:3], s33 offset:252 ; 4-byte Folded Reload
	s_waitcnt vmcnt(0)
	v_mul_lo_u32 v5, v5, v0
	v_mul_lo_u32 v6, v4, v1
	v_mad_u64_u32 v[0:1], s[8:9], v4, v0, 0
	v_add3_u32 v1, v1, v6, v5
.LBB6_16002:                            ;   in Loop: Header=BB6_15979 Depth=2
	s_or_b64 exec, exec, vcc
	v_cmp_eq_u32_e32 vcc, 0, v8
	v_mov_b32_e32 v4, 0x90
	v_mov_b32_e32 v5, 0xd0
	v_cndmask_b32_e32 v4, v5, v4, vcc
	buffer_load_dword v5, off, s[0:3], s33 offset:196 ; 4-byte Folded Reload
	buffer_load_dword v6, off, s[0:3], s33 offset:200 ; 4-byte Folded Reload
	s_waitcnt vmcnt(0)
	v_add_co_u32_e32 v0, vcc, v5, v0
	v_addc_co_u32_e32 v1, vcc, v6, v1, vcc
	v_add_u32_e32 v4, v0, v4
	ds_write_b64 v4, v[0:1] offset:584
	buffer_load_dword v0, off, s[0:3], s33 offset:72 ; 4-byte Folded Reload
	s_waitcnt vmcnt(0)
	v_and_b32_e32 v0, 0x2000, v0
	v_cmp_ne_u32_e32 vcc, 0, v0
	s_and_saveexec_b64 s[28:29], vcc
	s_cbranch_execz .LBB6_16004
; %bb.16003:                            ;   in Loop: Header=BB6_15979 Depth=2
	ds_read_b64 v[0:1], v0 offset:872
	s_waitcnt lgkmcnt(0)
	v_add_co_u32_e32 v0, vcc, 1, v0
	v_addc_co_u32_e32 v1, vcc, 0, v1, vcc
	ds_write_b64 v0, v[0:1] offset:872
.LBB6_16004:                            ;   in Loop: Header=BB6_15979 Depth=2
	s_or_b64 exec, exec, s[28:29]
	buffer_store_dword v2, off, s[0:3], s33 offset:84 ; 4-byte Folded Spill
	s_nop 0
	buffer_store_dword v3, off, s[0:3], s33 offset:88 ; 4-byte Folded Spill
.LBB6_16005:                            ;   in Loop: Header=BB6_15979 Depth=2
	s_or_b64 exec, exec, s[46:47]
	s_xor_b64 s[8:9], s[44:45], -1
	s_and_b64 s[8:9], exec, s[8:9]
	s_or_b64 s[42:43], s[8:9], s[42:43]
	s_and_saveexec_b64 s[28:29], s[10:11]
	s_cbranch_execz .LBB6_16024
; %bb.16006:                            ;   in Loop: Header=BB6_15979 Depth=2
	s_and_saveexec_b64 s[8:9], s[72:73]
	s_xor_b64 s[44:45], exec, s[8:9]
	s_cbranch_execz .LBB6_16021
; %bb.16007:                            ;   in Loop: Header=BB6_15979 Depth=2
	s_and_saveexec_b64 s[46:47], s[16:17]
	s_cbranch_execz .LBB6_16020
; %bb.16008:                            ;   in Loop: Header=BB6_15979 Depth=2
	s_mov_b64 s[34:35], exec
	v_mbcnt_lo_u32_b32 v0, s34, 0
	v_mbcnt_hi_u32_b32 v0, s35, v0
	v_cmp_eq_u32_e32 vcc, 0, v0
	s_waitcnt vmcnt(0) lgkmcnt(0)
	buffer_wbinvl1_vol
	s_and_saveexec_b64 s[30:31], vcc
	s_cbranch_execz .LBB6_16010
; %bb.16009:                            ;   in Loop: Header=BB6_15979 Depth=2
	s_bcnt1_i32_b64 s8, s[34:35]
	v_mov_b32_e32 v0, s8
	v_mov_b32_e32 v1, v53
	ds_add_u64 v0, v[0:1]
	s_trap 2
.LBB6_16010:                            ;   in Loop: Header=BB6_15979 Depth=2
	s_or_b64 exec, exec, s[30:31]
	s_trap 2
	ds_read_b64 v[0:1], v0
	s_waitcnt lgkmcnt(0)
	buffer_load_dword v2, off, s[0:3], s33 offset:76 ; 4-byte Folded Reload
	buffer_load_dword v3, off, s[0:3], s33 offset:80 ; 4-byte Folded Reload
	s_waitcnt vmcnt(1)
	v_add_co_u32_e32 v2, vcc, v2, v48
	s_waitcnt vmcnt(0)
	v_addc_co_u32_e32 v3, vcc, 0, v3, vcc
	buffer_store_dword v2, off, s[0:3], s33 offset:76 ; 4-byte Folded Spill
	s_nop 0
	buffer_store_dword v3, off, s[0:3], s33 offset:80 ; 4-byte Folded Spill
	v_cmp_lt_u64_e32 vcc, v[0:1], v[2:3]
	s_and_saveexec_b64 s[30:31], vcc
	s_cbranch_execz .LBB6_16019
; %bb.16011:                            ;   in Loop: Header=BB6_15979 Depth=2
	s_mov_b32 s8, 0
	s_mov_b64 s[34:35], 0
                                        ; implicit-def: $sgpr36_sgpr37
                                        ; implicit-def: $sgpr38_sgpr39
	s_branch .LBB6_16013
.LBB6_16012:                            ;   in Loop: Header=BB6_16013 Depth=3
	s_or_b64 exec, exec, s[50:51]
	s_and_b64 vcc, exec, vcc
	s_or_b64 s[34:35], vcc, s[34:35]
	s_andn2_b64 vcc, s[36:37], exec
	s_and_b64 s[36:37], s[38:39], exec
	s_or_b64 s[36:37], vcc, s[36:37]
	s_andn2_b64 exec, exec, s[34:35]
	s_cbranch_execz .LBB6_16017
.LBB6_16013:                            ;   Parent Loop BB6_47 Depth=1
                                        ;     Parent Loop BB6_15979 Depth=2
                                        ; =>    This Inner Loop Header: Depth=3
	s_add_i32 s8, s8, 1
	s_cmpk_lg_i32 s8, 0x2710
	s_cselect_b64 s[48:49], -1, 0
	s_and_b64 vcc, exec, s[48:49]
	s_cbranch_vccz .LBB6_16015
; %bb.16014:                            ;   in Loop: Header=BB6_16013 Depth=3
	s_mov_b64 vcc, -1
	s_or_b64 s[38:39], s[38:39], exec
	s_and_saveexec_b64 s[50:51], s[48:49]
	s_cbranch_execz .LBB6_16012
	s_branch .LBB6_16016
.LBB6_16015:                            ;   in Loop: Header=BB6_16013 Depth=3
	s_trap 2
	ds_read_b64 v[0:1], v0
	s_andn2_b64 s[48:49], s[48:49], exec
	s_mov_b32 s8, 0
	s_waitcnt vmcnt(0) lgkmcnt(0)
	flat_load_dword v0, v[0:1] glc
	s_waitcnt vmcnt(0) lgkmcnt(0)
	buffer_wbinvl1_vol
	v_cmp_eq_u32_e32 vcc, 0, v0
	s_and_b64 vcc, vcc, exec
	s_or_b64 s[48:49], s[48:49], vcc
	s_mov_b64 vcc, -1
	s_or_b64 s[38:39], s[38:39], exec
	s_and_saveexec_b64 s[50:51], s[48:49]
	s_cbranch_execz .LBB6_16012
.LBB6_16016:                            ;   in Loop: Header=BB6_16013 Depth=3
	s_sleep 1
	s_trap 2
	ds_read_b64 v[0:1], v0
	s_waitcnt lgkmcnt(0)
	buffer_load_dword v2, off, s[0:3], s33 offset:76 ; 4-byte Folded Reload
	buffer_load_dword v3, off, s[0:3], s33 offset:80 ; 4-byte Folded Reload
	s_andn2_b64 s[38:39], s[38:39], exec
	s_waitcnt vmcnt(0)
	v_cmp_ge_u64_e32 vcc, v[0:1], v[2:3]
	s_orn2_b64 vcc, vcc, exec
	s_branch .LBB6_16012
.LBB6_16017:                            ;   in Loop: Header=BB6_15979 Depth=2
	s_or_b64 exec, exec, s[34:35]
	s_and_saveexec_b64 s[8:9], s[36:37]
	s_xor_b64 s[8:9], exec, s[8:9]
	s_cbranch_execz .LBB6_16019
; %bb.16018:                            ;   in Loop: Header=BB6_15979 Depth=2
	v_mov_b32_e32 v0, 1
	ds_write_b32 v0, v0
	s_trap 2
.LBB6_16019:                            ;   in Loop: Header=BB6_15979 Depth=2
	s_or_b64 exec, exec, s[30:31]
	;;#ASMSTART
	s_wakeup
	;;#ASMEND
.LBB6_16020:                            ;   in Loop: Header=BB6_15979 Depth=2
	s_or_b64 exec, exec, s[46:47]
.LBB6_16021:                            ;   in Loop: Header=BB6_15979 Depth=2
	s_andn2_saveexec_b64 s[44:45], s[44:45]
	s_cbranch_execz .LBB6_16023
; %bb.16022:                            ;   in Loop: Header=BB6_15979 Depth=2
	s_waitcnt vmcnt(0) lgkmcnt(0)
	buffer_wbinvl1_vol
	s_barrier
.LBB6_16023:                            ;   in Loop: Header=BB6_15979 Depth=2
	s_or_b64 exec, exec, s[44:45]
.LBB6_16024:                            ;   in Loop: Header=BB6_15979 Depth=2
	s_or_b64 exec, exec, s[28:29]
                                        ; implicit-def: $vgpr0
	s_and_saveexec_b64 s[8:9], s[24:25]
	s_xor_b64 s[28:29], exec, s[8:9]
	s_cbranch_execz .LBB6_16028
; %bb.16025:                            ;   in Loop: Header=BB6_15979 Depth=2
	s_trap 2
	buffer_load_dword v1, off, s[0:3], s33 offset:72 ; 4-byte Folded Reload
	ds_read_b32 v0, v0
	v_cmp_lt_i32_e32 vcc, 0, v13
	s_waitcnt lgkmcnt(0)
	v_readfirstlane_b32 s8, v0
	s_cmp_eq_u32 s8, 0
	s_cselect_b64 s[8:9], -1, 0
	s_and_b64 s[8:9], vcc, s[8:9]
	s_waitcnt vmcnt(0)
	v_and_b32_e32 v0, 16, v1
	v_and_b32_e32 v1, 16, v1
	v_cmp_ne_u32_e32 vcc, 0, v1
	s_and_b64 s[8:9], vcc, s[8:9]
	s_and_saveexec_b64 s[44:45], s[8:9]
	s_cbranch_execz .LBB6_16027
; %bb.16026:                            ;   in Loop: Header=BB6_15979 Depth=2
	v_mov_b32_e32 v0, 1
	buffer_wbinvl1_vol
.LBB6_16027:                            ;   in Loop: Header=BB6_15979 Depth=2
	s_or_b64 exec, exec, s[44:45]
	s_andn2_saveexec_b64 s[28:29], s[28:29]
	s_cbranch_execz .LBB6_16047
	s_branch .LBB6_16029
.LBB6_16028:                            ;   in Loop: Header=BB6_15979 Depth=2
	s_andn2_saveexec_b64 s[28:29], s[28:29]
	s_cbranch_execz .LBB6_16047
.LBB6_16029:                            ;   in Loop: Header=BB6_15979 Depth=2
	s_and_saveexec_b64 s[8:9], s[72:73]
	s_xor_b64 s[44:45], exec, s[8:9]
	s_cbranch_execz .LBB6_16044
; %bb.16030:                            ;   in Loop: Header=BB6_15979 Depth=2
	s_and_saveexec_b64 s[46:47], s[16:17]
	s_cbranch_execz .LBB6_16043
; %bb.16031:                            ;   in Loop: Header=BB6_15979 Depth=2
	s_mov_b64 s[34:35], exec
	v_mbcnt_lo_u32_b32 v0, s34, 0
	v_mbcnt_hi_u32_b32 v0, s35, v0
	v_cmp_eq_u32_e32 vcc, 0, v0
	;;#ASMSTART
	s_waitcnt lgkmcnt(0) vmcnt(0)
	;;#ASMEND
	s_and_saveexec_b64 s[30:31], vcc
	s_cbranch_execz .LBB6_16033
; %bb.16032:                            ;   in Loop: Header=BB6_15979 Depth=2
	s_bcnt1_i32_b64 s8, s[34:35]
	v_mov_b32_e32 v0, s8
	v_mov_b32_e32 v1, v53
	s_waitcnt lgkmcnt(0)
	ds_add_u64 v0, v[0:1]
	s_trap 2
.LBB6_16033:                            ;   in Loop: Header=BB6_15979 Depth=2
	s_or_b64 exec, exec, s[30:31]
	s_trap 2
	ds_read_b64 v[0:1], v0
	s_waitcnt lgkmcnt(0)
	buffer_load_dword v2, off, s[0:3], s33 offset:76 ; 4-byte Folded Reload
	buffer_load_dword v3, off, s[0:3], s33 offset:80 ; 4-byte Folded Reload
	s_waitcnt vmcnt(1)
	v_add_co_u32_e32 v2, vcc, v2, v48
	s_waitcnt vmcnt(0)
	v_addc_co_u32_e32 v3, vcc, 0, v3, vcc
	buffer_store_dword v2, off, s[0:3], s33 offset:76 ; 4-byte Folded Spill
	s_nop 0
	buffer_store_dword v3, off, s[0:3], s33 offset:80 ; 4-byte Folded Spill
	v_cmp_lt_u64_e32 vcc, v[0:1], v[2:3]
	s_and_saveexec_b64 s[30:31], vcc
	s_cbranch_execz .LBB6_16042
; %bb.16034:                            ;   in Loop: Header=BB6_15979 Depth=2
	s_mov_b32 s8, 0
	s_mov_b64 s[34:35], 0
                                        ; implicit-def: $sgpr36_sgpr37
                                        ; implicit-def: $sgpr38_sgpr39
	s_branch .LBB6_16036
.LBB6_16035:                            ;   in Loop: Header=BB6_16036 Depth=3
	s_or_b64 exec, exec, s[50:51]
	s_and_b64 vcc, exec, vcc
	s_or_b64 s[34:35], vcc, s[34:35]
	s_andn2_b64 vcc, s[36:37], exec
	s_and_b64 s[36:37], s[38:39], exec
	s_or_b64 s[36:37], vcc, s[36:37]
	s_andn2_b64 exec, exec, s[34:35]
	s_cbranch_execz .LBB6_16040
.LBB6_16036:                            ;   Parent Loop BB6_47 Depth=1
                                        ;     Parent Loop BB6_15979 Depth=2
                                        ; =>    This Inner Loop Header: Depth=3
	s_add_i32 s8, s8, 1
	s_cmpk_lg_i32 s8, 0x2710
	s_cselect_b64 s[48:49], -1, 0
	s_and_b64 vcc, exec, s[48:49]
	s_cbranch_vccz .LBB6_16038
; %bb.16037:                            ;   in Loop: Header=BB6_16036 Depth=3
	s_mov_b64 vcc, -1
	s_or_b64 s[38:39], s[38:39], exec
	s_and_saveexec_b64 s[50:51], s[48:49]
	s_cbranch_execz .LBB6_16035
	s_branch .LBB6_16039
.LBB6_16038:                            ;   in Loop: Header=BB6_16036 Depth=3
	s_trap 2
	ds_read_b64 v[0:1], v0
	s_andn2_b64 s[48:49], s[48:49], exec
	s_mov_b32 s8, 0
	s_waitcnt vmcnt(0) lgkmcnt(0)
	flat_load_dword v0, v[0:1] glc
	s_waitcnt vmcnt(0) lgkmcnt(0)
	buffer_wbinvl1_vol
	v_cmp_eq_u32_e32 vcc, 0, v0
	s_and_b64 vcc, vcc, exec
	s_or_b64 s[48:49], s[48:49], vcc
	s_mov_b64 vcc, -1
	s_or_b64 s[38:39], s[38:39], exec
	s_and_saveexec_b64 s[50:51], s[48:49]
	s_cbranch_execz .LBB6_16035
.LBB6_16039:                            ;   in Loop: Header=BB6_16036 Depth=3
	s_sleep 1
	s_trap 2
	ds_read_b64 v[0:1], v0
	s_waitcnt lgkmcnt(0)
	buffer_load_dword v2, off, s[0:3], s33 offset:76 ; 4-byte Folded Reload
	buffer_load_dword v3, off, s[0:3], s33 offset:80 ; 4-byte Folded Reload
	s_andn2_b64 s[38:39], s[38:39], exec
	s_waitcnt vmcnt(0)
	v_cmp_ge_u64_e32 vcc, v[0:1], v[2:3]
	s_orn2_b64 vcc, vcc, exec
	s_branch .LBB6_16035
.LBB6_16040:                            ;   in Loop: Header=BB6_15979 Depth=2
	s_or_b64 exec, exec, s[34:35]
	s_and_saveexec_b64 s[8:9], s[36:37]
	s_xor_b64 s[8:9], exec, s[8:9]
	s_cbranch_execz .LBB6_16042
; %bb.16041:                            ;   in Loop: Header=BB6_15979 Depth=2
	v_mov_b32_e32 v0, 1
	ds_write_b32 v0, v0
	s_trap 2
.LBB6_16042:                            ;   in Loop: Header=BB6_15979 Depth=2
	s_or_b64 exec, exec, s[30:31]
	;;#ASMSTART
	s_wakeup
	;;#ASMEND
.LBB6_16043:                            ;   in Loop: Header=BB6_15979 Depth=2
	s_or_b64 exec, exec, s[46:47]
.LBB6_16044:                            ;   in Loop: Header=BB6_15979 Depth=2
	s_andn2_saveexec_b64 s[44:45], s[44:45]
	s_cbranch_execz .LBB6_16046
; %bb.16045:                            ;   in Loop: Header=BB6_15979 Depth=2
	;;#ASMSTART
	s_waitcnt lgkmcnt(0) vmcnt(0)
	;;#ASMEND
	s_waitcnt vmcnt(0) lgkmcnt(0)
	s_barrier
.LBB6_16046:                            ;   in Loop: Header=BB6_15979 Depth=2
	s_or_b64 exec, exec, s[44:45]
	buffer_load_dword v0, off, s[0:3], s33 offset:72 ; 4-byte Folded Reload
	s_waitcnt vmcnt(0)
	v_and_b32_e32 v0, 16, v0
.LBB6_16047:                            ;   in Loop: Header=BB6_15979 Depth=2
	s_or_b64 exec, exec, s[28:29]
	v_cmp_ne_u32_e32 vcc, 0, v0
	s_xor_b64 s[8:9], s[12:13], -1
	s_and_b64 s[8:9], vcc, s[8:9]
	s_and_saveexec_b64 s[28:29], s[8:9]
	s_cbranch_execz .LBB6_16049
; %bb.16048:                            ;   in Loop: Header=BB6_15979 Depth=2
	buffer_load_dword v0, off, s[0:3], s33 offset:220 ; 4-byte Folded Reload
	buffer_load_dword v1, off, s[0:3], s33 offset:224 ; 4-byte Folded Reload
	v_mov_b32_e32 v2, 1
	s_waitcnt vmcnt(0)
	flat_store_dword v[0:1], v2
.LBB6_16049:                            ;   in Loop: Header=BB6_15979 Depth=2
	s_or_b64 exec, exec, s[28:29]
	buffer_load_dword v0, off, s[0:3], s33 offset:72 ; 4-byte Folded Reload
	s_waitcnt vmcnt(0)
	v_and_b32_e32 v0, 48, v0
	v_cmp_ne_u32_e32 vcc, 0, v0
	s_and_saveexec_b64 s[28:29], vcc
	s_cbranch_execz .LBB6_15978
; %bb.16050:                            ;   in Loop: Header=BB6_15979 Depth=2
	buffer_load_dword v2, off, s[0:3], s33 offset:84 ; 4-byte Folded Reload
	buffer_load_dword v3, off, s[0:3], s33 offset:88 ; 4-byte Folded Reload
	;; [unrolled: 1-line block ×4, first 2 shown]
	s_waitcnt vmcnt(0)
	v_add_co_u32_e32 v2, vcc, 2, v2
	v_addc_co_u32_e32 v3, vcc, 0, v3, vcc
	buffer_store_dword v2, off, s[0:3], s33 offset:84 ; 4-byte Folded Spill
	s_nop 0
	buffer_store_dword v3, off, s[0:3], s33 offset:88 ; 4-byte Folded Spill
	flat_store_dwordx2 v[0:1], v[2:3]
	s_branch .LBB6_15978
.LBB6_16051:                            ;   in Loop: Header=BB6_47 Depth=1
	s_or_b64 exec, exec, s[34:35]
	s_or_b64 exec, exec, s[30:31]
	v_cmp_gt_i32_e32 vcc, 2, v2
	s_and_saveexec_b64 s[40:41], vcc
	s_cbranch_execnz .LBB6_15977
.LBB6_16052:                            ;   in Loop: Header=BB6_47 Depth=1
	s_or_b64 exec, exec, s[40:41]
	s_and_b64 vcc, exec, s[26:27]
	s_cbranch_vccz .LBB6_16054
	s_branch .LBB6_16310
.LBB6_16053:                            ;   in Loop: Header=BB6_47 Depth=1
	s_or_b64 exec, exec, s[42:43]
	s_or_b64 exec, exec, s[40:41]
	s_and_b64 vcc, exec, s[26:27]
	s_cbranch_vccnz .LBB6_16310
.LBB6_16054:                            ;   in Loop: Header=BB6_47 Depth=1
	s_mov_b32 s8, 1
.LBB6_16055:                            ;   Parent Loop BB6_47 Depth=1
                                        ; =>  This Loop Header: Depth=2
                                        ;       Child Loop BB6_16058 Depth 3
                                        ;         Child Loop BB6_16066 Depth 4
                                        ;         Child Loop BB6_16094 Depth 4
	;; [unrolled: 1-line block ×9, first 2 shown]
                                        ;           Child Loop BB6_16148 Depth 5
                                        ;         Child Loop BB6_16155 Depth 4
                                        ;         Child Loop BB6_16160 Depth 4
                                        ;           Child Loop BB6_16161 Depth 5
                                        ;         Child Loop BB6_16197 Depth 4
                                        ;         Child Loop BB6_16216 Depth 4
                                        ;       Child Loop BB6_16234 Depth 3
                                        ;         Child Loop BB6_16240 Depth 4
                                        ;         Child Loop BB6_16268 Depth 4
	;; [unrolled: 1-line block ×3, first 2 shown]
	buffer_load_dword v4, off, s[0:3], s33 offset:356 ; 4-byte Folded Reload
	buffer_load_dword v5, off, s[0:3], s33 offset:360 ; 4-byte Folded Reload
	s_sub_i32 s9, s96, s8
	s_cmp_ge_i32 s9, s68
	s_cselect_b32 s26, s68, 0
	s_sub_i32 s9, s9, s26
	s_ashr_i32 s28, s9, 31
	v_mov_b32_e32 v18, 0
	s_waitcnt vmcnt(0)
	v_mad_u64_u32 v[0:1], s[26:27], v4, s9, 0
	v_mul_lo_u32 v2, v5, s9
	v_mul_lo_u32 v3, v4, s28
	v_add3_u32 v1, v1, v3, v2
	buffer_load_dword v2, off, s[0:3], s33 offset:348 ; 4-byte Folded Reload
	buffer_load_dword v3, off, s[0:3], s33 offset:352 ; 4-byte Folded Reload
	s_waitcnt vmcnt(0)
	v_sub_co_u32_e32 v2, vcc, v2, v0
	v_subb_co_u32_e32 v3, vcc, v3, v1, vcc
	v_cmp_lt_i64_e32 vcc, v[4:5], v[2:3]
	v_cndmask_b32_e32 v2, v2, v4, vcc
	v_max_i32_e32 v7, 0, v2
	v_add_u32_e32 v3, 31, v7
	v_lshrrev_b32_e32 v3, 1, v3
	v_and_b32_e32 v3, 0x3ffffff0, v3
	v_cmp_lt_i32_e32 vcc, 0, v2
	v_max_i32_e32 v4, s59, v3
	s_and_b64 s[26:27], s[94:95], vcc
	v_mov_b32_e32 v2, 0
	s_and_saveexec_b64 s[42:43], s[26:27]
	s_cbranch_execz .LBB6_16231
; %bb.16056:                            ;   in Loop: Header=BB6_16055 Depth=2
	buffer_load_dword v2, off, s[0:3], s33 offset:276 ; 4-byte Folded Reload
	s_mov_b32 s9, 1
	s_mov_b64 s[46:47], -1
	v_mov_b32_e32 v18, 0
	s_mov_b64 s[44:45], 0
	s_waitcnt vmcnt(0)
	v_add_co_u32_e32 v19, vcc, v0, v2
	buffer_load_dword v0, off, s[0:3], s33 offset:280 ; 4-byte Folded Reload
	s_waitcnt vmcnt(0)
	v_addc_co_u32_e32 v20, vcc, v1, v0, vcc
	s_branch .LBB6_16058
.LBB6_16057:                            ;   in Loop: Header=BB6_16058 Depth=3
	s_or_b64 exec, exec, s[26:27]
	v_add_u32_e32 v18, v4, v18
	v_cmp_ge_i32_e32 vcc, v18, v7
	s_xor_b64 s[26:27], s[46:47], -1
	s_or_b64 s[26:27], s[26:27], vcc
	s_and_b64 s[26:27], exec, s[26:27]
	s_or_b64 s[44:45], s[26:27], s[44:45]
	s_mov_b64 s[46:47], 0
	v_mov_b32_e32 v2, s9
	s_mov_b32 s9, 2
	s_andn2_b64 exec, exec, s[44:45]
	s_cbranch_execz .LBB6_16306
.LBB6_16058:                            ;   Parent Loop BB6_47 Depth=1
                                        ;     Parent Loop BB6_16055 Depth=2
                                        ; =>    This Loop Header: Depth=3
                                        ;         Child Loop BB6_16066 Depth 4
                                        ;         Child Loop BB6_16094 Depth 4
	;; [unrolled: 1-line block ×9, first 2 shown]
                                        ;           Child Loop BB6_16148 Depth 5
                                        ;         Child Loop BB6_16155 Depth 4
                                        ;         Child Loop BB6_16160 Depth 4
                                        ;           Child Loop BB6_16161 Depth 5
                                        ;         Child Loop BB6_16197 Depth 4
                                        ;         Child Loop BB6_16216 Depth 4
	s_and_saveexec_b64 s[26:27], s[4:5]
	s_cbranch_execz .LBB6_16060
; %bb.16059:                            ;   in Loop: Header=BB6_16058 Depth=3
	s_trap 2
	ds_read_b128 v[0:3], v0
	v_ashrrev_i32_e32 v5, 31, v18
	s_waitcnt lgkmcnt(0)
	v_add_co_u32_e32 v0, vcc, v0, v19
	v_addc_co_u32_e32 v1, vcc, v1, v20, vcc
	v_add_co_u32_e32 v0, vcc, v0, v18
	v_addc_co_u32_e32 v1, vcc, v1, v5, vcc
	ds_write_b64 v0, v[0:1]
	v_add_co_u32_e32 v0, vcc, v2, v19
	v_addc_co_u32_e32 v1, vcc, v3, v20, vcc
	v_add_co_u32_e32 v0, vcc, v0, v18
	v_addc_co_u32_e32 v1, vcc, v1, v5, vcc
	v_cmp_ne_u64_e32 vcc, 0, v[2:3]
	v_cndmask_b32_e32 v1, 0, v1, vcc
	v_cndmask_b32_e32 v0, 0, v0, vcc
	ds_write_b64 v0, v[0:1]
.LBB6_16060:                            ;   in Loop: Header=BB6_16058 Depth=3
	s_or_b64 exec, exec, s[26:27]
	v_sub_u32_e32 v0, v7, v18
	v_min_i32_e32 v4, v4, v0
	buffer_load_dword v0, off, s[0:3], s33 offset:72 ; 4-byte Folded Reload
	s_waitcnt vmcnt(0)
	v_and_b32_e32 v0, 12, v0
	v_cmp_ne_u32_e32 vcc, 0, v0
	s_and_saveexec_b64 s[28:29], vcc
	s_cbranch_execz .LBB6_16086
; %bb.16061:                            ;   in Loop: Header=BB6_16058 Depth=3
	buffer_load_dword v0, off, s[0:3], s33 offset:72 ; 4-byte Folded Reload
	s_waitcnt vmcnt(0)
	v_and_b32_e32 v10, 8, v0
	buffer_load_dword v0, off, s[0:3], s33 offset:56 ; 4-byte Folded Reload
	buffer_load_dword v1, off, s[0:3], s33 offset:60 ; 4-byte Folded Reload
	;; [unrolled: 1-line block ×4, first 2 shown]
	s_waitcnt vmcnt(0)
	v_add_co_u32_e32 v0, vcc, v0, v10
	v_addc_co_u32_e32 v1, vcc, 0, v1, vcc
	v_add_co_u32_e32 v2, vcc, 2, v2
	v_addc_co_u32_e32 v3, vcc, 0, v3, vcc
	v_cmp_lt_u64_e32 vcc, v[0:1], v[2:3]
	s_and_saveexec_b64 s[40:41], vcc
	s_cbranch_execz .LBB6_16073
; %bb.16062:                            ;   in Loop: Header=BB6_16058 Depth=3
	buffer_load_dword v0, off, s[0:3], s33 offset:72 ; 4-byte Folded Reload
	s_mov_b32 s66, 0
	s_mov_b64 s[30:31], 0
                                        ; implicit-def: $sgpr34_sgpr35
                                        ; implicit-def: $sgpr36_sgpr37
                                        ; implicit-def: $sgpr38_sgpr39
	s_waitcnt vmcnt(0)
	v_and_b32_e32 v0, 64, v0
	v_cmp_eq_u32_e32 vcc, 0, v0
	s_branch .LBB6_16066
.LBB6_16063:                            ;   in Loop: Header=BB6_16066 Depth=4
	buffer_load_dword v5, off, s[0:3], s33 offset:56 ; 4-byte Folded Reload
	buffer_load_dword v6, off, s[0:3], s33 offset:60 ; 4-byte Folded Reload
	s_or_b64 s[52:53], s[52:53], exec
	s_waitcnt vmcnt(1)
	v_add_co_u32_e64 v5, s[26:27], v5, v10
	s_waitcnt vmcnt(0)
	v_addc_co_u32_e64 v6, s[26:27], 0, v6, s[26:27]
	v_cmp_ge_u64_e64 s[26:27], v[5:6], v[2:3]
	s_orn2_b64 s[50:51], s[26:27], exec
.LBB6_16064:                            ;   in Loop: Header=BB6_16066 Depth=4
	s_or_b64 exec, exec, s[64:65]
	s_andn2_b64 s[26:27], s[38:39], exec
	s_and_b64 s[38:39], s[52:53], exec
	s_or_b64 s[38:39], s[26:27], s[38:39]
	s_andn2_b64 s[26:27], s[36:37], exec
	s_and_b64 s[36:37], s[50:51], exec
	s_or_b64 s[36:37], s[26:27], s[36:37]
.LBB6_16065:                            ;   in Loop: Header=BB6_16066 Depth=4
	s_or_b64 exec, exec, s[48:49]
	s_and_b64 s[26:27], exec, s[36:37]
	s_or_b64 s[30:31], s[26:27], s[30:31]
	s_andn2_b64 s[26:27], s[34:35], exec
	s_and_b64 s[34:35], s[38:39], exec
	s_or_b64 s[34:35], s[26:27], s[34:35]
	s_andn2_b64 exec, exec, s[30:31]
	s_cbranch_execz .LBB6_16070
.LBB6_16066:                            ;   Parent Loop BB6_47 Depth=1
                                        ;     Parent Loop BB6_16055 Depth=2
                                        ;       Parent Loop BB6_16058 Depth=3
                                        ; =>      This Inner Loop Header: Depth=4
	s_sleep 1
	buffer_load_dword v0, off, s[0:3], s33 offset:64 ; 4-byte Folded Reload
	buffer_load_dword v1, off, s[0:3], s33 offset:68 ; 4-byte Folded Reload
	s_or_b64 s[38:39], s[38:39], exec
	s_or_b64 s[36:37], s[36:37], exec
	s_waitcnt vmcnt(0)
	flat_load_dwordx2 v[0:1], v[0:1] glc
	s_waitcnt vmcnt(0) lgkmcnt(0)
	buffer_store_dword v0, off, s[0:3], s33 offset:56 ; 4-byte Folded Spill
	s_nop 0
	buffer_store_dword v1, off, s[0:3], s33 offset:60 ; 4-byte Folded Spill
                                        ; implicit-def: $vgpr0
	s_and_saveexec_b64 s[48:49], vcc
	s_cbranch_execz .LBB6_16065
; %bb.16067:                            ;   in Loop: Header=BB6_16066 Depth=4
	s_cmpk_lt_i32 s66, 0x270f
	s_cselect_b64 s[54:55], -1, 0
	s_cmpk_gt_i32 s66, 0x270e
	s_mov_b64 s[50:51], -1
	s_cbranch_scc0 .LBB6_16069
; %bb.16068:                            ;   in Loop: Header=BB6_16066 Depth=4
	s_trap 2
	ds_read_b64 v[0:1], v0
	s_andn2_b64 s[54:55], s[54:55], exec
	s_mov_b32 s66, 0
	s_mov_b64 s[52:53], 0
	s_waitcnt vmcnt(0) lgkmcnt(0)
	flat_load_dword v0, v[0:1] glc
	s_waitcnt vmcnt(0) lgkmcnt(0)
	buffer_wbinvl1_vol
	v_cmp_eq_u32_e64 s[26:27], 0, v0
	s_and_b64 s[26:27], s[26:27], exec
	s_or_b64 s[54:55], s[54:55], s[26:27]
	s_and_saveexec_b64 s[64:65], s[54:55]
	s_cbranch_execz .LBB6_16064
	s_branch .LBB6_16063
.LBB6_16069:                            ;   in Loop: Header=BB6_16066 Depth=4
	s_add_i32 s66, s66, 1
	s_mov_b64 s[52:53], -1
                                        ; implicit-def: $vgpr0
	s_and_saveexec_b64 s[64:65], s[54:55]
	s_cbranch_execz .LBB6_16064
	s_branch .LBB6_16063
.LBB6_16070:                            ;   in Loop: Header=BB6_16058 Depth=3
	s_or_b64 exec, exec, s[30:31]
	s_xor_b64 s[26:27], s[34:35], -1
	s_and_saveexec_b64 vcc, s[26:27]
	s_xor_b64 s[26:27], exec, vcc
	s_cbranch_execz .LBB6_16072
; %bb.16071:                            ;   in Loop: Header=BB6_16058 Depth=3
	ds_write_b32 v0, v0
	s_trap 2
	buffer_load_dword v0, off, s[0:3], s33 offset:72 ; 4-byte Folded Reload
	s_waitcnt vmcnt(0)
	v_or_b32_e32 v0, 64, v0
	buffer_store_dword v0, off, s[0:3], s33 offset:72 ; 4-byte Folded Spill
.LBB6_16072:                            ;   in Loop: Header=BB6_16058 Depth=3
	s_or_b64 exec, exec, s[26:27]
.LBB6_16073:                            ;   in Loop: Header=BB6_16058 Depth=3
	s_or_b64 exec, exec, s[40:41]
	;;#ASMSTART
	s_wakeup
	;;#ASMEND
	buffer_load_dword v0, off, s[0:3], s33 offset:72 ; 4-byte Folded Reload
                                        ; implicit-def: $vgpr8_vgpr9
	s_waitcnt vmcnt(0)
	v_and_b32_e32 v0, 0x108, v0
	v_cmp_ne_u32_e32 vcc, s81, v0
	s_and_saveexec_b64 s[26:27], vcc
	s_xor_b64 s[26:27], exec, s[26:27]
	s_cbranch_execz .LBB6_16075
; %bb.16074:                            ;   in Loop: Header=BB6_16058 Depth=3
	buffer_load_dword v0, off, s[0:3], s33 offset:84 ; 4-byte Folded Reload
	buffer_load_dword v1, off, s[0:3], s33 offset:88 ; 4-byte Folded Reload
	v_mov_b32_e32 v9, v53
	s_waitcnt vmcnt(0)
	v_and_b32_e32 v8, 7, v0
                                        ; implicit-def: $vgpr0_vgpr1
                                        ; kill: killed $vgpr0_vgpr1
.LBB6_16075:                            ;   in Loop: Header=BB6_16058 Depth=3
	s_andn2_saveexec_b64 s[26:27], s[26:27]
	s_cbranch_execz .LBB6_16077
; %bb.16076:                            ;   in Loop: Header=BB6_16058 Depth=3
	buffer_load_dword v0, off, s[0:3], s33 offset:84 ; 4-byte Folded Reload
	buffer_load_dword v1, off, s[0:3], s33 offset:88 ; 4-byte Folded Reload
	;; [unrolled: 1-line block ×6, first 2 shown]
	v_mov_b32_e32 v9, v53
	v_ashrrev_i32_e32 v5, 31, v4
	s_waitcnt vmcnt(0)
	v_and_b32_e32 v8, 7, v0
	v_mad_u64_u32 v[0:1], s[40:41], v8, 24, v[11:12]
	flat_store_dwordx2 v[0:1], v[4:5] offset:8
.LBB6_16077:                            ;   in Loop: Header=BB6_16058 Depth=3
	s_or_b64 exec, exec, s[26:27]
	buffer_load_dword v0, off, s[0:3], s33 offset:72 ; 4-byte Folded Reload
	s_mov_b64 s[26:27], -1
	s_waitcnt vmcnt(0)
	v_and_b32_e32 v0, 0x100, v0
	v_cmp_ne_u32_e32 vcc, 0, v0
                                        ; implicit-def: $vgpr0_vgpr1
	s_and_saveexec_b64 s[40:41], vcc
	s_cbranch_execz .LBB6_16081
; %bb.16078:                            ;   in Loop: Header=BB6_16058 Depth=3
	buffer_load_dword v11, off, s[0:3], s33 offset:204 ; 4-byte Folded Reload
	buffer_load_dword v12, off, s[0:3], s33 offset:208 ; 4-byte Folded Reload
	;; [unrolled: 1-line block ×4, first 2 shown]
	s_waitcnt vmcnt(0)
	v_mad_u64_u32 v[5:6], s[26:27], v8, 24, v[11:12]
	v_mov_b32_e32 v0, v6
	v_mad_u64_u32 v[0:1], s[26:27], v9, 24, v[0:1]
	v_mov_b32_e32 v6, v0
	flat_load_dword v0, v[5:6]
	s_waitcnt vmcnt(0) lgkmcnt(0)
	v_cmp_ne_u32_e32 vcc, 1, v0
	v_cmp_eq_u32_e64 s[26:27], 1, v0
                                        ; implicit-def: $vgpr0_vgpr1
	s_and_saveexec_b64 s[30:31], s[26:27]
	s_cbranch_execz .LBB6_16080
; %bb.16079:                            ;   in Loop: Header=BB6_16058 Depth=3
	flat_load_dword v0, v[5:6] offset:4 glc
	s_waitcnt vmcnt(0) lgkmcnt(0)
	v_ashrrev_i32_e32 v1, 31, v0
.LBB6_16080:                            ;   in Loop: Header=BB6_16058 Depth=3
	s_or_b64 exec, exec, s[30:31]
	s_orn2_b64 s[26:27], vcc, exec
.LBB6_16081:                            ;   in Loop: Header=BB6_16058 Depth=3
	s_or_b64 exec, exec, s[40:41]
	s_and_saveexec_b64 s[40:41], s[26:27]
	s_cbranch_execz .LBB6_16083
; %bb.16082:                            ;   in Loop: Header=BB6_16058 Depth=3
	buffer_load_dword v0, off, s[0:3], s33 offset:232 ; 4-byte Folded Reload
	buffer_load_dword v1, off, s[0:3], s33 offset:252 ; 4-byte Folded Reload
	s_waitcnt vmcnt(0)
	v_mul_lo_u32 v5, v9, v0
	v_mul_lo_u32 v6, v8, v1
	v_mad_u64_u32 v[0:1], s[26:27], v8, v0, 0
	v_add3_u32 v1, v1, v6, v5
.LBB6_16083:                            ;   in Loop: Header=BB6_16058 Depth=3
	s_or_b64 exec, exec, s[40:41]
	buffer_load_dword v8, off, s[0:3], s33 offset:196 ; 4-byte Folded Reload
	buffer_load_dword v9, off, s[0:3], s33 offset:200 ; 4-byte Folded Reload
	v_cmp_eq_u32_e32 vcc, 0, v10
	v_mov_b32_e32 v5, 0xd0
	v_mov_b32_e32 v6, 0x88
	v_cndmask_b32_e32 v5, v5, v6, vcc
	s_waitcnt vmcnt(0)
	v_add_co_u32_e32 v0, vcc, v8, v0
	v_addc_co_u32_e32 v1, vcc, v9, v1, vcc
	v_add_u32_e32 v5, v0, v5
	ds_write_b64 v5, v[0:1] offset:584
	buffer_load_dword v0, off, s[0:3], s33 offset:72 ; 4-byte Folded Reload
	s_waitcnt vmcnt(0)
	v_and_b32_e32 v0, 0x2000, v0
	v_cmp_ne_u32_e32 vcc, 0, v0
	s_and_saveexec_b64 s[26:27], vcc
	s_cbranch_execz .LBB6_16085
; %bb.16084:                            ;   in Loop: Header=BB6_16058 Depth=3
	ds_read_b64 v[0:1], v0 offset:872
	s_waitcnt lgkmcnt(0)
	v_add_co_u32_e32 v0, vcc, 1, v0
	v_addc_co_u32_e32 v1, vcc, 0, v1, vcc
	ds_write_b64 v0, v[0:1] offset:872
.LBB6_16085:                            ;   in Loop: Header=BB6_16058 Depth=3
	s_or_b64 exec, exec, s[26:27]
	buffer_store_dword v2, off, s[0:3], s33 offset:84 ; 4-byte Folded Spill
	s_nop 0
	buffer_store_dword v3, off, s[0:3], s33 offset:88 ; 4-byte Folded Spill
.LBB6_16086:                            ;   in Loop: Header=BB6_16058 Depth=3
	s_or_b64 exec, exec, s[28:29]
	s_and_saveexec_b64 s[26:27], s[10:11]
	s_cbranch_execz .LBB6_16105
; %bb.16087:                            ;   in Loop: Header=BB6_16058 Depth=3
	s_and_saveexec_b64 s[28:29], s[72:73]
	s_xor_b64 s[28:29], exec, s[28:29]
	s_cbranch_execz .LBB6_16102
; %bb.16088:                            ;   in Loop: Header=BB6_16058 Depth=3
	s_and_saveexec_b64 s[40:41], s[16:17]
	s_cbranch_execz .LBB6_16101
; %bb.16089:                            ;   in Loop: Header=BB6_16058 Depth=3
	s_mov_b64 s[34:35], exec
	v_mbcnt_lo_u32_b32 v0, s34, 0
	v_mbcnt_hi_u32_b32 v0, s35, v0
	v_cmp_eq_u32_e32 vcc, 0, v0
	s_waitcnt vmcnt(0) lgkmcnt(0)
	buffer_wbinvl1_vol
	s_and_saveexec_b64 s[30:31], vcc
	s_cbranch_execz .LBB6_16091
; %bb.16090:                            ;   in Loop: Header=BB6_16058 Depth=3
	s_bcnt1_i32_b64 vcc_lo, s[34:35]
	v_mov_b32_e32 v0, vcc_lo
	v_mov_b32_e32 v1, v53
	ds_add_u64 v0, v[0:1]
	s_trap 2
.LBB6_16091:                            ;   in Loop: Header=BB6_16058 Depth=3
	s_or_b64 exec, exec, s[30:31]
	s_trap 2
	ds_read_b64 v[0:1], v0
	s_waitcnt lgkmcnt(0)
	buffer_load_dword v2, off, s[0:3], s33 offset:76 ; 4-byte Folded Reload
	buffer_load_dword v3, off, s[0:3], s33 offset:80 ; 4-byte Folded Reload
	s_waitcnt vmcnt(1)
	v_add_co_u32_e32 v2, vcc, v2, v48
	s_waitcnt vmcnt(0)
	v_addc_co_u32_e32 v3, vcc, 0, v3, vcc
	buffer_store_dword v2, off, s[0:3], s33 offset:76 ; 4-byte Folded Spill
	s_nop 0
	buffer_store_dword v3, off, s[0:3], s33 offset:80 ; 4-byte Folded Spill
	v_cmp_lt_u64_e32 vcc, v[0:1], v[2:3]
	s_and_saveexec_b64 s[30:31], vcc
	s_cbranch_execz .LBB6_16100
; %bb.16092:                            ;   in Loop: Header=BB6_16058 Depth=3
	s_mov_b32 s52, 0
	s_mov_b64 s[34:35], 0
                                        ; implicit-def: $sgpr36_sgpr37
                                        ; implicit-def: $sgpr38_sgpr39
	s_branch .LBB6_16094
.LBB6_16093:                            ;   in Loop: Header=BB6_16094 Depth=4
	s_or_b64 exec, exec, s[50:51]
	s_and_b64 vcc, exec, vcc
	s_or_b64 s[34:35], vcc, s[34:35]
	s_andn2_b64 vcc, s[36:37], exec
	s_and_b64 s[36:37], s[38:39], exec
	s_or_b64 s[36:37], vcc, s[36:37]
	s_andn2_b64 exec, exec, s[34:35]
	s_cbranch_execz .LBB6_16098
.LBB6_16094:                            ;   Parent Loop BB6_47 Depth=1
                                        ;     Parent Loop BB6_16055 Depth=2
                                        ;       Parent Loop BB6_16058 Depth=3
                                        ; =>      This Inner Loop Header: Depth=4
	s_add_i32 s52, s52, 1
	s_cmpk_lg_i32 s52, 0x2710
	s_cselect_b64 s[48:49], -1, 0
	s_and_b64 vcc, exec, s[48:49]
	s_cbranch_vccz .LBB6_16096
; %bb.16095:                            ;   in Loop: Header=BB6_16094 Depth=4
	s_mov_b64 vcc, -1
	s_or_b64 s[38:39], s[38:39], exec
	s_and_saveexec_b64 s[50:51], s[48:49]
	s_cbranch_execz .LBB6_16093
	s_branch .LBB6_16097
.LBB6_16096:                            ;   in Loop: Header=BB6_16094 Depth=4
	s_trap 2
	ds_read_b64 v[0:1], v0
	s_andn2_b64 s[48:49], s[48:49], exec
	s_mov_b32 s52, 0
	s_waitcnt vmcnt(0) lgkmcnt(0)
	flat_load_dword v0, v[0:1] glc
	s_waitcnt vmcnt(0) lgkmcnt(0)
	buffer_wbinvl1_vol
	v_cmp_eq_u32_e32 vcc, 0, v0
	s_and_b64 vcc, vcc, exec
	s_or_b64 s[48:49], s[48:49], vcc
	s_mov_b64 vcc, -1
	s_or_b64 s[38:39], s[38:39], exec
	s_and_saveexec_b64 s[50:51], s[48:49]
	s_cbranch_execz .LBB6_16093
.LBB6_16097:                            ;   in Loop: Header=BB6_16094 Depth=4
	s_sleep 1
	s_trap 2
	ds_read_b64 v[0:1], v0
	s_waitcnt lgkmcnt(0)
	buffer_load_dword v2, off, s[0:3], s33 offset:76 ; 4-byte Folded Reload
	buffer_load_dword v3, off, s[0:3], s33 offset:80 ; 4-byte Folded Reload
	s_andn2_b64 s[38:39], s[38:39], exec
	s_waitcnt vmcnt(0)
	v_cmp_ge_u64_e32 vcc, v[0:1], v[2:3]
	s_orn2_b64 vcc, vcc, exec
	s_branch .LBB6_16093
.LBB6_16098:                            ;   in Loop: Header=BB6_16058 Depth=3
	s_or_b64 exec, exec, s[34:35]
	s_and_saveexec_b64 vcc, s[36:37]
	s_xor_b64 vcc, exec, vcc
	s_cbranch_execz .LBB6_16100
; %bb.16099:                            ;   in Loop: Header=BB6_16058 Depth=3
	v_mov_b32_e32 v0, 1
	ds_write_b32 v0, v0
	s_trap 2
.LBB6_16100:                            ;   in Loop: Header=BB6_16058 Depth=3
	s_or_b64 exec, exec, s[30:31]
	;;#ASMSTART
	s_wakeup
	;;#ASMEND
.LBB6_16101:                            ;   in Loop: Header=BB6_16058 Depth=3
	s_or_b64 exec, exec, s[40:41]
.LBB6_16102:                            ;   in Loop: Header=BB6_16058 Depth=3
	s_andn2_saveexec_b64 s[28:29], s[28:29]
	s_cbranch_execz .LBB6_16104
; %bb.16103:                            ;   in Loop: Header=BB6_16058 Depth=3
	s_waitcnt vmcnt(0) lgkmcnt(0)
	buffer_wbinvl1_vol
	s_barrier
.LBB6_16104:                            ;   in Loop: Header=BB6_16058 Depth=3
	s_or_b64 exec, exec, s[28:29]
.LBB6_16105:                            ;   in Loop: Header=BB6_16058 Depth=3
	s_or_b64 exec, exec, s[26:27]
	s_trap 2
	buffer_load_dword v1, off, s[0:3], s33 offset:72 ; 4-byte Folded Reload
	ds_read_b32 v0, v0
	s_xor_b64 s[26:27], s[6:7], -1
	s_waitcnt vmcnt(0)
	v_and_b32_e32 v1, 0x4000, v1
	v_cmp_ne_u32_e32 vcc, 0, v1
	s_and_b64 s[28:29], s[26:27], vcc
	s_and_saveexec_b64 s[26:27], s[28:29]
	s_cbranch_execz .LBB6_16124
; %bb.16106:                            ;   in Loop: Header=BB6_16058 Depth=3
	s_and_saveexec_b64 s[28:29], s[72:73]
	s_xor_b64 s[28:29], exec, s[28:29]
	s_cbranch_execz .LBB6_16121
; %bb.16107:                            ;   in Loop: Header=BB6_16058 Depth=3
	s_and_saveexec_b64 s[40:41], s[16:17]
	s_cbranch_execz .LBB6_16120
; %bb.16108:                            ;   in Loop: Header=BB6_16058 Depth=3
	s_mov_b64 s[34:35], exec
	v_mbcnt_lo_u32_b32 v1, s34, 0
	v_mbcnt_hi_u32_b32 v1, s35, v1
	v_cmp_eq_u32_e32 vcc, 0, v1
	s_waitcnt lgkmcnt(0)
	buffer_wbinvl1_vol
	s_and_saveexec_b64 s[30:31], vcc
	s_cbranch_execz .LBB6_16110
; %bb.16109:                            ;   in Loop: Header=BB6_16058 Depth=3
	s_bcnt1_i32_b64 vcc_lo, s[34:35]
	v_mov_b32_e32 v1, vcc_lo
	v_mov_b32_e32 v2, v53
	ds_add_u64 v0, v[1:2]
	s_trap 2
.LBB6_16110:                            ;   in Loop: Header=BB6_16058 Depth=3
	s_or_b64 exec, exec, s[30:31]
	s_trap 2
	ds_read_b64 v[1:2], v0
	s_waitcnt lgkmcnt(0)
	buffer_load_dword v5, off, s[0:3], s33 offset:76 ; 4-byte Folded Reload
	buffer_load_dword v6, off, s[0:3], s33 offset:80 ; 4-byte Folded Reload
	s_waitcnt vmcnt(1)
	v_add_co_u32_e32 v5, vcc, v5, v48
	s_waitcnt vmcnt(0)
	v_addc_co_u32_e32 v6, vcc, 0, v6, vcc
	buffer_store_dword v5, off, s[0:3], s33 offset:76 ; 4-byte Folded Spill
	s_nop 0
	buffer_store_dword v6, off, s[0:3], s33 offset:80 ; 4-byte Folded Spill
	v_cmp_lt_u64_e32 vcc, v[1:2], v[5:6]
	s_and_saveexec_b64 s[30:31], vcc
	s_cbranch_execz .LBB6_16119
; %bb.16111:                            ;   in Loop: Header=BB6_16058 Depth=3
	s_mov_b32 s52, 0
	s_mov_b64 s[34:35], 0
                                        ; implicit-def: $sgpr36_sgpr37
                                        ; implicit-def: $sgpr38_sgpr39
	s_branch .LBB6_16113
.LBB6_16112:                            ;   in Loop: Header=BB6_16113 Depth=4
	s_or_b64 exec, exec, s[50:51]
	s_and_b64 vcc, exec, vcc
	s_or_b64 s[34:35], vcc, s[34:35]
	s_andn2_b64 vcc, s[36:37], exec
	s_and_b64 s[36:37], s[38:39], exec
	s_or_b64 s[36:37], vcc, s[36:37]
	s_andn2_b64 exec, exec, s[34:35]
	s_cbranch_execz .LBB6_16117
.LBB6_16113:                            ;   Parent Loop BB6_47 Depth=1
                                        ;     Parent Loop BB6_16055 Depth=2
                                        ;       Parent Loop BB6_16058 Depth=3
                                        ; =>      This Inner Loop Header: Depth=4
	s_add_i32 s52, s52, 1
	s_cmpk_lg_i32 s52, 0x2710
	s_cselect_b64 s[48:49], -1, 0
	s_and_b64 vcc, exec, s[48:49]
	s_cbranch_vccz .LBB6_16115
; %bb.16114:                            ;   in Loop: Header=BB6_16113 Depth=4
	s_mov_b64 vcc, -1
	s_or_b64 s[38:39], s[38:39], exec
	s_and_saveexec_b64 s[50:51], s[48:49]
	s_cbranch_execz .LBB6_16112
	s_branch .LBB6_16116
.LBB6_16115:                            ;   in Loop: Header=BB6_16113 Depth=4
	s_trap 2
	ds_read_b64 v[1:2], v0
	s_andn2_b64 s[48:49], s[48:49], exec
	s_mov_b32 s52, 0
	s_waitcnt vmcnt(0) lgkmcnt(0)
	flat_load_dword v1, v[1:2] glc
	s_waitcnt vmcnt(0) lgkmcnt(0)
	buffer_wbinvl1_vol
	v_cmp_eq_u32_e32 vcc, 0, v1
	s_and_b64 vcc, vcc, exec
	s_or_b64 s[48:49], s[48:49], vcc
	s_mov_b64 vcc, -1
	s_or_b64 s[38:39], s[38:39], exec
	s_and_saveexec_b64 s[50:51], s[48:49]
	s_cbranch_execz .LBB6_16112
.LBB6_16116:                            ;   in Loop: Header=BB6_16113 Depth=4
	s_sleep 1
	s_trap 2
	ds_read_b64 v[1:2], v0
	s_waitcnt lgkmcnt(0)
	buffer_load_dword v5, off, s[0:3], s33 offset:76 ; 4-byte Folded Reload
	buffer_load_dword v6, off, s[0:3], s33 offset:80 ; 4-byte Folded Reload
	s_andn2_b64 s[38:39], s[38:39], exec
	s_waitcnt vmcnt(0)
	v_cmp_ge_u64_e32 vcc, v[1:2], v[5:6]
	s_orn2_b64 vcc, vcc, exec
	s_branch .LBB6_16112
.LBB6_16117:                            ;   in Loop: Header=BB6_16058 Depth=3
	s_or_b64 exec, exec, s[34:35]
	s_and_saveexec_b64 vcc, s[36:37]
	s_xor_b64 vcc, exec, vcc
	s_cbranch_execz .LBB6_16119
; %bb.16118:                            ;   in Loop: Header=BB6_16058 Depth=3
	v_mov_b32_e32 v1, 1
	ds_write_b32 v0, v1
	s_trap 2
.LBB6_16119:                            ;   in Loop: Header=BB6_16058 Depth=3
	s_or_b64 exec, exec, s[30:31]
	;;#ASMSTART
	s_wakeup
	;;#ASMEND
.LBB6_16120:                            ;   in Loop: Header=BB6_16058 Depth=3
	s_or_b64 exec, exec, s[40:41]
.LBB6_16121:                            ;   in Loop: Header=BB6_16058 Depth=3
	s_andn2_saveexec_b64 s[28:29], s[28:29]
	s_cbranch_execz .LBB6_16123
; %bb.16122:                            ;   in Loop: Header=BB6_16058 Depth=3
	s_waitcnt vmcnt(0) lgkmcnt(0)
	buffer_wbinvl1_vol
	s_barrier
.LBB6_16123:                            ;   in Loop: Header=BB6_16058 Depth=3
	s_or_b64 exec, exec, s[28:29]
.LBB6_16124:                            ;   in Loop: Header=BB6_16058 Depth=3
	s_or_b64 exec, exec, s[26:27]
	s_trap 2
	s_waitcnt lgkmcnt(0)
	ds_read_b64 v[12:13], v0
	s_waitcnt lgkmcnt(0)
	v_cmp_eq_u64_e32 vcc, 0, v[12:13]
	s_cbranch_vccnz .LBB6_16133
; %bb.16125:                            ;   in Loop: Header=BB6_16058 Depth=3
	s_trap 2
	ds_read_b64 v[14:15], v0
	s_waitcnt lgkmcnt(0)
	v_cmp_eq_u64_e32 vcc, 0, v[14:15]
	s_cbranch_vccnz .LBB6_16133
; %bb.16126:                            ;   in Loop: Header=BB6_16058 Depth=3
	s_trap 2
	ds_read_b64 v[2:3], v0
	v_cmp_eq_u32_e64 s[26:27], 0, v0
	v_cndmask_b32_e64 v5, 0, v4, s[26:27]
	s_waitcnt lgkmcnt(0)
	v_cmp_ne_u64_e32 vcc, 0, v[2:3]
	s_cbranch_vccz .LBB6_16138
; %bb.16127:                            ;   in Loop: Header=BB6_16058 Depth=3
	s_mov_b64 s[28:29], -1
	s_and_saveexec_b64 s[26:27], s[20:21]
	s_cbranch_execz .LBB6_16129
; %bb.16128:                            ;   in Loop: Header=BB6_16058 Depth=3
	ds_read_b32 v0, v0 offset:720
	s_waitcnt lgkmcnt(0)
	v_and_b32_e32 v0, 15, v0
	v_cmp_eq_u32_e32 vcc, 0, v0
	s_orn2_b64 s[28:29], vcc, exec
.LBB6_16129:                            ;   in Loop: Header=BB6_16058 Depth=3
	s_or_b64 exec, exec, s[26:27]
	s_and_saveexec_b64 s[26:27], s[22:23]
	s_cbranch_execz .LBB6_16131
; %bb.16130:                            ;   in Loop: Header=BB6_16058 Depth=3
	ds_read_b32 v0, v0 offset:784
	s_waitcnt lgkmcnt(0)
	v_and_b32_e32 v0, 15, v0
	v_cmp_eq_u32_e32 vcc, 0, v0
	s_and_b64 s[40:41], s[28:29], vcc
	s_andn2_b64 s[28:29], s[28:29], exec
	s_and_b64 s[40:41], s[40:41], exec
	s_or_b64 s[28:29], s[28:29], s[40:41]
.LBB6_16131:                            ;   in Loop: Header=BB6_16058 Depth=3
	s_or_b64 exec, exec, s[26:27]
	buffer_load_dword v6, off, s[0:3], s33 offset:256 ; 4-byte Folded Reload
	s_xor_b64 s[28:29], s[28:29], -1
	v_cndmask_b32_e64 v1, 0, 1, s[28:29]
	s_mov_b64 s[26:27], -1
	v_mov_b32_e32 v0, 0
	v_cmp_ne_u32_e32 vcc, 0, v1
	v_mov_b32_e32 v1, v5
	s_cbranch_vccz .LBB6_16140
; %bb.16132:                            ;   in Loop: Header=BB6_16058 Depth=3
	s_and_saveexec_b64 s[40:41], s[26:27]
	s_cbranch_execnz .LBB6_16153
	s_branch .LBB6_16163
.LBB6_16133:                            ;   in Loop: Header=BB6_16058 Depth=3
	s_mov_b64 s[26:27], 0
	s_and_saveexec_b64 s[28:29], s[10:11]
	s_cbranch_execnz .LBB6_16190
.LBB6_16134:                            ;   in Loop: Header=BB6_16058 Depth=3
	s_or_b64 exec, exec, s[28:29]
                                        ; implicit-def: $vgpr0
	s_and_saveexec_b64 s[28:29], s[24:25]
	s_xor_b64 s[28:29], exec, s[28:29]
	s_cbranch_execz .LBB6_16208
.LBB6_16135:                            ;   in Loop: Header=BB6_16058 Depth=3
	buffer_load_dword v1, off, s[0:3], s33 offset:72 ; 4-byte Folded Reload
	s_waitcnt vmcnt(0)
	v_and_b32_e32 v0, 16, v1
	v_and_b32_e32 v1, 16, v1
	v_cmp_ne_u32_e32 vcc, 0, v1
	s_and_b64 s[40:41], vcc, s[26:27]
	s_and_saveexec_b64 s[26:27], s[40:41]
	s_cbranch_execz .LBB6_16137
; %bb.16136:                            ;   in Loop: Header=BB6_16058 Depth=3
	v_mov_b32_e32 v0, 1
	s_waitcnt lgkmcnt(0)
	buffer_wbinvl1_vol
.LBB6_16137:                            ;   in Loop: Header=BB6_16058 Depth=3
	s_or_b64 exec, exec, s[26:27]
	s_andn2_saveexec_b64 s[26:27], s[28:29]
	s_cbranch_execz .LBB6_16227
	s_branch .LBB6_16209
.LBB6_16138:                            ;   in Loop: Header=BB6_16058 Depth=3
	s_cbranch_execnz .LBB6_16164
.LBB6_16139:                            ;   in Loop: Header=BB6_16058 Depth=3
	v_cmp_lt_i32_e64 s[26:27], 0, v5
	s_and_saveexec_b64 s[28:29], s[10:11]
	s_cbranch_execnz .LBB6_16190
	s_branch .LBB6_16134
.LBB6_16140:                            ;   in Loop: Header=BB6_16058 Depth=3
	buffer_load_dword v1, off, s[0:3], s33 offset:300 ; 4-byte Folded Reload
	v_ashrrev_i32_e32 v0, 31, v5
	v_lshrrev_b32_e32 v0, 20, v0
	v_add_u32_e32 v0, v5, v0
	v_ashrrev_i32_e32 v0, 12, v0
	s_waitcnt vmcnt(0)
	v_sub_u32_e32 v22, v0, v1
	v_cmp_lt_i32_e32 vcc, 0, v22
	s_and_saveexec_b64 s[26:27], vcc
	s_cbranch_execz .LBB6_16144
; %bb.16141:                            ;   in Loop: Header=BB6_16058 Depth=3
	buffer_load_dword v1, off, s[0:3], s33 offset:304 ; 4-byte Folded Reload
	s_mov_b64 s[28:29], 0
	s_waitcnt vmcnt(0)
	v_add_co_u32_e32 v8, vcc, v12, v1
	v_addc_co_u32_e32 v9, vcc, 0, v13, vcc
	v_add_co_u32_e32 v10, vcc, v14, v1
	v_addc_co_u32_e32 v11, vcc, 0, v15, vcc
	v_add_co_u32_e32 v16, vcc, v2, v1
	buffer_load_dword v1, off, s[0:3], s33 offset:192 ; 4-byte Folded Reload
	v_addc_co_u32_e32 v17, vcc, 0, v3, vcc
.LBB6_16142:                            ;   Parent Loop BB6_47 Depth=1
                                        ;     Parent Loop BB6_16055 Depth=2
                                        ;       Parent Loop BB6_16058 Depth=3
                                        ; =>      This Inner Loop Header: Depth=4
	global_load_dwordx4 v[23:26], v[8:9], off glc slc
	global_load_dwordx4 v[27:30], v[8:9], off offset:1024 glc slc
	global_load_dwordx4 v[31:34], v[8:9], off offset:2048 glc slc
	;; [unrolled: 1-line block ×3, first 2 shown]
	s_waitcnt vmcnt(4)
	v_add_co_u32_e32 v8, vcc, v8, v1
	v_addc_co_u32_e32 v9, vcc, 0, v9, vcc
	v_sub_u32_e32 v22, v22, v48
	v_cmp_gt_i32_e32 vcc, 1, v22
	s_or_b64 s[28:29], vcc, s[28:29]
	s_waitcnt vmcnt(3)
	global_store_dwordx4 v[10:11], v[23:26], off glc slc
	s_waitcnt vmcnt(3)
	global_store_dwordx4 v[10:11], v[27:30], off offset:1024 glc slc
	s_waitcnt vmcnt(3)
	global_store_dwordx4 v[10:11], v[31:34], off offset:2048 glc slc
	;; [unrolled: 2-line block ×3, first 2 shown]
	global_store_dwordx4 v[16:17], v[23:26], off glc slc
	global_store_dwordx4 v[16:17], v[27:30], off offset:1024 glc slc
	global_store_dwordx4 v[16:17], v[31:34], off offset:2048 glc slc
	;; [unrolled: 1-line block ×3, first 2 shown]
	v_add_co_u32_e32 v10, vcc, v10, v1
	v_addc_co_u32_e32 v11, vcc, 0, v11, vcc
	v_add_co_u32_e32 v16, vcc, v16, v1
	v_addc_co_u32_e32 v17, vcc, 0, v17, vcc
	s_andn2_b64 exec, exec, s[28:29]
	s_cbranch_execnz .LBB6_16142
; %bb.16143:                            ;   in Loop: Header=BB6_16058 Depth=3
	s_or_b64 exec, exec, s[28:29]
.LBB6_16144:                            ;   in Loop: Header=BB6_16058 Depth=3
	s_or_b64 exec, exec, s[26:27]
	v_lshlrev_b32_e32 v21, 12, v0
	v_cmp_ne_u32_e32 vcc, v5, v21
	s_mov_b64 s[26:27], 0
	v_mov_b32_e32 v0, 0
                                        ; implicit-def: $vgpr1
                                        ; implicit-def: $vgpr6
	s_and_saveexec_b64 s[30:31], vcc
	s_cbranch_execz .LBB6_16152
; %bb.16145:                            ;   in Loop: Header=BB6_16058 Depth=3
	buffer_load_dword v6, off, s[0:3], s33 offset:328 ; 4-byte Folded Reload
	v_lshlrev_b32_e32 v0, 6, v22
	v_sub_u32_e32 v1, v5, v21
	s_waitcnt vmcnt(0)
	v_sub_u32_e32 v0, v6, v0
	v_ashrrev_i32_e32 v6, 31, v0
	v_lshrrev_b32_e32 v6, 26, v6
	v_add_u32_e32 v6, v0, v6
	v_ashrrev_i32_e32 v9, 6, v6
	v_and_b32_e32 v6, 0xffffffc0, v6
	v_sub_u32_e32 v6, v0, v6
	v_lshlrev_b32_e32 v0, 4, v6
	v_lshl_add_u32 v8, v9, 10, v0
	v_ashrrev_i32_e32 v0, 31, v1
	v_lshrrev_b32_e32 v0, 22, v0
	v_add_u32_e32 v0, v1, v0
	v_ashrrev_i32_e32 v10, 10, v0
	v_and_b32_e32 v0, 0xfffffc00, v0
	v_sub_u32_e32 v23, v1, v8
	v_sub_u32_e32 v1, v1, v0
	v_cmp_lt_i32_e64 s[26:27], 15, v1
	v_addc_co_u32_e64 v10, vcc, 0, v10, s[26:27]
	v_sub_u32_e32 v22, v10, v9
	v_cmp_lt_i32_e32 vcc, 15, v23
	s_and_saveexec_b64 s[34:35], vcc
	s_cbranch_execz .LBB6_16151
; %bb.16146:                            ;   in Loop: Header=BB6_16058 Depth=3
	v_add_u32_e32 v8, v8, v21
	v_ashrrev_i32_e32 v9, 31, v8
	v_add_co_u32_e32 v16, vcc, v8, v12
	v_addc_co_u32_e32 v17, vcc, v9, v13, vcc
	v_add_co_u32_e32 v24, vcc, v8, v14
	v_addc_co_u32_e32 v25, vcc, v9, v15, vcc
	;; [unrolled: 2-line block ×3, first 2 shown]
	s_mov_b64 s[36:37], 0
.LBB6_16147:                            ;   Parent Loop BB6_47 Depth=1
                                        ;     Parent Loop BB6_16055 Depth=2
                                        ;       Parent Loop BB6_16058 Depth=3
                                        ; =>      This Loop Header: Depth=4
                                        ;           Child Loop BB6_16148 Depth 5
	global_load_dwordx4 v[8:11], v[16:17], off glc slc
	s_mov_b64 s[38:39], -1
	s_mov_b64 s[48:49], 0
	s_waitcnt vmcnt(0)
.LBB6_16148:                            ;   Parent Loop BB6_47 Depth=1
                                        ;     Parent Loop BB6_16055 Depth=2
                                        ;       Parent Loop BB6_16058 Depth=3
                                        ;         Parent Loop BB6_16147 Depth=4
                                        ; =>        This Inner Loop Header: Depth=5
	s_cmp_eq_u32 s48, 1
	s_cselect_b64 s[28:29], -1, 0
	v_cndmask_b32_e64 v29, v25, v27, s[28:29]
	v_cndmask_b32_e64 v28, v24, v26, s[28:29]
	global_store_dwordx4 v[28:29], v[8:11], off glc slc
	v_add_co_u32_e32 v28, vcc, 0x400, v28
	s_cmp_eq_u32 s48, 0
	v_addc_co_u32_e32 v29, vcc, 0, v29, vcc
	s_cselect_b64 vcc, -1, 0
	s_and_b64 s[40:41], exec, s[38:39]
	s_mov_b64 s[48:49], 1
	v_cndmask_b32_e64 v26, v26, v28, s[28:29]
	s_mov_b64 s[38:39], 0
	v_cndmask_b32_e64 v27, v27, v29, s[28:29]
	v_cndmask_b32_e32 v25, v25, v29, vcc
	v_cndmask_b32_e32 v24, v24, v28, vcc
	s_mov_b64 vcc, s[40:41]
	s_cbranch_vccnz .LBB6_16148
; %bb.16149:                            ;   in Loop: Header=BB6_16147 Depth=4
	buffer_load_dword v8, off, s[0:3], s33 offset:260 ; 4-byte Folded Reload
	buffer_load_dword v9, off, s[0:3], s33 offset:264 ; 4-byte Folded Reload
	v_sub_u32_e32 v22, v22, v48
	s_waitcnt vmcnt(1)
	v_add_co_u32_e32 v24, vcc, v24, v8
	s_waitcnt vmcnt(0)
	v_addc_co_u32_e32 v25, vcc, v25, v9, vcc
	v_add_co_u32_e32 v26, vcc, v26, v8
	buffer_load_dword v8, off, s[0:3], s33 offset:268 ; 4-byte Folded Reload
	v_addc_co_u32_e32 v27, vcc, v27, v9, vcc
	s_waitcnt vmcnt(0)
	v_add_co_u32_e32 v16, vcc, v8, v16
	buffer_load_dword v8, off, s[0:3], s33 offset:272 ; 4-byte Folded Reload
	s_waitcnt vmcnt(0)
	v_addc_co_u32_e32 v17, vcc, v8, v17, vcc
	buffer_load_dword v8, off, s[0:3], s33 offset:228 ; 4-byte Folded Reload
	s_waitcnt vmcnt(0)
	v_sub_u32_e32 v23, v23, v8
	v_cmp_gt_i32_e32 vcc, 16, v23
	s_or_b64 s[36:37], vcc, s[36:37]
	s_andn2_b64 exec, exec, s[36:37]
	s_cbranch_execnz .LBB6_16147
; %bb.16150:                            ;   in Loop: Header=BB6_16058 Depth=3
	s_or_b64 exec, exec, s[36:37]
.LBB6_16151:                            ;   in Loop: Header=BB6_16058 Depth=3
	s_or_b64 exec, exec, s[34:35]
	v_and_b32_e32 v8, 15, v5
	v_cmp_lt_i32_e32 vcc, 0, v22
	v_sub_u32_e32 v9, v1, v8
	v_cndmask_b32_e64 v1, v1, v8, s[26:27]
	v_cndmask_b32_e32 v8, 0, v48, vcc
	v_cndmask_b32_e64 v9, 0, v9, s[26:27]
	v_sub_u32_e32 v8, v8, v22
	v_cmp_ne_u32_e32 vcc, 0, v1
	v_add3_u32 v0, v0, v21, v9
	v_lshl_add_u32 v6, v8, 6, v6
	s_and_b64 s[26:27], vcc, exec
.LBB6_16152:                            ;   in Loop: Header=BB6_16058 Depth=3
	s_or_b64 exec, exec, s[30:31]
	s_and_saveexec_b64 s[40:41], s[26:27]
	s_cbranch_execz .LBB6_16163
.LBB6_16153:                            ;   in Loop: Header=BB6_16058 Depth=3
	s_waitcnt vmcnt(0)
	v_ashrrev_i32_e32 v8, 31, v6
	v_ashrrev_i32_e32 v9, 31, v1
	v_lshrrev_b32_e32 v8, 26, v8
	v_lshrrev_b32_e32 v9, 21, v9
	v_add_u32_e32 v8, v6, v8
	v_add_u32_e32 v9, v1, v9
	v_ashrrev_i32_e32 v21, 6, v8
	v_ashrrev_i32_e32 v23, 11, v9
	v_sub_u32_e32 v22, v23, v21
	v_cmp_lt_i32_e32 vcc, 0, v22
	s_and_saveexec_b64 s[26:27], vcc
	s_cbranch_execz .LBB6_16157
; %bb.16154:                            ;   in Loop: Header=BB6_16058 Depth=3
	buffer_load_dword v47, off, s[0:3], s33 offset:184 ; 4-byte Folded Reload
	v_and_b32_e32 v8, 0xffffffc0, v8
	v_sub_u32_e32 v8, v6, v8
	v_lshlrev_b32_e32 v9, 11, v21
	v_add3_u32 v16, v0, v8, v9
	v_ashrrev_i32_e32 v17, 31, v16
	v_add_co_u32_e32 v8, vcc, v16, v14
	v_addc_co_u32_e32 v9, vcc, v17, v15, vcc
	v_add_co_u32_e32 v10, vcc, v16, v2
	v_addc_co_u32_e32 v11, vcc, v17, v3, vcc
	;; [unrolled: 2-line block ×4, first 2 shown]
	s_mov_b64 s[28:29], 0
.LBB6_16155:                            ;   Parent Loop BB6_47 Depth=1
                                        ;     Parent Loop BB6_16055 Depth=2
                                        ;       Parent Loop BB6_16058 Depth=3
                                        ; =>      This Inner Loop Header: Depth=4
	v_add_co_u32_e32 v2, vcc, 0xfffff840, v16
	v_addc_co_u32_e32 v3, vcc, -1, v17, vcc
	v_add_co_u32_e32 v24, vcc, 0xfffff880, v16
	v_addc_co_u32_e32 v25, vcc, -1, v17, vcc
	flat_load_ubyte v2, v[2:3] glc slc
	s_nop 0
	flat_load_ubyte v3, v[24:25] glc slc
	v_add_co_u32_e32 v24, vcc, 0xfffff8c0, v16
	v_addc_co_u32_e32 v25, vcc, -1, v17, vcc
	flat_load_ubyte v24, v[24:25] glc slc
	v_add_co_u32_e32 v25, vcc, 0xfffff900, v16
	v_addc_co_u32_e32 v26, vcc, -1, v17, vcc
	;; [unrolled: 3-line block ×15, first 2 shown]
	v_add_co_u32_e32 v48, vcc, 0xfffffc80, v16
	v_addc_co_u32_e32 v49, vcc, -1, v17, vcc
	flat_load_ubyte v38, v[38:39] glc slc
	s_nop 0
	flat_load_ubyte v39, v[48:49] glc slc
	v_add_co_u32_e32 v48, vcc, 0xfffffcc0, v16
	v_addc_co_u32_e32 v49, vcc, -1, v17, vcc
	flat_load_ubyte v48, v[48:49] glc slc
	v_add_co_u32_e32 v49, vcc, 0xfffffd00, v16
	v_addc_co_u32_e32 v50, vcc, -1, v17, vcc
	;; [unrolled: 3-line block ×4, first 2 shown]
	v_add_co_u32_e32 v54, vcc, 0xfffffdc0, v16
	v_addc_co_u32_e32 v55, vcc, -1, v17, vcc
	flat_load_ubyte v51, v[51:52] glc slc
	s_nop 0
	flat_load_ubyte v52, v[54:55] glc slc
	v_add_co_u32_e32 v54, vcc, 0xfffffe00, v16
	v_addc_co_u32_e32 v55, vcc, -1, v17, vcc
	v_add_co_u32_e32 v40, vcc, 0xfffffe40, v16
	v_addc_co_u32_e32 v41, vcc, -1, v17, vcc
	flat_load_ubyte v54, v[54:55] glc slc
	s_nop 0
	flat_load_ubyte v55, v[40:41] glc slc
	v_add_co_u32_e32 v40, vcc, 0xfffffe80, v16
	v_addc_co_u32_e32 v41, vcc, -1, v17, vcc
	flat_load_ubyte v40, v[40:41] glc slc
	v_add_co_u32_e32 v41, vcc, 0xfffffec0, v16
	v_addc_co_u32_e32 v42, vcc, -1, v17, vcc
	;; [unrolled: 3-line block ×6, first 2 shown]
	flat_load_ubyte v45, v[45:46] glc slc
	s_nop 0
	flat_load_ubyte v46, v[16:17] glc slc
	s_waitcnt vmcnt(0) lgkmcnt(0)
	flat_store_byte v[8:9], v2 glc slc
	flat_store_byte v[8:9], v3 offset:64 glc slc
	flat_store_byte v[8:9], v24 offset:128 glc slc
	;; [unrolled: 1-line block ×31, first 2 shown]
	flat_store_byte v[10:11], v2 glc slc
	flat_store_byte v[10:11], v3 offset:64 glc slc
	flat_store_byte v[10:11], v24 offset:128 glc slc
	;; [unrolled: 1-line block ×18, first 2 shown]
	buffer_load_dword v48, off, s[0:3], s33 offset:92 ; 4-byte Folded Reload
	v_add_co_u32_e32 v8, vcc, v8, v47
	v_addc_co_u32_e32 v9, vcc, 0, v9, vcc
	flat_store_byte v[10:11], v49 offset:1216 glc slc
	flat_store_byte v[10:11], v50 offset:1280 glc slc
	;; [unrolled: 1-line block ×13, first 2 shown]
	v_add_co_u32_e32 v10, vcc, v10, v47
	v_addc_co_u32_e32 v11, vcc, 0, v11, vcc
	v_add_co_u32_e32 v16, vcc, v16, v47
	v_addc_co_u32_e32 v17, vcc, 0, v17, vcc
	s_waitcnt vmcnt(0)
	v_sub_u32_e32 v22, v22, v48
	v_cmp_gt_i32_e32 vcc, 1, v22
	s_or_b64 s[28:29], vcc, s[28:29]
	s_andn2_b64 exec, exec, s[28:29]
	s_cbranch_execnz .LBB6_16155
; %bb.16156:                            ;   in Loop: Header=BB6_16058 Depth=3
	s_or_b64 exec, exec, s[28:29]
.LBB6_16157:                            ;   in Loop: Header=BB6_16058 Depth=3
	s_or_b64 exec, exec, s[26:27]
	v_lshlrev_b32_e32 v2, 11, v23
	v_cmp_ne_u32_e32 vcc, v1, v2
	s_and_b64 exec, exec, vcc
	s_cbranch_execz .LBB6_16163
; %bb.16158:                            ;   in Loop: Header=BB6_16058 Depth=3
	v_lshlrev_b32_e32 v3, 6, v21
	v_sub_u32_e32 v3, v6, v3
	v_lshlrev_b32_e32 v6, 6, v22
	v_sub_u32_e32 v3, v3, v6
	v_add_u32_e32 v2, v2, v3
	v_sub_u32_e32 v1, v1, v2
	v_cmp_lt_i32_e32 vcc, 0, v1
	s_and_b64 exec, exec, vcc
	s_cbranch_execz .LBB6_16163
; %bb.16159:                            ;   in Loop: Header=BB6_16058 Depth=3
	v_add_u32_e32 v16, v2, v0
	s_trap 2
	ds_read_b64 v[2:3], v0
	ds_read_b128 v[8:11], v0
	v_ashrrev_i32_e32 v17, 31, v16
	s_mov_b64 s[30:31], 0
	s_waitcnt lgkmcnt(0)
	v_add_co_u32_e32 v2, vcc, v2, v16
	v_addc_co_u32_e32 v3, vcc, v3, v17, vcc
	v_add_co_u32_e32 v0, vcc, v8, v16
	v_addc_co_u32_e32 v6, vcc, v9, v17, vcc
	;; [unrolled: 2-line block ×3, first 2 shown]
.LBB6_16160:                            ;   Parent Loop BB6_47 Depth=1
                                        ;     Parent Loop BB6_16055 Depth=2
                                        ;       Parent Loop BB6_16058 Depth=3
                                        ; =>      This Loop Header: Depth=4
                                        ;           Child Loop BB6_16161 Depth 5
	flat_load_ubyte v10, v[2:3] glc slc
	s_mov_b64 s[34:35], -1
	s_mov_b64 s[36:37], 0
	s_waitcnt vmcnt(0)
.LBB6_16161:                            ;   Parent Loop BB6_47 Depth=1
                                        ;     Parent Loop BB6_16055 Depth=2
                                        ;       Parent Loop BB6_16058 Depth=3
                                        ;         Parent Loop BB6_16160 Depth=4
                                        ; =>        This Inner Loop Header: Depth=5
	s_cmp_eq_u32 s36, 1
	s_cselect_b64 vcc, -1, 0
	v_cndmask_b32_e32 v16, v0, v8, vcc
	v_cndmask_b32_e32 v17, v6, v9, vcc
	v_add_co_u32_e64 v11, s[26:27], 64, v16
	s_cmp_eq_u32 s36, 0
	s_waitcnt lgkmcnt(0)
	flat_store_byte v[16:17], v10 glc slc
	v_addc_co_u32_e64 v16, s[26:27], 0, v17, s[26:27]
	s_cselect_b64 s[26:27], -1, 0
	s_and_b64 s[28:29], exec, s[34:35]
	s_mov_b64 s[36:37], 1
	s_mov_b64 s[34:35], 0
	v_cndmask_b32_e32 v9, v9, v16, vcc
	v_cndmask_b32_e32 v8, v8, v11, vcc
	v_cndmask_b32_e64 v6, v6, v16, s[26:27]
	v_cndmask_b32_e64 v0, v0, v11, s[26:27]
	s_mov_b64 vcc, s[28:29]
	s_cbranch_vccnz .LBB6_16161
; %bb.16162:                            ;   in Loop: Header=BB6_16160 Depth=4
	buffer_load_dword v10, off, s[0:3], s33 offset:236 ; 4-byte Folded Reload
	buffer_load_dword v11, off, s[0:3], s33 offset:240 ; 4-byte Folded Reload
	s_waitcnt vmcnt(0)
	v_add_co_u32_e32 v0, vcc, v0, v10
	v_addc_co_u32_e32 v6, vcc, v6, v11, vcc
	v_add_co_u32_e32 v8, vcc, v8, v10
	buffer_load_dword v10, off, s[0:3], s33 offset:188 ; 4-byte Folded Reload
	v_addc_co_u32_e32 v9, vcc, v9, v11, vcc
	s_waitcnt vmcnt(0)
	v_sub_u32_e32 v1, v1, v10
	buffer_load_dword v10, off, s[0:3], s33 offset:244 ; 4-byte Folded Reload
	v_cmp_gt_i32_e32 vcc, 1, v1
	s_or_b64 s[30:31], vcc, s[30:31]
	s_waitcnt vmcnt(0)
	v_add_co_u32_e32 v2, vcc, v10, v2
	buffer_load_dword v10, off, s[0:3], s33 offset:248 ; 4-byte Folded Reload
	s_waitcnt vmcnt(0)
	v_addc_co_u32_e32 v3, vcc, v10, v3, vcc
	s_andn2_b64 exec, exec, s[30:31]
	s_cbranch_execnz .LBB6_16160
.LBB6_16163:                            ;   in Loop: Header=BB6_16058 Depth=3
	s_or_b64 exec, exec, s[40:41]
	s_branch .LBB6_16139
.LBB6_16164:                            ;   in Loop: Header=BB6_16058 Depth=3
	s_mov_b64 s[26:27], -1
	s_and_saveexec_b64 s[28:29], s[20:21]
	s_cbranch_execz .LBB6_16166
; %bb.16165:                            ;   in Loop: Header=BB6_16058 Depth=3
	ds_read_b32 v0, v0 offset:720
	s_waitcnt lgkmcnt(0)
	v_and_b32_e32 v0, 15, v0
	v_cmp_eq_u32_e32 vcc, 0, v0
	s_orn2_b64 s[26:27], vcc, exec
.LBB6_16166:                            ;   in Loop: Header=BB6_16058 Depth=3
	s_or_b64 exec, exec, s[28:29]
	s_and_saveexec_b64 s[28:29], s[18:19]
	s_cbranch_execz .LBB6_16168
; %bb.16167:                            ;   in Loop: Header=BB6_16058 Depth=3
	ds_read_b32 v0, v0 offset:784
	s_waitcnt lgkmcnt(0)
	v_and_b32_e32 v0, 15, v0
	v_cmp_eq_u32_e32 vcc, 0, v0
	s_and_b64 s[40:41], s[26:27], vcc
	s_andn2_b64 s[26:27], s[26:27], exec
	s_and_b64 s[40:41], s[40:41], exec
	s_or_b64 s[26:27], s[26:27], s[40:41]
.LBB6_16168:                            ;   in Loop: Header=BB6_16058 Depth=3
	s_or_b64 exec, exec, s[28:29]
	buffer_load_dword v2, off, s[0:3], s33 offset:256 ; 4-byte Folded Reload
	s_xor_b64 s[26:27], s[26:27], -1
	v_cndmask_b32_e64 v1, 0, 1, s[26:27]
	s_mov_b64 s[40:41], -1
	v_mov_b32_e32 v0, 0
	v_cmp_ne_u32_e32 vcc, 0, v1
	v_mov_b32_e32 v1, v5
	s_cbranch_vccz .LBB6_16170
; %bb.16169:                            ;   in Loop: Header=BB6_16058 Depth=3
	s_and_saveexec_b64 s[26:27], s[40:41]
	s_cbranch_execnz .LBB6_16181
	s_branch .LBB6_16189
.LBB6_16170:                            ;   in Loop: Header=BB6_16058 Depth=3
	buffer_load_dword v1, off, s[0:3], s33 offset:300 ; 4-byte Folded Reload
	v_ashrrev_i32_e32 v0, 31, v5
	v_lshrrev_b32_e32 v0, 19, v0
	v_add_u32_e32 v0, v5, v0
	v_ashrrev_i32_e32 v0, 13, v0
	s_waitcnt vmcnt(0)
	v_sub_u32_e32 v6, v0, v1
	v_cmp_lt_i32_e32 vcc, 0, v6
	s_and_saveexec_b64 s[28:29], vcc
	s_cbranch_execz .LBB6_16174
; %bb.16171:                            ;   in Loop: Header=BB6_16058 Depth=3
	buffer_load_dword v52, off, s[0:3], s33 offset:364 ; 4-byte Folded Reload
	buffer_load_dword v45, off, s[0:3], s33 offset:368 ; 4-byte Folded Reload
	v_mov_b32_e32 v2, v14
	v_mov_b32_e32 v8, v12
	s_mov_b64 s[40:41], 0
	v_mov_b32_e32 v3, v15
	v_mov_b32_e32 v9, v13
	v_mov_b32_e32 v1, v48
.LBB6_16172:                            ;   Parent Loop BB6_47 Depth=1
                                        ;     Parent Loop BB6_16055 Depth=2
                                        ;       Parent Loop BB6_16058 Depth=3
                                        ; =>      This Inner Loop Header: Depth=4
	s_waitcnt vmcnt(0)
	v_add_co_u32_e32 v10, vcc, v45, v8
	v_addc_co_u32_e32 v11, vcc, 0, v9, vcc
	global_load_dwordx4 v[21:24], v[10:11], off glc slc
	global_load_dwordx4 v[25:28], v[10:11], off offset:1024 glc slc
	global_load_dwordx4 v[29:32], v[10:11], off offset:2048 glc slc
	;; [unrolled: 1-line block ×3, first 2 shown]
	v_add_co_u32_e32 v10, vcc, s71, v10
	v_addc_co_u32_e32 v11, vcc, 0, v11, vcc
	global_load_dwordx4 v[48:51], v[10:11], off glc slc
	global_load_dwordx4 v[37:40], v[10:11], off offset:1024 glc slc
	global_load_dwordx4 v[41:44], v[10:11], off offset:2048 glc slc
	;; [unrolled: 1-line block ×3, first 2 shown]
	v_add_co_u32_e32 v10, vcc, v45, v2
	v_addc_co_u32_e32 v11, vcc, 0, v3, vcc
	v_add_co_u32_e32 v8, vcc, v8, v52
	v_addc_co_u32_e32 v9, vcc, 0, v9, vcc
	v_sub_u32_e32 v6, v6, v1
	v_add_co_u32_e32 v2, vcc, v2, v52
	v_addc_co_u32_e32 v3, vcc, 0, v3, vcc
	v_cmp_gt_i32_e64 s[26:27], 1, v6
	v_add_co_u32_e32 v16, vcc, s71, v10
	s_or_b64 s[40:41], s[26:27], s[40:41]
	v_addc_co_u32_e32 v17, vcc, 0, v11, vcc
	s_waitcnt vmcnt(0)
	global_store_dwordx4 v[10:11], v[21:24], off glc slc
	global_store_dwordx4 v[10:11], v[25:28], off offset:1024 glc slc
	global_store_dwordx4 v[10:11], v[29:32], off offset:2048 glc slc
	;; [unrolled: 1-line block ×3, first 2 shown]
	global_store_dwordx4 v[16:17], v[48:51], off glc slc
	global_store_dwordx4 v[16:17], v[37:40], off offset:1024 glc slc
	global_store_dwordx4 v[16:17], v[41:44], off offset:2048 glc slc
	;; [unrolled: 1-line block ×3, first 2 shown]
	s_andn2_b64 exec, exec, s[40:41]
	s_cbranch_execnz .LBB6_16172
; %bb.16173:                            ;   in Loop: Header=BB6_16058 Depth=3
	s_or_b64 exec, exec, s[40:41]
	v_mov_b32_e32 v48, v1
.LBB6_16174:                            ;   in Loop: Header=BB6_16058 Depth=3
	s_or_b64 exec, exec, s[28:29]
	v_lshlrev_b32_e32 v3, 13, v0
	v_cmp_ne_u32_e32 vcc, v5, v3
	s_mov_b64 s[40:41], 0
	v_mov_b32_e32 v0, 0
                                        ; implicit-def: $vgpr1
                                        ; implicit-def: $vgpr2
	s_and_saveexec_b64 s[28:29], vcc
	s_cbranch_execz .LBB6_16180
; %bb.16175:                            ;   in Loop: Header=BB6_16058 Depth=3
	buffer_load_dword v2, off, s[0:3], s33 offset:328 ; 4-byte Folded Reload
	v_lshlrev_b32_e32 v0, 6, v6
	v_sub_u32_e32 v1, v5, v3
	s_waitcnt vmcnt(0)
	v_sub_u32_e32 v0, v2, v0
	v_ashrrev_i32_e32 v2, 31, v0
	v_lshrrev_b32_e32 v2, 26, v2
	v_add_u32_e32 v2, v0, v2
	v_ashrrev_i32_e32 v6, 6, v2
	v_and_b32_e32 v2, 0xffffffc0, v2
	v_sub_u32_e32 v2, v0, v2
	v_lshlrev_b32_e32 v0, 4, v2
	v_lshl_add_u32 v9, v6, 10, v0
	v_ashrrev_i32_e32 v0, 31, v1
	v_lshrrev_b32_e32 v0, 22, v0
	v_add_u32_e32 v0, v1, v0
	v_ashrrev_i32_e32 v10, 10, v0
	v_and_b32_e32 v0, 0xfffffc00, v0
	v_sub_u32_e32 v8, v1, v9
	v_sub_u32_e32 v1, v1, v0
	v_cmp_lt_i32_e32 vcc, 15, v1
	v_addc_co_u32_e64 v10, s[26:27], 0, v10, vcc
	v_sub_u32_e32 v6, v10, v6
	v_cmp_lt_i32_e64 s[26:27], 15, v8
	s_and_saveexec_b64 s[40:41], s[26:27]
	s_cbranch_execz .LBB6_16179
; %bb.16176:                            ;   in Loop: Header=BB6_16058 Depth=3
	buffer_load_dword v11, off, s[0:3], s33 offset:228 ; 4-byte Folded Reload
	v_add_u32_e32 v9, v9, v3
	v_ashrrev_i32_e32 v10, 31, v9
	s_mov_b64 s[30:31], 0
.LBB6_16177:                            ;   Parent Loop BB6_47 Depth=1
                                        ;     Parent Loop BB6_16055 Depth=2
                                        ;       Parent Loop BB6_16058 Depth=3
                                        ; =>      This Inner Loop Header: Depth=4
	v_add_co_u32_e64 v16, s[26:27], v12, v9
	v_addc_co_u32_e64 v17, s[26:27], v13, v10, s[26:27]
	global_load_dwordx4 v[21:24], v[16:17], off glc slc
	v_add_co_u32_e64 v16, s[26:27], v14, v9
	v_addc_co_u32_e64 v17, s[26:27], v15, v10, s[26:27]
	s_waitcnt vmcnt(0)
	v_add_co_u32_e64 v9, s[26:27], v9, v11
	v_sub_u32_e32 v8, v8, v11
	v_addc_co_u32_e64 v10, s[26:27], 0, v10, s[26:27]
	v_cmp_gt_i32_e64 s[26:27], 16, v8
	v_sub_u32_e32 v6, v6, v48
	s_or_b64 s[30:31], s[26:27], s[30:31]
	global_store_dwordx4 v[16:17], v[21:24], off glc slc
	s_andn2_b64 exec, exec, s[30:31]
	s_cbranch_execnz .LBB6_16177
; %bb.16178:                            ;   in Loop: Header=BB6_16058 Depth=3
	s_or_b64 exec, exec, s[30:31]
.LBB6_16179:                            ;   in Loop: Header=BB6_16058 Depth=3
	s_or_b64 exec, exec, s[40:41]
	v_and_b32_e32 v8, 15, v5
	v_sub_u32_e32 v9, v1, v8
	v_cndmask_b32_e32 v9, 0, v9, vcc
	v_cndmask_b32_e32 v1, v1, v8, vcc
	v_cmp_lt_i32_e32 vcc, 0, v6
	v_add3_u32 v0, v0, v3, v9
	v_cndmask_b32_e32 v3, 0, v48, vcc
	v_sub_u32_e32 v3, v3, v6
	v_cmp_ne_u32_e32 vcc, 0, v1
	v_lshl_add_u32 v2, v3, 6, v2
	s_and_b64 s[40:41], vcc, exec
.LBB6_16180:                            ;   in Loop: Header=BB6_16058 Depth=3
	s_or_b64 exec, exec, s[28:29]
	s_and_saveexec_b64 s[26:27], s[40:41]
	s_cbranch_execz .LBB6_16189
.LBB6_16181:                            ;   in Loop: Header=BB6_16058 Depth=3
	s_waitcnt vmcnt(0)
	v_ashrrev_i32_e32 v3, 31, v2
	v_ashrrev_i32_e32 v6, 31, v1
	v_lshrrev_b32_e32 v3, 26, v3
	v_lshrrev_b32_e32 v6, 21, v6
	v_add_u32_e32 v9, v2, v3
	v_add_u32_e32 v6, v1, v6
	v_ashrrev_i32_e32 v3, 6, v9
	v_ashrrev_i32_e32 v8, 11, v6
	v_sub_u32_e32 v6, v8, v3
	v_cmp_lt_i32_e32 vcc, 0, v6
	s_and_saveexec_b64 s[28:29], vcc
	s_cbranch_execz .LBB6_16185
; %bb.16182:                            ;   in Loop: Header=BB6_16058 Depth=3
	buffer_load_dword v46, off, s[0:3], s33 offset:184 ; 4-byte Folded Reload
	v_and_b32_e32 v9, 0xffffffc0, v9
	v_sub_u32_e32 v9, v2, v9
	v_lshlrev_b32_e32 v10, 11, v3
	v_add3_u32 v9, v0, v9, v10
	v_ashrrev_i32_e32 v10, 31, v9
	s_mov_b64 s[40:41], 0
	v_mov_b32_e32 v45, v48
.LBB6_16183:                            ;   Parent Loop BB6_47 Depth=1
                                        ;     Parent Loop BB6_16055 Depth=2
                                        ;       Parent Loop BB6_16058 Depth=3
                                        ; =>      This Inner Loop Header: Depth=4
	v_add_co_u32_e32 v16, vcc, v9, v12
	v_addc_co_u32_e32 v17, vcc, v10, v13, vcc
	flat_load_ubyte v11, v[16:17] glc slc
	flat_load_ubyte v21, v[16:17] offset:64 glc slc
	flat_load_ubyte v22, v[16:17] offset:128 glc slc
	;; [unrolled: 1-line block ×31, first 2 shown]
	v_add_co_u32_e32 v16, vcc, v9, v14
	v_addc_co_u32_e32 v17, vcc, v10, v15, vcc
	s_waitcnt vmcnt(0)
	v_add_co_u32_e32 v12, vcc, v12, v46
	v_addc_co_u32_e32 v13, vcc, 0, v13, vcc
	v_add_co_u32_e32 v14, vcc, v14, v46
	v_sub_u32_e32 v6, v6, v45
	v_addc_co_u32_e32 v15, vcc, 0, v15, vcc
	v_cmp_gt_i32_e32 vcc, 1, v6
	s_or_b64 s[40:41], vcc, s[40:41]
	s_waitcnt lgkmcnt(0)
	flat_store_byte v[16:17], v11 glc slc
	flat_store_byte v[16:17], v21 offset:64 glc slc
	flat_store_byte v[16:17], v22 offset:128 glc slc
	;; [unrolled: 1-line block ×31, first 2 shown]
	s_andn2_b64 exec, exec, s[40:41]
	s_cbranch_execnz .LBB6_16183
; %bb.16184:                            ;   in Loop: Header=BB6_16058 Depth=3
	s_or_b64 exec, exec, s[40:41]
	v_mov_b32_e32 v48, v45
.LBB6_16185:                            ;   in Loop: Header=BB6_16058 Depth=3
	s_or_b64 exec, exec, s[28:29]
	buffer_load_dword v11, off, s[0:3], s33 offset:188 ; 4-byte Folded Reload
	v_lshlrev_b32_e32 v8, 11, v8
	v_cmp_ne_u32_e32 vcc, v1, v8
	s_and_b64 s[28:29], exec, vcc
	s_mov_b64 exec, s[28:29]
	s_cbranch_execz .LBB6_16189
; %bb.16186:                            ;   in Loop: Header=BB6_16058 Depth=3
	v_lshlrev_b32_e32 v3, 6, v3
	v_sub_u32_e32 v2, v2, v3
	v_lshlrev_b32_e32 v3, 6, v6
	v_sub_u32_e32 v2, v2, v3
	v_add_u32_e32 v3, v8, v2
	v_sub_u32_e32 v2, v1, v3
	v_cmp_lt_i32_e32 vcc, 0, v2
	s_and_b64 exec, exec, vcc
	s_cbranch_execz .LBB6_16189
; %bb.16187:                            ;   in Loop: Header=BB6_16058 Depth=3
	v_add_u32_e32 v3, v3, v0
	s_trap 2
	ds_read_b64 v[0:1], v0
	v_ashrrev_i32_e32 v6, 31, v3
	s_mov_b64 s[28:29], 0
.LBB6_16188:                            ;   Parent Loop BB6_47 Depth=1
                                        ;     Parent Loop BB6_16055 Depth=2
                                        ;       Parent Loop BB6_16058 Depth=3
                                        ; =>      This Inner Loop Header: Depth=4
	s_waitcnt lgkmcnt(0)
	v_add_co_u32_e32 v8, vcc, v0, v3
	v_addc_co_u32_e32 v9, vcc, v1, v6, vcc
	flat_load_ubyte v10, v[8:9] glc slc
	s_waitcnt vmcnt(0)
	v_add_co_u32_e32 v3, vcc, v3, v11
	v_sub_u32_e32 v2, v2, v11
	v_addc_co_u32_e32 v6, vcc, 0, v6, vcc
	v_cmp_gt_i32_e32 vcc, 1, v2
	s_or_b64 s[28:29], vcc, s[28:29]
	s_waitcnt lgkmcnt(0)
	flat_store_byte v[8:9], v10 glc slc
	s_andn2_b64 exec, exec, s[28:29]
	s_cbranch_execnz .LBB6_16188
.LBB6_16189:                            ;   in Loop: Header=BB6_16058 Depth=3
	s_or_b64 exec, exec, s[26:27]
	v_cmp_lt_i32_e64 s[26:27], 0, v5
	s_and_saveexec_b64 s[28:29], s[10:11]
	s_cbranch_execz .LBB6_16134
.LBB6_16190:                            ;   in Loop: Header=BB6_16058 Depth=3
	s_and_saveexec_b64 s[40:41], s[72:73]
	s_xor_b64 s[40:41], exec, s[40:41]
	s_cbranch_execz .LBB6_16205
; %bb.16191:                            ;   in Loop: Header=BB6_16058 Depth=3
	s_and_saveexec_b64 s[30:31], s[16:17]
	s_cbranch_execz .LBB6_16204
; %bb.16192:                            ;   in Loop: Header=BB6_16058 Depth=3
	s_mov_b64 s[36:37], exec
	v_mbcnt_lo_u32_b32 v0, s36, 0
	v_mbcnt_hi_u32_b32 v0, s37, v0
	v_cmp_eq_u32_e32 vcc, 0, v0
	s_waitcnt vmcnt(0) lgkmcnt(0)
	buffer_wbinvl1_vol
	s_and_saveexec_b64 s[34:35], vcc
	s_cbranch_execz .LBB6_16194
; %bb.16193:                            ;   in Loop: Header=BB6_16058 Depth=3
	s_bcnt1_i32_b64 vcc_lo, s[36:37]
	v_mov_b32_e32 v0, vcc_lo
	v_mov_b32_e32 v1, v53
	ds_add_u64 v0, v[0:1]
	s_trap 2
.LBB6_16194:                            ;   in Loop: Header=BB6_16058 Depth=3
	s_or_b64 exec, exec, s[34:35]
	s_trap 2
	ds_read_b64 v[0:1], v0
	s_waitcnt lgkmcnt(0)
	buffer_load_dword v2, off, s[0:3], s33 offset:76 ; 4-byte Folded Reload
	buffer_load_dword v3, off, s[0:3], s33 offset:80 ; 4-byte Folded Reload
	s_waitcnt vmcnt(1)
	v_add_co_u32_e32 v2, vcc, v2, v48
	s_waitcnt vmcnt(0)
	v_addc_co_u32_e32 v3, vcc, 0, v3, vcc
	buffer_store_dword v2, off, s[0:3], s33 offset:76 ; 4-byte Folded Spill
	s_nop 0
	buffer_store_dword v3, off, s[0:3], s33 offset:80 ; 4-byte Folded Spill
	v_cmp_lt_u64_e32 vcc, v[0:1], v[2:3]
	s_and_saveexec_b64 s[34:35], vcc
	s_cbranch_execz .LBB6_16203
; %bb.16195:                            ;   in Loop: Header=BB6_16058 Depth=3
	s_mov_b32 s54, 0
	s_mov_b64 s[36:37], 0
                                        ; implicit-def: $sgpr38_sgpr39
                                        ; implicit-def: $sgpr48_sgpr49
	s_branch .LBB6_16197
.LBB6_16196:                            ;   in Loop: Header=BB6_16197 Depth=4
	s_or_b64 exec, exec, s[52:53]
	s_and_b64 vcc, exec, vcc
	s_or_b64 s[36:37], vcc, s[36:37]
	s_andn2_b64 vcc, s[38:39], exec
	s_and_b64 s[38:39], s[48:49], exec
	s_or_b64 s[38:39], vcc, s[38:39]
	s_andn2_b64 exec, exec, s[36:37]
	s_cbranch_execz .LBB6_16201
.LBB6_16197:                            ;   Parent Loop BB6_47 Depth=1
                                        ;     Parent Loop BB6_16055 Depth=2
                                        ;       Parent Loop BB6_16058 Depth=3
                                        ; =>      This Inner Loop Header: Depth=4
	s_add_i32 s54, s54, 1
	s_cmpk_lg_i32 s54, 0x2710
	s_cselect_b64 s[50:51], -1, 0
	s_and_b64 vcc, exec, s[50:51]
	s_cbranch_vccz .LBB6_16199
; %bb.16198:                            ;   in Loop: Header=BB6_16197 Depth=4
	s_mov_b64 vcc, -1
	s_or_b64 s[48:49], s[48:49], exec
	s_and_saveexec_b64 s[52:53], s[50:51]
	s_cbranch_execz .LBB6_16196
	s_branch .LBB6_16200
.LBB6_16199:                            ;   in Loop: Header=BB6_16197 Depth=4
	s_trap 2
	ds_read_b64 v[0:1], v0
	s_andn2_b64 s[50:51], s[50:51], exec
	s_mov_b32 s54, 0
	s_waitcnt vmcnt(0) lgkmcnt(0)
	flat_load_dword v0, v[0:1] glc
	s_waitcnt vmcnt(0) lgkmcnt(0)
	buffer_wbinvl1_vol
	v_cmp_eq_u32_e32 vcc, 0, v0
	s_and_b64 vcc, vcc, exec
	s_or_b64 s[50:51], s[50:51], vcc
	s_mov_b64 vcc, -1
	s_or_b64 s[48:49], s[48:49], exec
	s_and_saveexec_b64 s[52:53], s[50:51]
	s_cbranch_execz .LBB6_16196
.LBB6_16200:                            ;   in Loop: Header=BB6_16197 Depth=4
	s_sleep 1
	s_trap 2
	ds_read_b64 v[0:1], v0
	s_waitcnt lgkmcnt(0)
	buffer_load_dword v2, off, s[0:3], s33 offset:76 ; 4-byte Folded Reload
	buffer_load_dword v3, off, s[0:3], s33 offset:80 ; 4-byte Folded Reload
	s_andn2_b64 s[48:49], s[48:49], exec
	s_waitcnt vmcnt(0)
	v_cmp_ge_u64_e32 vcc, v[0:1], v[2:3]
	s_orn2_b64 vcc, vcc, exec
	s_branch .LBB6_16196
.LBB6_16201:                            ;   in Loop: Header=BB6_16058 Depth=3
	s_or_b64 exec, exec, s[36:37]
	s_and_saveexec_b64 vcc, s[38:39]
	s_xor_b64 vcc, exec, vcc
	s_cbranch_execz .LBB6_16203
; %bb.16202:                            ;   in Loop: Header=BB6_16058 Depth=3
	v_mov_b32_e32 v0, 1
	ds_write_b32 v0, v0
	s_trap 2
.LBB6_16203:                            ;   in Loop: Header=BB6_16058 Depth=3
	s_or_b64 exec, exec, s[34:35]
	;;#ASMSTART
	s_wakeup
	;;#ASMEND
.LBB6_16204:                            ;   in Loop: Header=BB6_16058 Depth=3
	s_or_b64 exec, exec, s[30:31]
.LBB6_16205:                            ;   in Loop: Header=BB6_16058 Depth=3
	s_andn2_saveexec_b64 s[40:41], s[40:41]
	s_cbranch_execz .LBB6_16207
; %bb.16206:                            ;   in Loop: Header=BB6_16058 Depth=3
	s_waitcnt vmcnt(0) lgkmcnt(0)
	buffer_wbinvl1_vol
	s_barrier
.LBB6_16207:                            ;   in Loop: Header=BB6_16058 Depth=3
	s_or_b64 exec, exec, s[40:41]
	s_or_b64 exec, exec, s[28:29]
                                        ; implicit-def: $vgpr0
	s_and_saveexec_b64 s[28:29], s[24:25]
	s_xor_b64 s[28:29], exec, s[28:29]
	s_cbranch_execnz .LBB6_16135
.LBB6_16208:                            ;   in Loop: Header=BB6_16058 Depth=3
	s_andn2_saveexec_b64 s[26:27], s[28:29]
	s_cbranch_execz .LBB6_16227
.LBB6_16209:                            ;   in Loop: Header=BB6_16058 Depth=3
	s_and_saveexec_b64 s[28:29], s[72:73]
	s_xor_b64 s[28:29], exec, s[28:29]
	s_cbranch_execz .LBB6_16224
; %bb.16210:                            ;   in Loop: Header=BB6_16058 Depth=3
	s_and_saveexec_b64 s[40:41], s[16:17]
	s_cbranch_execz .LBB6_16223
; %bb.16211:                            ;   in Loop: Header=BB6_16058 Depth=3
	s_mov_b64 s[34:35], exec
	v_mbcnt_lo_u32_b32 v0, s34, 0
	v_mbcnt_hi_u32_b32 v0, s35, v0
	v_cmp_eq_u32_e32 vcc, 0, v0
	;;#ASMSTART
	s_waitcnt lgkmcnt(0) vmcnt(0)
	;;#ASMEND
	s_and_saveexec_b64 s[30:31], vcc
	s_cbranch_execz .LBB6_16213
; %bb.16212:                            ;   in Loop: Header=BB6_16058 Depth=3
	s_bcnt1_i32_b64 vcc_lo, s[34:35]
	v_mov_b32_e32 v0, vcc_lo
	v_mov_b32_e32 v1, v53
	s_waitcnt lgkmcnt(0)
	ds_add_u64 v0, v[0:1]
	s_trap 2
.LBB6_16213:                            ;   in Loop: Header=BB6_16058 Depth=3
	s_or_b64 exec, exec, s[30:31]
	s_trap 2
	ds_read_b64 v[0:1], v0
	s_waitcnt lgkmcnt(0)
	buffer_load_dword v2, off, s[0:3], s33 offset:76 ; 4-byte Folded Reload
	buffer_load_dword v3, off, s[0:3], s33 offset:80 ; 4-byte Folded Reload
	s_waitcnt vmcnt(0)
	v_add_co_u32_e32 v2, vcc, v2, v48
	v_addc_co_u32_e32 v3, vcc, 0, v3, vcc
	buffer_store_dword v2, off, s[0:3], s33 offset:76 ; 4-byte Folded Spill
	s_nop 0
	buffer_store_dword v3, off, s[0:3], s33 offset:80 ; 4-byte Folded Spill
	v_cmp_lt_u64_e32 vcc, v[0:1], v[2:3]
	s_and_saveexec_b64 s[30:31], vcc
	s_cbranch_execz .LBB6_16222
; %bb.16214:                            ;   in Loop: Header=BB6_16058 Depth=3
	s_mov_b32 s52, 0
	s_mov_b64 s[34:35], 0
                                        ; implicit-def: $sgpr36_sgpr37
                                        ; implicit-def: $sgpr38_sgpr39
	s_branch .LBB6_16216
.LBB6_16215:                            ;   in Loop: Header=BB6_16216 Depth=4
	s_or_b64 exec, exec, s[50:51]
	s_and_b64 vcc, exec, vcc
	s_or_b64 s[34:35], vcc, s[34:35]
	s_andn2_b64 vcc, s[36:37], exec
	s_and_b64 s[36:37], s[38:39], exec
	s_or_b64 s[36:37], vcc, s[36:37]
	s_andn2_b64 exec, exec, s[34:35]
	s_cbranch_execz .LBB6_16220
.LBB6_16216:                            ;   Parent Loop BB6_47 Depth=1
                                        ;     Parent Loop BB6_16055 Depth=2
                                        ;       Parent Loop BB6_16058 Depth=3
                                        ; =>      This Inner Loop Header: Depth=4
	s_add_i32 s52, s52, 1
	s_cmpk_lg_i32 s52, 0x2710
	s_cselect_b64 s[48:49], -1, 0
	s_and_b64 vcc, exec, s[48:49]
	s_cbranch_vccz .LBB6_16218
; %bb.16217:                            ;   in Loop: Header=BB6_16216 Depth=4
	s_mov_b64 vcc, -1
	s_or_b64 s[38:39], s[38:39], exec
	s_and_saveexec_b64 s[50:51], s[48:49]
	s_cbranch_execz .LBB6_16215
	s_branch .LBB6_16219
.LBB6_16218:                            ;   in Loop: Header=BB6_16216 Depth=4
	s_trap 2
	ds_read_b64 v[0:1], v0
	s_andn2_b64 s[48:49], s[48:49], exec
	s_mov_b32 s52, 0
	s_waitcnt vmcnt(0) lgkmcnt(0)
	flat_load_dword v0, v[0:1] glc
	s_waitcnt vmcnt(0) lgkmcnt(0)
	buffer_wbinvl1_vol
	v_cmp_eq_u32_e32 vcc, 0, v0
	s_and_b64 vcc, vcc, exec
	s_or_b64 s[48:49], s[48:49], vcc
	s_mov_b64 vcc, -1
	s_or_b64 s[38:39], s[38:39], exec
	s_and_saveexec_b64 s[50:51], s[48:49]
	s_cbranch_execz .LBB6_16215
.LBB6_16219:                            ;   in Loop: Header=BB6_16216 Depth=4
	s_sleep 1
	s_trap 2
	ds_read_b64 v[0:1], v0
	s_waitcnt lgkmcnt(0)
	buffer_load_dword v2, off, s[0:3], s33 offset:76 ; 4-byte Folded Reload
	buffer_load_dword v3, off, s[0:3], s33 offset:80 ; 4-byte Folded Reload
	s_andn2_b64 s[38:39], s[38:39], exec
	s_waitcnt vmcnt(0)
	v_cmp_ge_u64_e32 vcc, v[0:1], v[2:3]
	s_orn2_b64 vcc, vcc, exec
	s_branch .LBB6_16215
.LBB6_16220:                            ;   in Loop: Header=BB6_16058 Depth=3
	s_or_b64 exec, exec, s[34:35]
	s_and_saveexec_b64 vcc, s[36:37]
	s_xor_b64 vcc, exec, vcc
	s_cbranch_execz .LBB6_16222
; %bb.16221:                            ;   in Loop: Header=BB6_16058 Depth=3
	v_mov_b32_e32 v0, 1
	ds_write_b32 v0, v0
	s_trap 2
.LBB6_16222:                            ;   in Loop: Header=BB6_16058 Depth=3
	s_or_b64 exec, exec, s[30:31]
	;;#ASMSTART
	s_wakeup
	;;#ASMEND
.LBB6_16223:                            ;   in Loop: Header=BB6_16058 Depth=3
	s_or_b64 exec, exec, s[40:41]
.LBB6_16224:                            ;   in Loop: Header=BB6_16058 Depth=3
	s_andn2_saveexec_b64 s[28:29], s[28:29]
	s_cbranch_execz .LBB6_16226
; %bb.16225:                            ;   in Loop: Header=BB6_16058 Depth=3
	;;#ASMSTART
	s_waitcnt lgkmcnt(0) vmcnt(0)
	;;#ASMEND
	s_waitcnt vmcnt(0) lgkmcnt(0)
	s_barrier
.LBB6_16226:                            ;   in Loop: Header=BB6_16058 Depth=3
	s_or_b64 exec, exec, s[28:29]
	buffer_load_dword v0, off, s[0:3], s33 offset:72 ; 4-byte Folded Reload
	s_waitcnt vmcnt(0)
	v_and_b32_e32 v0, 16, v0
.LBB6_16227:                            ;   in Loop: Header=BB6_16058 Depth=3
	s_or_b64 exec, exec, s[26:27]
	v_cmp_ne_u32_e32 vcc, 0, v0
	s_xor_b64 s[26:27], s[12:13], -1
	s_and_b64 s[28:29], vcc, s[26:27]
	s_and_saveexec_b64 s[26:27], s[28:29]
	s_cbranch_execz .LBB6_16229
; %bb.16228:                            ;   in Loop: Header=BB6_16058 Depth=3
	buffer_load_dword v0, off, s[0:3], s33 offset:220 ; 4-byte Folded Reload
	buffer_load_dword v1, off, s[0:3], s33 offset:224 ; 4-byte Folded Reload
	s_waitcnt vmcnt(0)
	v_mov_b32_e32 v2, 1
	flat_store_dword v[0:1], v2
.LBB6_16229:                            ;   in Loop: Header=BB6_16058 Depth=3
	s_or_b64 exec, exec, s[26:27]
	buffer_load_dword v0, off, s[0:3], s33 offset:72 ; 4-byte Folded Reload
	s_waitcnt vmcnt(0)
	v_and_b32_e32 v0, 48, v0
	v_cmp_ne_u32_e32 vcc, 0, v0
	s_and_saveexec_b64 s[26:27], vcc
	s_cbranch_execz .LBB6_16057
; %bb.16230:                            ;   in Loop: Header=BB6_16058 Depth=3
	buffer_load_dword v2, off, s[0:3], s33 offset:84 ; 4-byte Folded Reload
	buffer_load_dword v3, off, s[0:3], s33 offset:88 ; 4-byte Folded Reload
	;; [unrolled: 1-line block ×4, first 2 shown]
	s_waitcnt vmcnt(0)
	v_add_co_u32_e32 v2, vcc, 2, v2
	v_addc_co_u32_e32 v3, vcc, 0, v3, vcc
	buffer_store_dword v2, off, s[0:3], s33 offset:84 ; 4-byte Folded Spill
	s_nop 0
	buffer_store_dword v3, off, s[0:3], s33 offset:88 ; 4-byte Folded Spill
	flat_store_dwordx2 v[0:1], v[2:3]
	s_branch .LBB6_16057
.LBB6_16231:                            ;   in Loop: Header=BB6_16055 Depth=2
	s_or_b64 exec, exec, s[42:43]
	v_cmp_gt_i32_e32 vcc, 2, v2
	s_and_saveexec_b64 s[28:29], vcc
	s_cbranch_execz .LBB6_16307
.LBB6_16232:                            ;   in Loop: Header=BB6_16055 Depth=2
	v_cmp_eq_u32_e64 s[42:43], 0, v2
	s_mov_b64 s[40:41], 0
	s_branch .LBB6_16234
.LBB6_16233:                            ;   in Loop: Header=BB6_16234 Depth=3
	s_or_b64 exec, exec, s[26:27]
	v_add_u32_e32 v18, v4, v18
	s_mov_b64 s[42:43], 0
	s_andn2_b64 exec, exec, s[40:41]
	s_cbranch_execz .LBB6_16308
.LBB6_16234:                            ;   Parent Loop BB6_47 Depth=1
                                        ;     Parent Loop BB6_16055 Depth=2
                                        ; =>    This Loop Header: Depth=3
                                        ;         Child Loop BB6_16240 Depth 4
                                        ;         Child Loop BB6_16268 Depth 4
	;; [unrolled: 1-line block ×3, first 2 shown]
	v_sub_u32_e32 v0, v7, v18
	v_min_i32_e32 v4, v4, v0
	buffer_load_dword v0, off, s[0:3], s33 offset:72 ; 4-byte Folded Reload
	s_waitcnt vmcnt(0)
	v_and_b32_e32 v0, 12, v0
	v_cmp_ne_u32_e32 vcc, 0, v0
	s_and_saveexec_b64 s[44:45], vcc
	s_cbranch_execz .LBB6_16260
; %bb.16235:                            ;   in Loop: Header=BB6_16234 Depth=3
	buffer_load_dword v0, off, s[0:3], s33 offset:72 ; 4-byte Folded Reload
	s_waitcnt vmcnt(0)
	v_and_b32_e32 v10, 8, v0
	buffer_load_dword v0, off, s[0:3], s33 offset:56 ; 4-byte Folded Reload
	buffer_load_dword v1, off, s[0:3], s33 offset:60 ; 4-byte Folded Reload
	buffer_load_dword v2, off, s[0:3], s33 offset:84 ; 4-byte Folded Reload
	buffer_load_dword v3, off, s[0:3], s33 offset:88 ; 4-byte Folded Reload
	s_waitcnt vmcnt(0)
	v_add_co_u32_e32 v0, vcc, v0, v10
	v_addc_co_u32_e32 v1, vcc, 0, v1, vcc
	v_add_co_u32_e32 v2, vcc, 2, v2
	v_addc_co_u32_e32 v3, vcc, 0, v3, vcc
	v_cmp_lt_u64_e32 vcc, v[0:1], v[2:3]
	s_and_saveexec_b64 s[46:47], vcc
	s_cbranch_execz .LBB6_16247
; %bb.16236:                            ;   in Loop: Header=BB6_16234 Depth=3
	buffer_load_dword v0, off, s[0:3], s33 offset:72 ; 4-byte Folded Reload
	s_mov_b32 s9, 0
	s_mov_b64 s[30:31], 0
                                        ; implicit-def: $sgpr34_sgpr35
                                        ; implicit-def: $sgpr36_sgpr37
                                        ; implicit-def: $sgpr38_sgpr39
	s_waitcnt vmcnt(0)
	v_and_b32_e32 v0, 64, v0
	v_cmp_eq_u32_e32 vcc, 0, v0
	s_branch .LBB6_16240
.LBB6_16237:                            ;   in Loop: Header=BB6_16240 Depth=4
	buffer_load_dword v5, off, s[0:3], s33 offset:56 ; 4-byte Folded Reload
	buffer_load_dword v6, off, s[0:3], s33 offset:60 ; 4-byte Folded Reload
	s_or_b64 s[52:53], s[52:53], exec
	s_waitcnt vmcnt(1)
	v_add_co_u32_e64 v5, s[26:27], v5, v10
	s_waitcnt vmcnt(0)
	v_addc_co_u32_e64 v6, s[26:27], 0, v6, s[26:27]
	v_cmp_ge_u64_e64 s[26:27], v[5:6], v[2:3]
	s_orn2_b64 s[50:51], s[26:27], exec
.LBB6_16238:                            ;   in Loop: Header=BB6_16240 Depth=4
	s_or_b64 exec, exec, s[64:65]
	s_andn2_b64 s[26:27], s[38:39], exec
	s_and_b64 s[38:39], s[52:53], exec
	s_or_b64 s[38:39], s[26:27], s[38:39]
	s_andn2_b64 s[26:27], s[36:37], exec
	s_and_b64 s[36:37], s[50:51], exec
	s_or_b64 s[36:37], s[26:27], s[36:37]
.LBB6_16239:                            ;   in Loop: Header=BB6_16240 Depth=4
	s_or_b64 exec, exec, s[48:49]
	s_and_b64 s[26:27], exec, s[36:37]
	s_or_b64 s[30:31], s[26:27], s[30:31]
	s_andn2_b64 s[26:27], s[34:35], exec
	s_and_b64 s[34:35], s[38:39], exec
	s_or_b64 s[34:35], s[26:27], s[34:35]
	s_andn2_b64 exec, exec, s[30:31]
	s_cbranch_execz .LBB6_16244
.LBB6_16240:                            ;   Parent Loop BB6_47 Depth=1
                                        ;     Parent Loop BB6_16055 Depth=2
                                        ;       Parent Loop BB6_16234 Depth=3
                                        ; =>      This Inner Loop Header: Depth=4
	s_sleep 1
	buffer_load_dword v0, off, s[0:3], s33 offset:64 ; 4-byte Folded Reload
	buffer_load_dword v1, off, s[0:3], s33 offset:68 ; 4-byte Folded Reload
	s_or_b64 s[38:39], s[38:39], exec
	s_or_b64 s[36:37], s[36:37], exec
	s_waitcnt vmcnt(0)
	flat_load_dwordx2 v[0:1], v[0:1] glc
	s_waitcnt vmcnt(0) lgkmcnt(0)
	buffer_store_dword v0, off, s[0:3], s33 offset:56 ; 4-byte Folded Spill
	s_nop 0
	buffer_store_dword v1, off, s[0:3], s33 offset:60 ; 4-byte Folded Spill
                                        ; implicit-def: $vgpr0
	s_and_saveexec_b64 s[48:49], vcc
	s_cbranch_execz .LBB6_16239
; %bb.16241:                            ;   in Loop: Header=BB6_16240 Depth=4
	s_cmpk_lt_i32 s9, 0x270f
	s_cselect_b64 s[54:55], -1, 0
	s_cmpk_gt_i32 s9, 0x270e
	s_mov_b64 s[50:51], -1
	s_cbranch_scc0 .LBB6_16243
; %bb.16242:                            ;   in Loop: Header=BB6_16240 Depth=4
	s_trap 2
	ds_read_b64 v[0:1], v0
	s_andn2_b64 s[54:55], s[54:55], exec
	s_mov_b32 s9, 0
	s_mov_b64 s[52:53], 0
	s_waitcnt vmcnt(0) lgkmcnt(0)
	flat_load_dword v0, v[0:1] glc
	s_waitcnt vmcnt(0) lgkmcnt(0)
	buffer_wbinvl1_vol
	v_cmp_eq_u32_e64 s[26:27], 0, v0
	s_and_b64 s[26:27], s[26:27], exec
	s_or_b64 s[54:55], s[54:55], s[26:27]
	s_and_saveexec_b64 s[64:65], s[54:55]
	s_cbranch_execz .LBB6_16238
	s_branch .LBB6_16237
.LBB6_16243:                            ;   in Loop: Header=BB6_16240 Depth=4
	s_add_i32 s9, s9, 1
	s_mov_b64 s[52:53], -1
                                        ; implicit-def: $vgpr0
	s_and_saveexec_b64 s[64:65], s[54:55]
	s_cbranch_execz .LBB6_16238
	s_branch .LBB6_16237
.LBB6_16244:                            ;   in Loop: Header=BB6_16234 Depth=3
	s_or_b64 exec, exec, s[30:31]
	s_xor_b64 s[26:27], s[34:35], -1
	s_and_saveexec_b64 vcc, s[26:27]
	s_xor_b64 s[26:27], exec, vcc
	s_cbranch_execz .LBB6_16246
; %bb.16245:                            ;   in Loop: Header=BB6_16234 Depth=3
	ds_write_b32 v0, v0
	s_trap 2
	buffer_load_dword v0, off, s[0:3], s33 offset:72 ; 4-byte Folded Reload
	s_waitcnt vmcnt(0)
	v_or_b32_e32 v0, 64, v0
	buffer_store_dword v0, off, s[0:3], s33 offset:72 ; 4-byte Folded Spill
.LBB6_16246:                            ;   in Loop: Header=BB6_16234 Depth=3
	s_or_b64 exec, exec, s[26:27]
.LBB6_16247:                            ;   in Loop: Header=BB6_16234 Depth=3
	s_or_b64 exec, exec, s[46:47]
	;;#ASMSTART
	s_wakeup
	;;#ASMEND
	buffer_load_dword v0, off, s[0:3], s33 offset:72 ; 4-byte Folded Reload
                                        ; implicit-def: $vgpr8_vgpr9
	s_waitcnt vmcnt(0)
	v_and_b32_e32 v0, 0x108, v0
	v_cmp_ne_u32_e32 vcc, s81, v0
	s_and_saveexec_b64 s[26:27], vcc
	s_xor_b64 s[26:27], exec, s[26:27]
	s_cbranch_execz .LBB6_16249
; %bb.16248:                            ;   in Loop: Header=BB6_16234 Depth=3
	buffer_load_dword v0, off, s[0:3], s33 offset:84 ; 4-byte Folded Reload
	buffer_load_dword v1, off, s[0:3], s33 offset:88 ; 4-byte Folded Reload
	v_mov_b32_e32 v9, v53
	s_waitcnt vmcnt(0)
	v_and_b32_e32 v8, 7, v0
                                        ; implicit-def: $vgpr0_vgpr1
                                        ; kill: killed $vgpr0_vgpr1
.LBB6_16249:                            ;   in Loop: Header=BB6_16234 Depth=3
	s_andn2_saveexec_b64 s[26:27], s[26:27]
	s_cbranch_execz .LBB6_16251
; %bb.16250:                            ;   in Loop: Header=BB6_16234 Depth=3
	buffer_load_dword v0, off, s[0:3], s33 offset:84 ; 4-byte Folded Reload
	buffer_load_dword v1, off, s[0:3], s33 offset:88 ; 4-byte Folded Reload
	;; [unrolled: 1-line block ×6, first 2 shown]
	v_mov_b32_e32 v9, v53
	v_ashrrev_i32_e32 v5, 31, v4
	s_waitcnt vmcnt(0)
	v_and_b32_e32 v8, 7, v0
	v_mad_u64_u32 v[0:1], s[46:47], v8, 24, v[11:12]
	flat_store_dwordx2 v[0:1], v[4:5] offset:8
.LBB6_16251:                            ;   in Loop: Header=BB6_16234 Depth=3
	s_or_b64 exec, exec, s[26:27]
	buffer_load_dword v0, off, s[0:3], s33 offset:72 ; 4-byte Folded Reload
	s_mov_b64 s[26:27], -1
	s_waitcnt vmcnt(0)
	v_and_b32_e32 v0, 0x100, v0
	v_cmp_ne_u32_e32 vcc, 0, v0
                                        ; implicit-def: $vgpr0_vgpr1
	s_and_saveexec_b64 s[46:47], vcc
	s_cbranch_execz .LBB6_16255
; %bb.16252:                            ;   in Loop: Header=BB6_16234 Depth=3
	buffer_load_dword v11, off, s[0:3], s33 offset:204 ; 4-byte Folded Reload
	buffer_load_dword v12, off, s[0:3], s33 offset:208 ; 4-byte Folded Reload
	;; [unrolled: 1-line block ×4, first 2 shown]
	s_waitcnt vmcnt(0)
	v_mad_u64_u32 v[5:6], s[26:27], v8, 24, v[11:12]
	v_mov_b32_e32 v0, v6
	v_mad_u64_u32 v[0:1], s[26:27], v9, 24, v[0:1]
	v_mov_b32_e32 v6, v0
	flat_load_dword v0, v[5:6]
	s_waitcnt vmcnt(0) lgkmcnt(0)
	v_cmp_ne_u32_e32 vcc, 1, v0
	v_cmp_eq_u32_e64 s[26:27], 1, v0
                                        ; implicit-def: $vgpr0_vgpr1
	s_and_saveexec_b64 s[30:31], s[26:27]
	s_cbranch_execz .LBB6_16254
; %bb.16253:                            ;   in Loop: Header=BB6_16234 Depth=3
	flat_load_dword v0, v[5:6] offset:4 glc
	s_waitcnt vmcnt(0) lgkmcnt(0)
	v_ashrrev_i32_e32 v1, 31, v0
.LBB6_16254:                            ;   in Loop: Header=BB6_16234 Depth=3
	s_or_b64 exec, exec, s[30:31]
	s_orn2_b64 s[26:27], vcc, exec
.LBB6_16255:                            ;   in Loop: Header=BB6_16234 Depth=3
	s_or_b64 exec, exec, s[46:47]
	s_and_saveexec_b64 s[46:47], s[26:27]
	s_cbranch_execz .LBB6_16257
; %bb.16256:                            ;   in Loop: Header=BB6_16234 Depth=3
	buffer_load_dword v0, off, s[0:3], s33 offset:232 ; 4-byte Folded Reload
	buffer_load_dword v1, off, s[0:3], s33 offset:252 ; 4-byte Folded Reload
	s_waitcnt vmcnt(0)
	v_mul_lo_u32 v5, v9, v0
	v_mul_lo_u32 v6, v8, v1
	v_mad_u64_u32 v[0:1], s[26:27], v8, v0, 0
	v_add3_u32 v1, v1, v6, v5
.LBB6_16257:                            ;   in Loop: Header=BB6_16234 Depth=3
	s_or_b64 exec, exec, s[46:47]
	buffer_load_dword v8, off, s[0:3], s33 offset:196 ; 4-byte Folded Reload
	buffer_load_dword v9, off, s[0:3], s33 offset:200 ; 4-byte Folded Reload
	v_cmp_eq_u32_e32 vcc, 0, v10
	v_mov_b32_e32 v5, 0xd0
	v_mov_b32_e32 v6, 0x88
	v_cndmask_b32_e32 v5, v5, v6, vcc
	s_waitcnt vmcnt(0)
	v_add_co_u32_e32 v0, vcc, v8, v0
	v_addc_co_u32_e32 v1, vcc, v9, v1, vcc
	v_add_u32_e32 v5, v0, v5
	ds_write_b64 v5, v[0:1] offset:584
	buffer_load_dword v0, off, s[0:3], s33 offset:72 ; 4-byte Folded Reload
	s_waitcnt vmcnt(0)
	v_and_b32_e32 v0, 0x2000, v0
	v_cmp_ne_u32_e32 vcc, 0, v0
	s_and_saveexec_b64 s[26:27], vcc
	s_cbranch_execz .LBB6_16259
; %bb.16258:                            ;   in Loop: Header=BB6_16234 Depth=3
	ds_read_b64 v[0:1], v0 offset:872
	s_waitcnt lgkmcnt(0)
	v_add_co_u32_e32 v0, vcc, 1, v0
	v_addc_co_u32_e32 v1, vcc, 0, v1, vcc
	ds_write_b64 v0, v[0:1] offset:872
.LBB6_16259:                            ;   in Loop: Header=BB6_16234 Depth=3
	s_or_b64 exec, exec, s[26:27]
	buffer_store_dword v2, off, s[0:3], s33 offset:84 ; 4-byte Folded Spill
	s_nop 0
	buffer_store_dword v3, off, s[0:3], s33 offset:88 ; 4-byte Folded Spill
.LBB6_16260:                            ;   in Loop: Header=BB6_16234 Depth=3
	s_or_b64 exec, exec, s[44:45]
	s_xor_b64 s[26:27], s[42:43], -1
	s_and_b64 s[26:27], exec, s[26:27]
	s_or_b64 s[40:41], s[26:27], s[40:41]
	s_and_saveexec_b64 s[26:27], s[10:11]
	s_cbranch_execz .LBB6_16279
; %bb.16261:                            ;   in Loop: Header=BB6_16234 Depth=3
	s_and_saveexec_b64 s[42:43], s[72:73]
	s_xor_b64 s[42:43], exec, s[42:43]
	s_cbranch_execz .LBB6_16276
; %bb.16262:                            ;   in Loop: Header=BB6_16234 Depth=3
	s_and_saveexec_b64 s[44:45], s[16:17]
	s_cbranch_execz .LBB6_16275
; %bb.16263:                            ;   in Loop: Header=BB6_16234 Depth=3
	s_mov_b64 s[30:31], exec
	v_mbcnt_lo_u32_b32 v0, s30, 0
	v_mbcnt_hi_u32_b32 v0, s31, v0
	v_cmp_eq_u32_e32 vcc, 0, v0
	s_waitcnt vmcnt(0) lgkmcnt(0)
	buffer_wbinvl1_vol
	s_and_saveexec_b64 s[46:47], vcc
	s_cbranch_execz .LBB6_16265
; %bb.16264:                            ;   in Loop: Header=BB6_16234 Depth=3
	s_bcnt1_i32_b64 s9, s[30:31]
	v_mov_b32_e32 v0, s9
	v_mov_b32_e32 v1, v53
	ds_add_u64 v0, v[0:1]
	s_trap 2
.LBB6_16265:                            ;   in Loop: Header=BB6_16234 Depth=3
	s_or_b64 exec, exec, s[46:47]
	s_trap 2
	ds_read_b64 v[0:1], v0
	s_waitcnt lgkmcnt(0)
	buffer_load_dword v2, off, s[0:3], s33 offset:76 ; 4-byte Folded Reload
	buffer_load_dword v3, off, s[0:3], s33 offset:80 ; 4-byte Folded Reload
	s_waitcnt vmcnt(1)
	v_add_co_u32_e32 v2, vcc, v2, v48
	s_waitcnt vmcnt(0)
	v_addc_co_u32_e32 v3, vcc, 0, v3, vcc
	buffer_store_dword v2, off, s[0:3], s33 offset:76 ; 4-byte Folded Spill
	s_nop 0
	buffer_store_dword v3, off, s[0:3], s33 offset:80 ; 4-byte Folded Spill
	v_cmp_lt_u64_e32 vcc, v[0:1], v[2:3]
	s_and_saveexec_b64 s[46:47], vcc
	s_cbranch_execz .LBB6_16274
; %bb.16266:                            ;   in Loop: Header=BB6_16234 Depth=3
	s_mov_b32 s9, 0
	s_mov_b64 s[30:31], 0
                                        ; implicit-def: $sgpr34_sgpr35
                                        ; implicit-def: $sgpr36_sgpr37
	s_branch .LBB6_16268
.LBB6_16267:                            ;   in Loop: Header=BB6_16268 Depth=4
	s_or_b64 exec, exec, s[48:49]
	s_and_b64 vcc, exec, vcc
	s_or_b64 s[30:31], vcc, s[30:31]
	s_andn2_b64 vcc, s[34:35], exec
	s_and_b64 s[34:35], s[36:37], exec
	s_or_b64 s[34:35], vcc, s[34:35]
	s_andn2_b64 exec, exec, s[30:31]
	s_cbranch_execz .LBB6_16272
.LBB6_16268:                            ;   Parent Loop BB6_47 Depth=1
                                        ;     Parent Loop BB6_16055 Depth=2
                                        ;       Parent Loop BB6_16234 Depth=3
                                        ; =>      This Inner Loop Header: Depth=4
	s_add_i32 s9, s9, 1
	s_cmpk_lg_i32 s9, 0x2710
	s_cselect_b64 s[38:39], -1, 0
	s_and_b64 vcc, exec, s[38:39]
	s_cbranch_vccz .LBB6_16270
; %bb.16269:                            ;   in Loop: Header=BB6_16268 Depth=4
	s_mov_b64 vcc, -1
	s_or_b64 s[36:37], s[36:37], exec
	s_and_saveexec_b64 s[48:49], s[38:39]
	s_cbranch_execz .LBB6_16267
	s_branch .LBB6_16271
.LBB6_16270:                            ;   in Loop: Header=BB6_16268 Depth=4
	s_trap 2
	ds_read_b64 v[0:1], v0
	s_andn2_b64 s[38:39], s[38:39], exec
	s_mov_b32 s9, 0
	s_waitcnt vmcnt(0) lgkmcnt(0)
	flat_load_dword v0, v[0:1] glc
	s_waitcnt vmcnt(0) lgkmcnt(0)
	buffer_wbinvl1_vol
	v_cmp_eq_u32_e32 vcc, 0, v0
	s_and_b64 vcc, vcc, exec
	s_or_b64 s[38:39], s[38:39], vcc
	s_mov_b64 vcc, -1
	s_or_b64 s[36:37], s[36:37], exec
	s_and_saveexec_b64 s[48:49], s[38:39]
	s_cbranch_execz .LBB6_16267
.LBB6_16271:                            ;   in Loop: Header=BB6_16268 Depth=4
	s_sleep 1
	s_trap 2
	ds_read_b64 v[0:1], v0
	s_waitcnt lgkmcnt(0)
	buffer_load_dword v2, off, s[0:3], s33 offset:76 ; 4-byte Folded Reload
	buffer_load_dword v3, off, s[0:3], s33 offset:80 ; 4-byte Folded Reload
	s_andn2_b64 s[36:37], s[36:37], exec
	s_waitcnt vmcnt(0)
	v_cmp_ge_u64_e32 vcc, v[0:1], v[2:3]
	s_orn2_b64 vcc, vcc, exec
	s_branch .LBB6_16267
.LBB6_16272:                            ;   in Loop: Header=BB6_16234 Depth=3
	s_or_b64 exec, exec, s[30:31]
	s_and_saveexec_b64 vcc, s[34:35]
	s_xor_b64 vcc, exec, vcc
	s_cbranch_execz .LBB6_16274
; %bb.16273:                            ;   in Loop: Header=BB6_16234 Depth=3
	v_mov_b32_e32 v0, 1
	ds_write_b32 v0, v0
	s_trap 2
.LBB6_16274:                            ;   in Loop: Header=BB6_16234 Depth=3
	s_or_b64 exec, exec, s[46:47]
	;;#ASMSTART
	s_wakeup
	;;#ASMEND
.LBB6_16275:                            ;   in Loop: Header=BB6_16234 Depth=3
	s_or_b64 exec, exec, s[44:45]
.LBB6_16276:                            ;   in Loop: Header=BB6_16234 Depth=3
	s_andn2_saveexec_b64 s[42:43], s[42:43]
	s_cbranch_execz .LBB6_16278
; %bb.16277:                            ;   in Loop: Header=BB6_16234 Depth=3
	s_waitcnt vmcnt(0) lgkmcnt(0)
	buffer_wbinvl1_vol
	s_barrier
.LBB6_16278:                            ;   in Loop: Header=BB6_16234 Depth=3
	s_or_b64 exec, exec, s[42:43]
.LBB6_16279:                            ;   in Loop: Header=BB6_16234 Depth=3
	s_or_b64 exec, exec, s[26:27]
                                        ; implicit-def: $vgpr0
	s_and_saveexec_b64 s[26:27], s[24:25]
	s_xor_b64 s[26:27], exec, s[26:27]
	s_cbranch_execz .LBB6_16283
; %bb.16280:                            ;   in Loop: Header=BB6_16234 Depth=3
	s_trap 2
	buffer_load_dword v1, off, s[0:3], s33 offset:72 ; 4-byte Folded Reload
	ds_read_b32 v0, v0
	v_cmp_lt_i32_e32 vcc, 0, v4
	s_waitcnt lgkmcnt(0)
	v_readfirstlane_b32 s9, v0
	s_cmp_eq_u32 s9, 0
	s_cselect_b64 s[42:43], -1, 0
	s_and_b64 s[42:43], vcc, s[42:43]
	s_waitcnt vmcnt(0)
	v_and_b32_e32 v0, 16, v1
	v_and_b32_e32 v1, 16, v1
	v_cmp_ne_u32_e32 vcc, 0, v1
	s_and_b64 s[44:45], vcc, s[42:43]
	s_and_saveexec_b64 s[42:43], s[44:45]
	s_cbranch_execz .LBB6_16282
; %bb.16281:                            ;   in Loop: Header=BB6_16234 Depth=3
	v_mov_b32_e32 v0, 1
	buffer_wbinvl1_vol
.LBB6_16282:                            ;   in Loop: Header=BB6_16234 Depth=3
	s_or_b64 exec, exec, s[42:43]
	s_andn2_saveexec_b64 s[26:27], s[26:27]
	s_cbranch_execz .LBB6_16302
	s_branch .LBB6_16284
.LBB6_16283:                            ;   in Loop: Header=BB6_16234 Depth=3
	s_andn2_saveexec_b64 s[26:27], s[26:27]
	s_cbranch_execz .LBB6_16302
.LBB6_16284:                            ;   in Loop: Header=BB6_16234 Depth=3
	s_and_saveexec_b64 s[42:43], s[72:73]
	s_xor_b64 s[42:43], exec, s[42:43]
	s_cbranch_execz .LBB6_16299
; %bb.16285:                            ;   in Loop: Header=BB6_16234 Depth=3
	s_and_saveexec_b64 s[44:45], s[16:17]
	s_cbranch_execz .LBB6_16298
; %bb.16286:                            ;   in Loop: Header=BB6_16234 Depth=3
	s_mov_b64 s[30:31], exec
	v_mbcnt_lo_u32_b32 v0, s30, 0
	v_mbcnt_hi_u32_b32 v0, s31, v0
	v_cmp_eq_u32_e32 vcc, 0, v0
	;;#ASMSTART
	s_waitcnt lgkmcnt(0) vmcnt(0)
	;;#ASMEND
	s_and_saveexec_b64 s[46:47], vcc
	s_cbranch_execz .LBB6_16288
; %bb.16287:                            ;   in Loop: Header=BB6_16234 Depth=3
	s_bcnt1_i32_b64 s9, s[30:31]
	v_mov_b32_e32 v0, s9
	v_mov_b32_e32 v1, v53
	s_waitcnt lgkmcnt(0)
	ds_add_u64 v0, v[0:1]
	s_trap 2
.LBB6_16288:                            ;   in Loop: Header=BB6_16234 Depth=3
	s_or_b64 exec, exec, s[46:47]
	s_trap 2
	ds_read_b64 v[0:1], v0
	s_waitcnt lgkmcnt(0)
	buffer_load_dword v2, off, s[0:3], s33 offset:76 ; 4-byte Folded Reload
	buffer_load_dword v3, off, s[0:3], s33 offset:80 ; 4-byte Folded Reload
	s_waitcnt vmcnt(1)
	v_add_co_u32_e32 v2, vcc, v2, v48
	s_waitcnt vmcnt(0)
	v_addc_co_u32_e32 v3, vcc, 0, v3, vcc
	buffer_store_dword v2, off, s[0:3], s33 offset:76 ; 4-byte Folded Spill
	s_nop 0
	buffer_store_dword v3, off, s[0:3], s33 offset:80 ; 4-byte Folded Spill
	v_cmp_lt_u64_e32 vcc, v[0:1], v[2:3]
	s_and_saveexec_b64 s[46:47], vcc
	s_cbranch_execz .LBB6_16297
; %bb.16289:                            ;   in Loop: Header=BB6_16234 Depth=3
	s_mov_b32 s9, 0
	s_mov_b64 s[30:31], 0
                                        ; implicit-def: $sgpr34_sgpr35
                                        ; implicit-def: $sgpr36_sgpr37
	s_branch .LBB6_16291
.LBB6_16290:                            ;   in Loop: Header=BB6_16291 Depth=4
	s_or_b64 exec, exec, s[48:49]
	s_and_b64 vcc, exec, vcc
	s_or_b64 s[30:31], vcc, s[30:31]
	s_andn2_b64 vcc, s[34:35], exec
	s_and_b64 s[34:35], s[36:37], exec
	s_or_b64 s[34:35], vcc, s[34:35]
	s_andn2_b64 exec, exec, s[30:31]
	s_cbranch_execz .LBB6_16295
.LBB6_16291:                            ;   Parent Loop BB6_47 Depth=1
                                        ;     Parent Loop BB6_16055 Depth=2
                                        ;       Parent Loop BB6_16234 Depth=3
                                        ; =>      This Inner Loop Header: Depth=4
	s_add_i32 s9, s9, 1
	s_cmpk_lg_i32 s9, 0x2710
	s_cselect_b64 s[38:39], -1, 0
	s_and_b64 vcc, exec, s[38:39]
	s_cbranch_vccz .LBB6_16293
; %bb.16292:                            ;   in Loop: Header=BB6_16291 Depth=4
	s_mov_b64 vcc, -1
	s_or_b64 s[36:37], s[36:37], exec
	s_and_saveexec_b64 s[48:49], s[38:39]
	s_cbranch_execz .LBB6_16290
	s_branch .LBB6_16294
.LBB6_16293:                            ;   in Loop: Header=BB6_16291 Depth=4
	s_trap 2
	ds_read_b64 v[0:1], v0
	s_andn2_b64 s[38:39], s[38:39], exec
	s_mov_b32 s9, 0
	s_waitcnt vmcnt(0) lgkmcnt(0)
	flat_load_dword v0, v[0:1] glc
	s_waitcnt vmcnt(0) lgkmcnt(0)
	buffer_wbinvl1_vol
	v_cmp_eq_u32_e32 vcc, 0, v0
	s_and_b64 vcc, vcc, exec
	s_or_b64 s[38:39], s[38:39], vcc
	s_mov_b64 vcc, -1
	s_or_b64 s[36:37], s[36:37], exec
	s_and_saveexec_b64 s[48:49], s[38:39]
	s_cbranch_execz .LBB6_16290
.LBB6_16294:                            ;   in Loop: Header=BB6_16291 Depth=4
	s_sleep 1
	s_trap 2
	ds_read_b64 v[0:1], v0
	s_waitcnt lgkmcnt(0)
	buffer_load_dword v2, off, s[0:3], s33 offset:76 ; 4-byte Folded Reload
	buffer_load_dword v3, off, s[0:3], s33 offset:80 ; 4-byte Folded Reload
	s_andn2_b64 s[36:37], s[36:37], exec
	s_waitcnt vmcnt(0)
	v_cmp_ge_u64_e32 vcc, v[0:1], v[2:3]
	s_orn2_b64 vcc, vcc, exec
	s_branch .LBB6_16290
.LBB6_16295:                            ;   in Loop: Header=BB6_16234 Depth=3
	s_or_b64 exec, exec, s[30:31]
	s_and_saveexec_b64 vcc, s[34:35]
	s_xor_b64 vcc, exec, vcc
	s_cbranch_execz .LBB6_16297
; %bb.16296:                            ;   in Loop: Header=BB6_16234 Depth=3
	v_mov_b32_e32 v0, 1
	ds_write_b32 v0, v0
	s_trap 2
.LBB6_16297:                            ;   in Loop: Header=BB6_16234 Depth=3
	s_or_b64 exec, exec, s[46:47]
	;;#ASMSTART
	s_wakeup
	;;#ASMEND
.LBB6_16298:                            ;   in Loop: Header=BB6_16234 Depth=3
	s_or_b64 exec, exec, s[44:45]
.LBB6_16299:                            ;   in Loop: Header=BB6_16234 Depth=3
	s_andn2_saveexec_b64 s[42:43], s[42:43]
	s_cbranch_execz .LBB6_16301
; %bb.16300:                            ;   in Loop: Header=BB6_16234 Depth=3
	;;#ASMSTART
	s_waitcnt lgkmcnt(0) vmcnt(0)
	;;#ASMEND
	s_waitcnt vmcnt(0) lgkmcnt(0)
	s_barrier
.LBB6_16301:                            ;   in Loop: Header=BB6_16234 Depth=3
	s_or_b64 exec, exec, s[42:43]
	buffer_load_dword v0, off, s[0:3], s33 offset:72 ; 4-byte Folded Reload
	s_waitcnt vmcnt(0)
	v_and_b32_e32 v0, 16, v0
.LBB6_16302:                            ;   in Loop: Header=BB6_16234 Depth=3
	s_or_b64 exec, exec, s[26:27]
	v_cmp_ne_u32_e32 vcc, 0, v0
	s_xor_b64 s[26:27], s[12:13], -1
	s_and_b64 s[42:43], vcc, s[26:27]
	s_and_saveexec_b64 s[26:27], s[42:43]
	s_cbranch_execz .LBB6_16304
; %bb.16303:                            ;   in Loop: Header=BB6_16234 Depth=3
	buffer_load_dword v0, off, s[0:3], s33 offset:220 ; 4-byte Folded Reload
	buffer_load_dword v1, off, s[0:3], s33 offset:224 ; 4-byte Folded Reload
	v_mov_b32_e32 v2, 1
	s_waitcnt vmcnt(0)
	flat_store_dword v[0:1], v2
.LBB6_16304:                            ;   in Loop: Header=BB6_16234 Depth=3
	s_or_b64 exec, exec, s[26:27]
	buffer_load_dword v0, off, s[0:3], s33 offset:72 ; 4-byte Folded Reload
	s_waitcnt vmcnt(0)
	v_and_b32_e32 v0, 48, v0
	v_cmp_ne_u32_e32 vcc, 0, v0
	s_and_saveexec_b64 s[26:27], vcc
	s_cbranch_execz .LBB6_16233
; %bb.16305:                            ;   in Loop: Header=BB6_16234 Depth=3
	buffer_load_dword v2, off, s[0:3], s33 offset:84 ; 4-byte Folded Reload
	buffer_load_dword v3, off, s[0:3], s33 offset:88 ; 4-byte Folded Reload
	;; [unrolled: 1-line block ×4, first 2 shown]
	s_waitcnt vmcnt(0)
	v_add_co_u32_e32 v2, vcc, 2, v2
	v_addc_co_u32_e32 v3, vcc, 0, v3, vcc
	buffer_store_dword v2, off, s[0:3], s33 offset:84 ; 4-byte Folded Spill
	s_nop 0
	buffer_store_dword v3, off, s[0:3], s33 offset:88 ; 4-byte Folded Spill
	flat_store_dwordx2 v[0:1], v[2:3]
	s_branch .LBB6_16233
.LBB6_16306:                            ;   in Loop: Header=BB6_16055 Depth=2
	s_or_b64 exec, exec, s[44:45]
	s_or_b64 exec, exec, s[42:43]
	v_cmp_gt_i32_e32 vcc, 2, v2
	s_and_saveexec_b64 s[28:29], vcc
	s_cbranch_execnz .LBB6_16232
.LBB6_16307:                            ;   in Loop: Header=BB6_16055 Depth=2
	s_or_b64 exec, exec, s[28:29]
	s_add_i32 s9, s8, 1
	s_cmp_eq_u32 s8, s56
	s_cbranch_scc0 .LBB6_16309
	s_branch .LBB6_16310
.LBB6_16308:                            ;   in Loop: Header=BB6_16055 Depth=2
	s_or_b64 exec, exec, s[40:41]
	s_or_b64 exec, exec, s[28:29]
	s_add_i32 s9, s8, 1
	s_cmp_eq_u32 s8, s56
	s_cbranch_scc1 .LBB6_16310
.LBB6_16309:                            ;   in Loop: Header=BB6_16055 Depth=2
	s_mov_b32 s8, s9
	s_branch .LBB6_16055
.LBB6_16310:                            ;   in Loop: Header=BB6_47 Depth=1
	buffer_load_dword v4, off, s[0:3], s33 offset:356 ; 4-byte Folded Reload
	buffer_load_dword v5, off, s[0:3], s33 offset:360 ; 4-byte Folded Reload
	v_mov_b32_e32 v12, 0
	s_waitcnt vmcnt(0)
	v_mul_lo_u32 v3, v4, s86
	v_mul_lo_u32 v2, v5, s57
	v_mad_u64_u32 v[0:1], s[8:9], v4, s57, 0
	v_add3_u32 v1, v1, v3, v2
	buffer_load_dword v2, off, s[0:3], s33 offset:348 ; 4-byte Folded Reload
	buffer_load_dword v3, off, s[0:3], s33 offset:352 ; 4-byte Folded Reload
	s_waitcnt vmcnt(0)
	v_sub_co_u32_e32 v2, vcc, v2, v0
	v_subb_co_u32_e32 v3, vcc, v3, v1, vcc
	v_cmp_lt_i64_e32 vcc, v[4:5], v[2:3]
	v_cndmask_b32_e32 v3, v2, v4, vcc
	v_max_i32_e32 v6, 0, v3
	v_add_u32_e32 v4, 31, v6
	v_lshrrev_b32_e32 v4, 1, v4
	v_and_b32_e32 v4, 0x3ffffff0, v4
	v_cmp_lt_i32_e32 vcc, 0, v3
	v_mov_b32_e32 v2, 0
	v_max_i32_e32 v7, s59, v4
	s_and_b64 s[8:9], s[94:95], vcc
	s_and_saveexec_b64 s[28:29], s[8:9]
	s_cbranch_execz .LBB6_16448
; %bb.16311:                            ;   in Loop: Header=BB6_47 Depth=1
	buffer_load_dword v2, off, s[0:3], s33 offset:276 ; 4-byte Folded Reload
	s_mov_b32 s8, 1
	s_mov_b64 s[42:43], -1
	v_mov_b32_e32 v12, 0
	s_mov_b64 s[40:41], 0
	s_waitcnt vmcnt(0)
	v_add_co_u32_e32 v13, vcc, v0, v2
	buffer_load_dword v0, off, s[0:3], s33 offset:280 ; 4-byte Folded Reload
	s_waitcnt vmcnt(0)
	v_addc_co_u32_e32 v14, vcc, v1, v0, vcc
	s_branch .LBB6_16313
.LBB6_16312:                            ;   in Loop: Header=BB6_16313 Depth=2
	s_or_b64 exec, exec, s[26:27]
	v_add_u32_e32 v12, v7, v12
	v_cmp_ge_i32_e32 vcc, v12, v6
	s_xor_b64 s[26:27], s[42:43], -1
	s_or_b64 s[26:27], s[26:27], vcc
	s_and_b64 s[26:27], exec, s[26:27]
	s_or_b64 s[40:41], s[26:27], s[40:41]
	s_mov_b64 s[42:43], 0
	v_mov_b32_e32 v2, s8
	s_mov_b32 s8, 2
	s_andn2_b64 exec, exec, s[40:41]
	s_cbranch_execz .LBB6_16447
.LBB6_16313:                            ;   Parent Loop BB6_47 Depth=1
                                        ; =>  This Loop Header: Depth=2
                                        ;       Child Loop BB6_16321 Depth 3
                                        ;       Child Loop BB6_16345 Depth 3
	;; [unrolled: 1-line block ×9, first 2 shown]
	s_and_saveexec_b64 s[26:27], s[4:5]
	s_cbranch_execz .LBB6_16315
; %bb.16314:                            ;   in Loop: Header=BB6_16313 Depth=2
	s_trap 2
	ds_read_b128 v[0:3], v0
	v_ashrrev_i32_e32 v4, 31, v12
	s_waitcnt lgkmcnt(0)
	v_add_co_u32_e32 v0, vcc, v0, v13
	v_addc_co_u32_e32 v1, vcc, v1, v14, vcc
	v_add_co_u32_e32 v0, vcc, v0, v12
	v_addc_co_u32_e32 v1, vcc, v1, v4, vcc
	ds_write_b64 v0, v[0:1]
	v_add_co_u32_e32 v0, vcc, v2, v13
	v_addc_co_u32_e32 v1, vcc, v3, v14, vcc
	v_add_co_u32_e32 v0, vcc, v0, v12
	v_addc_co_u32_e32 v1, vcc, v1, v4, vcc
	v_cmp_ne_u64_e32 vcc, 0, v[2:3]
	v_cndmask_b32_e32 v1, 0, v1, vcc
	v_cndmask_b32_e32 v0, 0, v0, vcc
	ds_write_b64 v0, v[0:1]
.LBB6_16315:                            ;   in Loop: Header=BB6_16313 Depth=2
	s_or_b64 exec, exec, s[26:27]
	buffer_load_dword v0, off, s[0:3], s33 offset:72 ; 4-byte Folded Reload
	s_waitcnt vmcnt(0)
	v_and_b32_e32 v0, 4, v0
	v_cmp_ne_u32_e32 vcc, 0, v0
	s_and_saveexec_b64 s[44:45], vcc
	s_cbranch_execz .LBB6_16337
; %bb.16316:                            ;   in Loop: Header=BB6_16313 Depth=2
	buffer_load_dword v0, off, s[0:3], s33 offset:84 ; 4-byte Folded Reload
	buffer_load_dword v1, off, s[0:3], s33 offset:88 ; 4-byte Folded Reload
	s_waitcnt vmcnt(0)
	v_add_co_u32_e32 v2, vcc, 2, v0
	v_addc_co_u32_e32 v3, vcc, 0, v1, vcc
	buffer_load_dword v0, off, s[0:3], s33 offset:56 ; 4-byte Folded Reload
	buffer_load_dword v1, off, s[0:3], s33 offset:60 ; 4-byte Folded Reload
	s_waitcnt vmcnt(0)
	v_cmp_lt_u64_e32 vcc, v[0:1], v[2:3]
	s_and_saveexec_b64 s[46:47], vcc
	s_cbranch_execz .LBB6_16328
; %bb.16317:                            ;   in Loop: Header=BB6_16313 Depth=2
	buffer_load_dword v0, off, s[0:3], s33 offset:72 ; 4-byte Folded Reload
	s_mov_b32 s9, 0
	s_mov_b64 s[30:31], 0
                                        ; implicit-def: $sgpr34_sgpr35
                                        ; implicit-def: $sgpr36_sgpr37
                                        ; implicit-def: $sgpr38_sgpr39
	s_waitcnt vmcnt(0)
	v_and_b32_e32 v0, 64, v0
	v_cmp_eq_u32_e32 vcc, 0, v0
	s_branch .LBB6_16321
.LBB6_16318:                            ;   in Loop: Header=BB6_16321 Depth=3
	buffer_load_dword v4, off, s[0:3], s33 offset:56 ; 4-byte Folded Reload
	buffer_load_dword v5, off, s[0:3], s33 offset:60 ; 4-byte Folded Reload
	s_or_b64 s[52:53], s[52:53], exec
	s_waitcnt vmcnt(0)
	v_cmp_ge_u64_e64 s[26:27], v[4:5], v[2:3]
	s_orn2_b64 s[50:51], s[26:27], exec
.LBB6_16319:                            ;   in Loop: Header=BB6_16321 Depth=3
	s_or_b64 exec, exec, s[64:65]
	s_andn2_b64 s[26:27], s[38:39], exec
	s_and_b64 s[38:39], s[52:53], exec
	s_or_b64 s[38:39], s[26:27], s[38:39]
	s_andn2_b64 s[26:27], s[36:37], exec
	s_and_b64 s[36:37], s[50:51], exec
	s_or_b64 s[36:37], s[26:27], s[36:37]
.LBB6_16320:                            ;   in Loop: Header=BB6_16321 Depth=3
	s_or_b64 exec, exec, s[48:49]
	s_and_b64 s[26:27], exec, s[36:37]
	s_or_b64 s[30:31], s[26:27], s[30:31]
	s_andn2_b64 s[26:27], s[34:35], exec
	s_and_b64 s[34:35], s[38:39], exec
	s_or_b64 s[34:35], s[26:27], s[34:35]
	s_andn2_b64 exec, exec, s[30:31]
	s_cbranch_execz .LBB6_16325
.LBB6_16321:                            ;   Parent Loop BB6_47 Depth=1
                                        ;     Parent Loop BB6_16313 Depth=2
                                        ; =>    This Inner Loop Header: Depth=3
	s_sleep 1
	buffer_load_dword v0, off, s[0:3], s33 offset:64 ; 4-byte Folded Reload
	buffer_load_dword v1, off, s[0:3], s33 offset:68 ; 4-byte Folded Reload
	s_or_b64 s[38:39], s[38:39], exec
	s_or_b64 s[36:37], s[36:37], exec
	s_waitcnt vmcnt(0)
	flat_load_dwordx2 v[0:1], v[0:1] glc
	s_waitcnt vmcnt(0) lgkmcnt(0)
	buffer_store_dword v0, off, s[0:3], s33 offset:56 ; 4-byte Folded Spill
	s_nop 0
	buffer_store_dword v1, off, s[0:3], s33 offset:60 ; 4-byte Folded Spill
                                        ; implicit-def: $vgpr0
	s_and_saveexec_b64 s[48:49], vcc
	s_cbranch_execz .LBB6_16320
; %bb.16322:                            ;   in Loop: Header=BB6_16321 Depth=3
	s_cmpk_lt_i32 s9, 0x270f
	s_cselect_b64 s[54:55], -1, 0
	s_cmpk_gt_i32 s9, 0x270e
	s_mov_b64 s[50:51], -1
	s_cbranch_scc0 .LBB6_16324
; %bb.16323:                            ;   in Loop: Header=BB6_16321 Depth=3
	s_trap 2
	ds_read_b64 v[0:1], v0
	s_andn2_b64 s[54:55], s[54:55], exec
	s_mov_b32 s9, 0
	s_mov_b64 s[52:53], 0
	s_waitcnt vmcnt(0) lgkmcnt(0)
	flat_load_dword v0, v[0:1] glc
	s_waitcnt vmcnt(0) lgkmcnt(0)
	buffer_wbinvl1_vol
	v_cmp_eq_u32_e64 s[26:27], 0, v0
	s_and_b64 s[26:27], s[26:27], exec
	s_or_b64 s[54:55], s[54:55], s[26:27]
	s_and_saveexec_b64 s[64:65], s[54:55]
	s_cbranch_execz .LBB6_16319
	s_branch .LBB6_16318
.LBB6_16324:                            ;   in Loop: Header=BB6_16321 Depth=3
	s_add_i32 s9, s9, 1
	s_mov_b64 s[52:53], -1
                                        ; implicit-def: $vgpr0
	s_and_saveexec_b64 s[64:65], s[54:55]
	s_cbranch_execz .LBB6_16319
	s_branch .LBB6_16318
.LBB6_16325:                            ;   in Loop: Header=BB6_16313 Depth=2
	s_or_b64 exec, exec, s[30:31]
	s_xor_b64 s[26:27], s[34:35], -1
	s_and_saveexec_b64 vcc, s[26:27]
	s_xor_b64 s[26:27], exec, vcc
	s_cbranch_execz .LBB6_16327
; %bb.16326:                            ;   in Loop: Header=BB6_16313 Depth=2
	ds_write_b32 v0, v0
	s_trap 2
	buffer_load_dword v0, off, s[0:3], s33 offset:72 ; 4-byte Folded Reload
	s_waitcnt vmcnt(0)
	v_or_b32_e32 v0, 64, v0
	buffer_store_dword v0, off, s[0:3], s33 offset:72 ; 4-byte Folded Spill
.LBB6_16327:                            ;   in Loop: Header=BB6_16313 Depth=2
	s_or_b64 exec, exec, s[26:27]
.LBB6_16328:                            ;   in Loop: Header=BB6_16313 Depth=2
	s_or_b64 exec, exec, s[46:47]
	;;#ASMSTART
	s_wakeup
	;;#ASMEND
	buffer_load_dword v0, off, s[0:3], s33 offset:72 ; 4-byte Folded Reload
	s_mov_b64 s[26:27], -1
	s_waitcnt vmcnt(0)
	v_and_b32_e32 v0, 0x100, v0
	v_cmp_ne_u32_e32 vcc, 0, v0
	buffer_load_dword v0, off, s[0:3], s33 offset:84 ; 4-byte Folded Reload
	buffer_load_dword v1, off, s[0:3], s33 offset:88 ; 4-byte Folded Reload
	s_waitcnt vmcnt(0)
	v_and_b32_e32 v8, 7, v0
                                        ; implicit-def: $vgpr0_vgpr1
	s_and_saveexec_b64 s[46:47], vcc
	s_cbranch_execz .LBB6_16332
; %bb.16329:                            ;   in Loop: Header=BB6_16313 Depth=2
	buffer_load_dword v15, off, s[0:3], s33 offset:204 ; 4-byte Folded Reload
	buffer_load_dword v16, off, s[0:3], s33 offset:208 ; 4-byte Folded Reload
	;; [unrolled: 1-line block ×4, first 2 shown]
	s_waitcnt vmcnt(0)
	v_mad_u64_u32 v[4:5], s[26:27], v8, 24, v[15:16]
	flat_load_dword v0, v[4:5]
	s_waitcnt vmcnt(0) lgkmcnt(0)
	v_cmp_ne_u32_e32 vcc, 1, v0
	v_cmp_eq_u32_e64 s[26:27], 1, v0
                                        ; implicit-def: $vgpr0_vgpr1
	s_and_saveexec_b64 s[30:31], s[26:27]
	s_cbranch_execz .LBB6_16331
; %bb.16330:                            ;   in Loop: Header=BB6_16313 Depth=2
	flat_load_dword v0, v[4:5] offset:4 glc
	s_waitcnt vmcnt(0) lgkmcnt(0)
	v_ashrrev_i32_e32 v1, 31, v0
.LBB6_16331:                            ;   in Loop: Header=BB6_16313 Depth=2
	s_or_b64 exec, exec, s[30:31]
	s_orn2_b64 s[26:27], vcc, exec
.LBB6_16332:                            ;   in Loop: Header=BB6_16313 Depth=2
	s_or_b64 exec, exec, s[46:47]
	s_and_saveexec_b64 s[46:47], s[26:27]
	s_cbranch_execz .LBB6_16334
; %bb.16333:                            ;   in Loop: Header=BB6_16313 Depth=2
	buffer_load_dword v0, off, s[0:3], s33 offset:232 ; 4-byte Folded Reload
	s_waitcnt vmcnt(0)
	v_mad_i64_i32 v[0:1], s[26:27], v8, v0, 0
.LBB6_16334:                            ;   in Loop: Header=BB6_16313 Depth=2
	s_or_b64 exec, exec, s[46:47]
	buffer_load_dword v4, off, s[0:3], s33 offset:196 ; 4-byte Folded Reload
	buffer_load_dword v5, off, s[0:3], s33 offset:200 ; 4-byte Folded Reload
	s_waitcnt vmcnt(0)
	v_add_co_u32_e32 v0, vcc, v4, v0
	v_addc_co_u32_e32 v1, vcc, v5, v1, vcc
	ds_write_b64 v0, v[0:1] offset:720
	buffer_load_dword v0, off, s[0:3], s33 offset:72 ; 4-byte Folded Reload
	s_waitcnt vmcnt(0)
	v_and_b32_e32 v0, 0x2000, v0
	v_cmp_ne_u32_e32 vcc, 0, v0
	s_and_saveexec_b64 s[26:27], vcc
	s_cbranch_execz .LBB6_16336
; %bb.16335:                            ;   in Loop: Header=BB6_16313 Depth=2
	ds_read_b64 v[0:1], v0 offset:872
	s_waitcnt lgkmcnt(0)
	v_add_co_u32_e32 v0, vcc, 1, v0
	v_addc_co_u32_e32 v1, vcc, 0, v1, vcc
	ds_write_b64 v0, v[0:1] offset:872
.LBB6_16336:                            ;   in Loop: Header=BB6_16313 Depth=2
	s_or_b64 exec, exec, s[26:27]
	buffer_store_dword v2, off, s[0:3], s33 offset:84 ; 4-byte Folded Spill
	s_nop 0
	buffer_store_dword v3, off, s[0:3], s33 offset:88 ; 4-byte Folded Spill
.LBB6_16337:                            ;   in Loop: Header=BB6_16313 Depth=2
	s_or_b64 exec, exec, s[44:45]
	s_and_saveexec_b64 s[26:27], s[10:11]
	s_cbranch_execz .LBB6_16356
; %bb.16338:                            ;   in Loop: Header=BB6_16313 Depth=2
	s_and_saveexec_b64 s[44:45], s[72:73]
	s_xor_b64 s[44:45], exec, s[44:45]
	s_cbranch_execz .LBB6_16353
; %bb.16339:                            ;   in Loop: Header=BB6_16313 Depth=2
	s_and_saveexec_b64 s[46:47], s[16:17]
	s_cbranch_execz .LBB6_16352
; %bb.16340:                            ;   in Loop: Header=BB6_16313 Depth=2
	s_mov_b64 s[34:35], exec
	v_mbcnt_lo_u32_b32 v0, s34, 0
	v_mbcnt_hi_u32_b32 v0, s35, v0
	v_cmp_eq_u32_e32 vcc, 0, v0
	s_waitcnt vmcnt(0) lgkmcnt(0)
	buffer_wbinvl1_vol
	s_and_saveexec_b64 s[30:31], vcc
	s_cbranch_execz .LBB6_16342
; %bb.16341:                            ;   in Loop: Header=BB6_16313 Depth=2
	s_bcnt1_i32_b64 s9, s[34:35]
	v_mov_b32_e32 v0, s9
	v_mov_b32_e32 v1, v53
	ds_add_u64 v0, v[0:1]
	s_trap 2
.LBB6_16342:                            ;   in Loop: Header=BB6_16313 Depth=2
	s_or_b64 exec, exec, s[30:31]
	s_trap 2
	ds_read_b64 v[0:1], v0
	s_waitcnt lgkmcnt(0)
	buffer_load_dword v2, off, s[0:3], s33 offset:76 ; 4-byte Folded Reload
	buffer_load_dword v3, off, s[0:3], s33 offset:80 ; 4-byte Folded Reload
	s_waitcnt vmcnt(1)
	v_add_co_u32_e32 v2, vcc, v2, v48
	s_waitcnt vmcnt(0)
	v_addc_co_u32_e32 v3, vcc, 0, v3, vcc
	buffer_store_dword v2, off, s[0:3], s33 offset:76 ; 4-byte Folded Spill
	s_nop 0
	buffer_store_dword v3, off, s[0:3], s33 offset:80 ; 4-byte Folded Spill
	v_cmp_lt_u64_e32 vcc, v[0:1], v[2:3]
	s_and_saveexec_b64 s[30:31], vcc
	s_cbranch_execz .LBB6_16351
; %bb.16343:                            ;   in Loop: Header=BB6_16313 Depth=2
	s_mov_b32 s9, 0
	s_mov_b64 s[34:35], 0
                                        ; implicit-def: $sgpr36_sgpr37
                                        ; implicit-def: $sgpr38_sgpr39
	s_branch .LBB6_16345
.LBB6_16344:                            ;   in Loop: Header=BB6_16345 Depth=3
	s_or_b64 exec, exec, s[50:51]
	s_and_b64 vcc, exec, vcc
	s_or_b64 s[34:35], vcc, s[34:35]
	s_andn2_b64 vcc, s[36:37], exec
	s_and_b64 s[36:37], s[38:39], exec
	s_or_b64 s[36:37], vcc, s[36:37]
	s_andn2_b64 exec, exec, s[34:35]
	s_cbranch_execz .LBB6_16349
.LBB6_16345:                            ;   Parent Loop BB6_47 Depth=1
                                        ;     Parent Loop BB6_16313 Depth=2
                                        ; =>    This Inner Loop Header: Depth=3
	s_add_i32 s9, s9, 1
	s_cmpk_lg_i32 s9, 0x2710
	s_cselect_b64 s[48:49], -1, 0
	s_and_b64 vcc, exec, s[48:49]
	s_cbranch_vccz .LBB6_16347
; %bb.16346:                            ;   in Loop: Header=BB6_16345 Depth=3
	s_mov_b64 vcc, -1
	s_or_b64 s[38:39], s[38:39], exec
	s_and_saveexec_b64 s[50:51], s[48:49]
	s_cbranch_execz .LBB6_16344
	s_branch .LBB6_16348
.LBB6_16347:                            ;   in Loop: Header=BB6_16345 Depth=3
	s_trap 2
	ds_read_b64 v[0:1], v0
	s_andn2_b64 s[48:49], s[48:49], exec
	s_mov_b32 s9, 0
	s_waitcnt vmcnt(0) lgkmcnt(0)
	flat_load_dword v0, v[0:1] glc
	s_waitcnt vmcnt(0) lgkmcnt(0)
	buffer_wbinvl1_vol
	v_cmp_eq_u32_e32 vcc, 0, v0
	s_and_b64 vcc, vcc, exec
	s_or_b64 s[48:49], s[48:49], vcc
	s_mov_b64 vcc, -1
	s_or_b64 s[38:39], s[38:39], exec
	s_and_saveexec_b64 s[50:51], s[48:49]
	s_cbranch_execz .LBB6_16344
.LBB6_16348:                            ;   in Loop: Header=BB6_16345 Depth=3
	s_sleep 1
	s_trap 2
	ds_read_b64 v[0:1], v0
	s_waitcnt lgkmcnt(0)
	buffer_load_dword v2, off, s[0:3], s33 offset:76 ; 4-byte Folded Reload
	buffer_load_dword v3, off, s[0:3], s33 offset:80 ; 4-byte Folded Reload
	s_andn2_b64 s[38:39], s[38:39], exec
	s_waitcnt vmcnt(0)
	v_cmp_ge_u64_e32 vcc, v[0:1], v[2:3]
	s_orn2_b64 vcc, vcc, exec
	s_branch .LBB6_16344
.LBB6_16349:                            ;   in Loop: Header=BB6_16313 Depth=2
	s_or_b64 exec, exec, s[34:35]
	s_and_saveexec_b64 vcc, s[36:37]
	s_xor_b64 vcc, exec, vcc
	s_cbranch_execz .LBB6_16351
; %bb.16350:                            ;   in Loop: Header=BB6_16313 Depth=2
	v_mov_b32_e32 v0, 1
	ds_write_b32 v0, v0
	s_trap 2
.LBB6_16351:                            ;   in Loop: Header=BB6_16313 Depth=2
	s_or_b64 exec, exec, s[30:31]
	;;#ASMSTART
	s_wakeup
	;;#ASMEND
.LBB6_16352:                            ;   in Loop: Header=BB6_16313 Depth=2
	s_or_b64 exec, exec, s[46:47]
.LBB6_16353:                            ;   in Loop: Header=BB6_16313 Depth=2
	s_andn2_saveexec_b64 s[44:45], s[44:45]
	s_cbranch_execz .LBB6_16355
; %bb.16354:                            ;   in Loop: Header=BB6_16313 Depth=2
	s_waitcnt vmcnt(0) lgkmcnt(0)
	buffer_wbinvl1_vol
	s_barrier
.LBB6_16355:                            ;   in Loop: Header=BB6_16313 Depth=2
	s_or_b64 exec, exec, s[44:45]
.LBB6_16356:                            ;   in Loop: Header=BB6_16313 Depth=2
	s_or_b64 exec, exec, s[26:27]
	s_trap 2
	buffer_load_dword v1, off, s[0:3], s33 offset:72 ; 4-byte Folded Reload
	ds_read_b32 v0, v0
	s_xor_b64 s[26:27], s[6:7], -1
	s_waitcnt vmcnt(0)
	v_and_b32_e32 v1, 0x4000, v1
	v_cmp_ne_u32_e32 vcc, 0, v1
	s_and_b64 s[44:45], s[26:27], vcc
	s_and_saveexec_b64 s[26:27], s[44:45]
	s_cbranch_execz .LBB6_16375
; %bb.16357:                            ;   in Loop: Header=BB6_16313 Depth=2
	s_and_saveexec_b64 s[44:45], s[72:73]
	s_xor_b64 s[44:45], exec, s[44:45]
	s_cbranch_execz .LBB6_16372
; %bb.16358:                            ;   in Loop: Header=BB6_16313 Depth=2
	s_and_saveexec_b64 s[46:47], s[16:17]
	s_cbranch_execz .LBB6_16371
; %bb.16359:                            ;   in Loop: Header=BB6_16313 Depth=2
	s_mov_b64 s[34:35], exec
	v_mbcnt_lo_u32_b32 v1, s34, 0
	v_mbcnt_hi_u32_b32 v1, s35, v1
	v_cmp_eq_u32_e32 vcc, 0, v1
	s_waitcnt lgkmcnt(0)
	buffer_wbinvl1_vol
	s_and_saveexec_b64 s[30:31], vcc
	s_cbranch_execz .LBB6_16361
; %bb.16360:                            ;   in Loop: Header=BB6_16313 Depth=2
	s_bcnt1_i32_b64 s9, s[34:35]
	v_mov_b32_e32 v1, s9
	v_mov_b32_e32 v2, v53
	ds_add_u64 v0, v[1:2]
	s_trap 2
.LBB6_16361:                            ;   in Loop: Header=BB6_16313 Depth=2
	s_or_b64 exec, exec, s[30:31]
	s_trap 2
	ds_read_b64 v[1:2], v0
	s_waitcnt lgkmcnt(0)
	buffer_load_dword v3, off, s[0:3], s33 offset:76 ; 4-byte Folded Reload
	buffer_load_dword v4, off, s[0:3], s33 offset:80 ; 4-byte Folded Reload
	s_waitcnt vmcnt(1)
	v_add_co_u32_e32 v3, vcc, v3, v48
	s_waitcnt vmcnt(0)
	v_addc_co_u32_e32 v4, vcc, 0, v4, vcc
	buffer_store_dword v3, off, s[0:3], s33 offset:76 ; 4-byte Folded Spill
	s_nop 0
	buffer_store_dword v4, off, s[0:3], s33 offset:80 ; 4-byte Folded Spill
	v_cmp_lt_u64_e32 vcc, v[1:2], v[3:4]
	s_and_saveexec_b64 s[30:31], vcc
	s_cbranch_execz .LBB6_16370
; %bb.16362:                            ;   in Loop: Header=BB6_16313 Depth=2
	s_mov_b32 s9, 0
	s_mov_b64 s[34:35], 0
                                        ; implicit-def: $sgpr36_sgpr37
                                        ; implicit-def: $sgpr38_sgpr39
	s_branch .LBB6_16364
.LBB6_16363:                            ;   in Loop: Header=BB6_16364 Depth=3
	s_or_b64 exec, exec, s[50:51]
	s_and_b64 vcc, exec, vcc
	s_or_b64 s[34:35], vcc, s[34:35]
	s_andn2_b64 vcc, s[36:37], exec
	s_and_b64 s[36:37], s[38:39], exec
	s_or_b64 s[36:37], vcc, s[36:37]
	s_andn2_b64 exec, exec, s[34:35]
	s_cbranch_execz .LBB6_16368
.LBB6_16364:                            ;   Parent Loop BB6_47 Depth=1
                                        ;     Parent Loop BB6_16313 Depth=2
                                        ; =>    This Inner Loop Header: Depth=3
	s_add_i32 s9, s9, 1
	s_cmpk_lg_i32 s9, 0x2710
	s_cselect_b64 s[48:49], -1, 0
	s_and_b64 vcc, exec, s[48:49]
	s_cbranch_vccz .LBB6_16366
; %bb.16365:                            ;   in Loop: Header=BB6_16364 Depth=3
	s_mov_b64 vcc, -1
	s_or_b64 s[38:39], s[38:39], exec
	s_and_saveexec_b64 s[50:51], s[48:49]
	s_cbranch_execz .LBB6_16363
	s_branch .LBB6_16367
.LBB6_16366:                            ;   in Loop: Header=BB6_16364 Depth=3
	s_trap 2
	ds_read_b64 v[1:2], v0
	s_andn2_b64 s[48:49], s[48:49], exec
	s_mov_b32 s9, 0
	s_waitcnt vmcnt(0) lgkmcnt(0)
	flat_load_dword v1, v[1:2] glc
	s_waitcnt vmcnt(0) lgkmcnt(0)
	buffer_wbinvl1_vol
	v_cmp_eq_u32_e32 vcc, 0, v1
	s_and_b64 vcc, vcc, exec
	s_or_b64 s[48:49], s[48:49], vcc
	s_mov_b64 vcc, -1
	s_or_b64 s[38:39], s[38:39], exec
	s_and_saveexec_b64 s[50:51], s[48:49]
	s_cbranch_execz .LBB6_16363
.LBB6_16367:                            ;   in Loop: Header=BB6_16364 Depth=3
	s_sleep 1
	s_trap 2
	ds_read_b64 v[1:2], v0
	s_waitcnt lgkmcnt(0)
	buffer_load_dword v3, off, s[0:3], s33 offset:76 ; 4-byte Folded Reload
	buffer_load_dword v4, off, s[0:3], s33 offset:80 ; 4-byte Folded Reload
	s_andn2_b64 s[38:39], s[38:39], exec
	s_waitcnt vmcnt(0)
	v_cmp_ge_u64_e32 vcc, v[1:2], v[3:4]
	s_orn2_b64 vcc, vcc, exec
	s_branch .LBB6_16363
.LBB6_16368:                            ;   in Loop: Header=BB6_16313 Depth=2
	s_or_b64 exec, exec, s[34:35]
	s_and_saveexec_b64 vcc, s[36:37]
	s_xor_b64 vcc, exec, vcc
	s_cbranch_execz .LBB6_16370
; %bb.16369:                            ;   in Loop: Header=BB6_16313 Depth=2
	v_mov_b32_e32 v1, 1
	ds_write_b32 v0, v1
	s_trap 2
.LBB6_16370:                            ;   in Loop: Header=BB6_16313 Depth=2
	s_or_b64 exec, exec, s[30:31]
	;;#ASMSTART
	s_wakeup
	;;#ASMEND
.LBB6_16371:                            ;   in Loop: Header=BB6_16313 Depth=2
	s_or_b64 exec, exec, s[46:47]
.LBB6_16372:                            ;   in Loop: Header=BB6_16313 Depth=2
	s_andn2_saveexec_b64 s[44:45], s[44:45]
	s_cbranch_execz .LBB6_16374
; %bb.16373:                            ;   in Loop: Header=BB6_16313 Depth=2
	s_waitcnt vmcnt(0) lgkmcnt(0)
	buffer_wbinvl1_vol
	s_barrier
.LBB6_16374:                            ;   in Loop: Header=BB6_16313 Depth=2
	s_or_b64 exec, exec, s[44:45]
.LBB6_16375:                            ;   in Loop: Header=BB6_16313 Depth=2
	s_or_b64 exec, exec, s[26:27]
	s_trap 2
	s_waitcnt lgkmcnt(0)
	ds_read_b64 v[2:3], v0
	v_sub_u32_e32 v1, v6, v12
	v_min_i32_e32 v7, v7, v1
	s_waitcnt lgkmcnt(0)
	v_cmp_eq_u64_e32 vcc, 0, v[2:3]
	s_cbranch_vccnz .LBB6_16383
; %bb.16376:                            ;   in Loop: Header=BB6_16313 Depth=2
	s_trap 2
	ds_read_b64 v[4:5], v0
	s_waitcnt lgkmcnt(0)
	v_cmp_eq_u64_e32 vcc, 0, v[4:5]
	s_cbranch_vccnz .LBB6_16383
; %bb.16377:                            ;   in Loop: Header=BB6_16313 Depth=2
	s_mov_b64 s[26:27], -1
	s_and_saveexec_b64 s[44:45], s[20:21]
	s_cbranch_execz .LBB6_16379
; %bb.16378:                            ;   in Loop: Header=BB6_16313 Depth=2
	ds_read_b32 v1, v0 offset:720
	s_waitcnt lgkmcnt(0)
	v_and_b32_e32 v1, 15, v1
	v_cmp_eq_u32_e32 vcc, 0, v1
	s_orn2_b64 s[26:27], vcc, exec
.LBB6_16379:                            ;   in Loop: Header=BB6_16313 Depth=2
	s_or_b64 exec, exec, s[44:45]
	s_and_saveexec_b64 s[44:45], s[18:19]
	s_cbranch_execz .LBB6_16381
; %bb.16380:                            ;   in Loop: Header=BB6_16313 Depth=2
	ds_read_b32 v1, v0 offset:784
	s_waitcnt lgkmcnt(0)
	v_and_b32_e32 v1, 15, v1
	v_cmp_eq_u32_e32 vcc, 0, v1
	s_and_b64 s[46:47], s[26:27], vcc
	s_andn2_b64 s[26:27], s[26:27], exec
	s_and_b64 s[46:47], s[46:47], exec
	s_or_b64 s[26:27], s[26:27], s[46:47]
.LBB6_16381:                            ;   in Loop: Header=BB6_16313 Depth=2
	s_or_b64 exec, exec, s[44:45]
	buffer_load_dword v8, off, s[0:3], s33 offset:256 ; 4-byte Folded Reload
	v_cmp_eq_u32_e32 vcc, 0, v0
	s_xor_b64 s[26:27], s[26:27], -1
	v_cndmask_b32_e32 v15, 0, v7, vcc
	v_cndmask_b32_e64 v0, 0, 1, s[26:27]
	s_mov_b64 s[46:47], -1
	v_cmp_ne_u32_e32 vcc, 0, v0
	v_mov_b32_e32 v0, 0
	v_mov_b32_e32 v1, v15
	s_cbranch_vccz .LBB6_16388
; %bb.16382:                            ;   in Loop: Header=BB6_16313 Depth=2
	s_and_saveexec_b64 s[26:27], s[46:47]
	s_cbranch_execnz .LBB6_16399
	s_branch .LBB6_16407
.LBB6_16383:                            ;   in Loop: Header=BB6_16313 Depth=2
	s_mov_b64 s[26:27], 0
	s_and_saveexec_b64 s[44:45], s[10:11]
	s_cbranch_execnz .LBB6_16408
.LBB6_16384:                            ;   in Loop: Header=BB6_16313 Depth=2
	s_or_b64 exec, exec, s[44:45]
	s_and_saveexec_b64 s[44:45], s[24:25]
	s_xor_b64 s[44:45], exec, s[44:45]
	s_cbranch_execz .LBB6_16426
.LBB6_16385:                            ;   in Loop: Header=BB6_16313 Depth=2
	buffer_load_dword v0, off, s[0:3], s33 offset:72 ; 4-byte Folded Reload
	s_waitcnt vmcnt(0)
	v_and_b32_e32 v0, 16, v0
	v_cmp_ne_u32_e32 vcc, 0, v0
	s_and_b64 s[46:47], vcc, s[26:27]
	s_and_saveexec_b64 s[26:27], s[46:47]
	s_cbranch_execz .LBB6_16387
; %bb.16386:                            ;   in Loop: Header=BB6_16313 Depth=2
	s_waitcnt lgkmcnt(0)
	buffer_wbinvl1_vol
.LBB6_16387:                            ;   in Loop: Header=BB6_16313 Depth=2
	s_or_b64 exec, exec, s[26:27]
	s_andn2_saveexec_b64 s[26:27], s[44:45]
	s_cbranch_execz .LBB6_16445
	s_branch .LBB6_16427
.LBB6_16388:                            ;   in Loop: Header=BB6_16313 Depth=2
	buffer_load_dword v1, off, s[0:3], s33 offset:300 ; 4-byte Folded Reload
	v_ashrrev_i32_e32 v0, 31, v15
	v_lshrrev_b32_e32 v0, 19, v0
	v_add_u32_e32 v0, v15, v0
	v_ashrrev_i32_e32 v0, 13, v0
	s_waitcnt vmcnt(0)
	v_sub_u32_e32 v16, v0, v1
	v_cmp_lt_i32_e32 vcc, 0, v16
	s_and_saveexec_b64 s[44:45], vcc
	s_cbranch_execz .LBB6_16392
; %bb.16389:                            ;   in Loop: Header=BB6_16313 Depth=2
	buffer_load_dword v52, off, s[0:3], s33 offset:364 ; 4-byte Folded Reload
	buffer_load_dword v47, off, s[0:3], s33 offset:368 ; 4-byte Folded Reload
	v_mov_b32_e32 v9, v5
	v_mov_b32_e32 v11, v3
	s_mov_b64 s[46:47], 0
	v_mov_b32_e32 v8, v4
	v_mov_b32_e32 v10, v2
	;; [unrolled: 1-line block ×3, first 2 shown]
.LBB6_16390:                            ;   Parent Loop BB6_47 Depth=1
                                        ;     Parent Loop BB6_16313 Depth=2
                                        ; =>    This Inner Loop Header: Depth=3
	s_waitcnt vmcnt(0)
	v_add_co_u32_e32 v33, vcc, v47, v10
	v_addc_co_u32_e32 v34, vcc, 0, v11, vcc
	v_add_co_u32_e32 v54, vcc, s71, v33
	v_addc_co_u32_e32 v55, vcc, 0, v34, vcc
	global_load_dwordx4 v[17:20], v[33:34], off glc slc
	global_load_dwordx4 v[21:24], v[33:34], off offset:1024 glc slc
	global_load_dwordx4 v[25:28], v[33:34], off offset:2048 glc slc
	;; [unrolled: 1-line block ×3, first 2 shown]
	s_nop 0
	global_load_dwordx4 v[33:36], v[54:55], off glc slc
	global_load_dwordx4 v[48:51], v[54:55], off offset:1024 glc slc
	global_load_dwordx4 v[37:40], v[54:55], off offset:2048 glc slc
	;; [unrolled: 1-line block ×3, first 2 shown]
	v_add_co_u32_e32 v54, vcc, v47, v8
	v_addc_co_u32_e32 v55, vcc, 0, v9, vcc
	v_add_co_u32_e32 v10, vcc, v10, v52
	v_addc_co_u32_e32 v11, vcc, 0, v11, vcc
	v_sub_u32_e32 v16, v16, v1
	v_add_co_u32_e32 v8, vcc, v8, v52
	v_addc_co_u32_e32 v9, vcc, 0, v9, vcc
	v_cmp_gt_i32_e64 s[26:27], 1, v16
	v_add_co_u32_e32 v45, vcc, s71, v54
	s_or_b64 s[46:47], s[26:27], s[46:47]
	v_addc_co_u32_e32 v46, vcc, 0, v55, vcc
	s_waitcnt vmcnt(7)
	global_store_dwordx4 v[54:55], v[17:20], off glc slc
	s_waitcnt vmcnt(7)
	global_store_dwordx4 v[54:55], v[21:24], off offset:1024 glc slc
	s_waitcnt vmcnt(7)
	global_store_dwordx4 v[54:55], v[25:28], off offset:2048 glc slc
	;; [unrolled: 2-line block ×3, first 2 shown]
	s_waitcnt vmcnt(7)
	global_store_dwordx4 v[45:46], v[33:36], off glc slc
	s_waitcnt vmcnt(7)
	global_store_dwordx4 v[45:46], v[48:51], off offset:1024 glc slc
	s_waitcnt vmcnt(7)
	global_store_dwordx4 v[45:46], v[37:40], off offset:2048 glc slc
	;; [unrolled: 2-line block ×3, first 2 shown]
	s_andn2_b64 exec, exec, s[46:47]
	s_cbranch_execnz .LBB6_16390
; %bb.16391:                            ;   in Loop: Header=BB6_16313 Depth=2
	s_or_b64 exec, exec, s[46:47]
	v_mov_b32_e32 v48, v1
.LBB6_16392:                            ;   in Loop: Header=BB6_16313 Depth=2
	s_or_b64 exec, exec, s[44:45]
	v_lshlrev_b32_e32 v9, 13, v0
	v_cmp_ne_u32_e32 vcc, v15, v9
	s_mov_b64 s[46:47], 0
	v_mov_b32_e32 v0, 0
                                        ; implicit-def: $vgpr1
                                        ; implicit-def: $vgpr8
	s_and_saveexec_b64 s[44:45], vcc
	s_cbranch_execz .LBB6_16398
; %bb.16393:                            ;   in Loop: Header=BB6_16313 Depth=2
	buffer_load_dword v8, off, s[0:3], s33 offset:328 ; 4-byte Folded Reload
	v_lshlrev_b32_e32 v0, 6, v16
	v_sub_u32_e32 v1, v15, v9
	s_waitcnt vmcnt(0)
	v_sub_u32_e32 v0, v8, v0
	v_ashrrev_i32_e32 v8, 31, v0
	v_lshrrev_b32_e32 v8, 26, v8
	v_add_u32_e32 v8, v0, v8
	v_ashrrev_i32_e32 v10, 6, v8
	v_and_b32_e32 v8, 0xffffffc0, v8
	v_sub_u32_e32 v8, v0, v8
	v_lshlrev_b32_e32 v0, 4, v8
	v_lshl_add_u32 v16, v10, 10, v0
	v_ashrrev_i32_e32 v0, 31, v1
	v_lshrrev_b32_e32 v0, 22, v0
	v_add_u32_e32 v0, v1, v0
	v_ashrrev_i32_e32 v17, 10, v0
	v_and_b32_e32 v0, 0xfffffc00, v0
	v_sub_u32_e32 v11, v1, v16
	v_sub_u32_e32 v1, v1, v0
	v_cmp_lt_i32_e32 vcc, 15, v1
	v_addc_co_u32_e64 v17, s[26:27], 0, v17, vcc
	v_sub_u32_e32 v10, v17, v10
	v_cmp_lt_i32_e64 s[26:27], 15, v11
	s_and_saveexec_b64 s[46:47], s[26:27]
	s_cbranch_execz .LBB6_16397
; %bb.16394:                            ;   in Loop: Header=BB6_16313 Depth=2
	buffer_load_dword v24, off, s[0:3], s33 offset:228 ; 4-byte Folded Reload
	v_add_u32_e32 v16, v16, v9
	v_ashrrev_i32_e32 v17, 31, v16
	s_mov_b64 s[30:31], 0
.LBB6_16395:                            ;   Parent Loop BB6_47 Depth=1
                                        ;     Parent Loop BB6_16313 Depth=2
                                        ; =>    This Inner Loop Header: Depth=3
	v_add_co_u32_e64 v18, s[26:27], v2, v16
	v_addc_co_u32_e64 v19, s[26:27], v3, v17, s[26:27]
	global_load_dwordx4 v[18:21], v[18:19], off glc slc
	v_add_co_u32_e64 v22, s[26:27], v4, v16
	v_addc_co_u32_e64 v23, s[26:27], v5, v17, s[26:27]
	s_waitcnt vmcnt(1)
	v_add_co_u32_e64 v16, s[26:27], v16, v24
	v_sub_u32_e32 v11, v11, v24
	v_addc_co_u32_e64 v17, s[26:27], 0, v17, s[26:27]
	v_cmp_gt_i32_e64 s[26:27], 16, v11
	v_sub_u32_e32 v10, v10, v48
	s_or_b64 s[30:31], s[26:27], s[30:31]
	s_waitcnt vmcnt(0)
	global_store_dwordx4 v[22:23], v[18:21], off glc slc
	s_andn2_b64 exec, exec, s[30:31]
	s_cbranch_execnz .LBB6_16395
; %bb.16396:                            ;   in Loop: Header=BB6_16313 Depth=2
	s_or_b64 exec, exec, s[30:31]
.LBB6_16397:                            ;   in Loop: Header=BB6_16313 Depth=2
	s_or_b64 exec, exec, s[46:47]
	v_and_b32_e32 v11, 15, v15
	v_sub_u32_e32 v16, v1, v11
	v_cndmask_b32_e32 v16, 0, v16, vcc
	v_cndmask_b32_e32 v1, v1, v11, vcc
	v_cmp_lt_i32_e32 vcc, 0, v10
	v_add3_u32 v0, v0, v9, v16
	v_cndmask_b32_e32 v9, 0, v48, vcc
	v_sub_u32_e32 v9, v9, v10
	v_cmp_ne_u32_e32 vcc, 0, v1
	v_lshl_add_u32 v8, v9, 6, v8
	s_and_b64 s[46:47], vcc, exec
.LBB6_16398:                            ;   in Loop: Header=BB6_16313 Depth=2
	s_or_b64 exec, exec, s[44:45]
	s_and_saveexec_b64 s[26:27], s[46:47]
	s_cbranch_execz .LBB6_16407
.LBB6_16399:                            ;   in Loop: Header=BB6_16313 Depth=2
	s_waitcnt vmcnt(0)
	v_ashrrev_i32_e32 v9, 31, v8
	v_ashrrev_i32_e32 v10, 31, v1
	v_lshrrev_b32_e32 v9, 26, v9
	v_lshrrev_b32_e32 v10, 21, v10
	v_add_u32_e32 v16, v8, v9
	v_add_u32_e32 v10, v1, v10
	v_ashrrev_i32_e32 v9, 6, v16
	v_ashrrev_i32_e32 v11, 11, v10
	v_sub_u32_e32 v10, v11, v9
	v_cmp_lt_i32_e32 vcc, 0, v10
	s_and_saveexec_b64 s[44:45], vcc
	s_cbranch_execz .LBB6_16403
; %bb.16400:                            ;   in Loop: Header=BB6_16313 Depth=2
	buffer_load_dword v46, off, s[0:3], s33 offset:184 ; 4-byte Folded Reload
	v_and_b32_e32 v16, 0xffffffc0, v16
	v_sub_u32_e32 v16, v8, v16
	v_lshlrev_b32_e32 v17, 11, v9
	v_add3_u32 v16, v0, v16, v17
	v_ashrrev_i32_e32 v17, 31, v16
	s_mov_b64 s[46:47], 0
	v_mov_b32_e32 v45, v48
.LBB6_16401:                            ;   Parent Loop BB6_47 Depth=1
                                        ;     Parent Loop BB6_16313 Depth=2
                                        ; =>    This Inner Loop Header: Depth=3
	v_add_co_u32_e32 v18, vcc, v16, v2
	v_addc_co_u32_e32 v19, vcc, v17, v3, vcc
	flat_load_ubyte v20, v[18:19] glc slc
	flat_load_ubyte v21, v[18:19] offset:64 glc slc
	flat_load_ubyte v22, v[18:19] offset:128 glc slc
	;; [unrolled: 1-line block ×31, first 2 shown]
	v_add_co_u32_e32 v18, vcc, v16, v4
	v_addc_co_u32_e32 v19, vcc, v17, v5, vcc
	s_waitcnt vmcnt(0)
	v_add_co_u32_e32 v2, vcc, v2, v46
	v_addc_co_u32_e32 v3, vcc, 0, v3, vcc
	v_add_co_u32_e32 v4, vcc, v4, v46
	v_sub_u32_e32 v10, v10, v45
	v_addc_co_u32_e32 v5, vcc, 0, v5, vcc
	v_cmp_gt_i32_e32 vcc, 1, v10
	s_or_b64 s[46:47], vcc, s[46:47]
	s_waitcnt lgkmcnt(0)
	flat_store_byte v[18:19], v20 glc slc
	flat_store_byte v[18:19], v21 offset:64 glc slc
	flat_store_byte v[18:19], v22 offset:128 glc slc
	;; [unrolled: 1-line block ×31, first 2 shown]
	s_andn2_b64 exec, exec, s[46:47]
	s_cbranch_execnz .LBB6_16401
; %bb.16402:                            ;   in Loop: Header=BB6_16313 Depth=2
	s_or_b64 exec, exec, s[46:47]
	v_mov_b32_e32 v48, v45
.LBB6_16403:                            ;   in Loop: Header=BB6_16313 Depth=2
	s_or_b64 exec, exec, s[44:45]
	v_lshlrev_b32_e32 v2, 11, v11
	buffer_load_dword v11, off, s[0:3], s33 offset:188 ; 4-byte Folded Reload
	v_cmp_ne_u32_e32 vcc, v1, v2
	s_and_b64 s[44:45], exec, vcc
	s_mov_b64 exec, s[44:45]
	s_cbranch_execz .LBB6_16407
; %bb.16404:                            ;   in Loop: Header=BB6_16313 Depth=2
	v_lshlrev_b32_e32 v3, 6, v9
	v_sub_u32_e32 v3, v8, v3
	v_lshlrev_b32_e32 v4, 6, v10
	v_sub_u32_e32 v3, v3, v4
	v_add_u32_e32 v3, v2, v3
	v_sub_u32_e32 v2, v1, v3
	v_cmp_lt_i32_e32 vcc, 0, v2
	s_and_b64 exec, exec, vcc
	s_cbranch_execz .LBB6_16407
; %bb.16405:                            ;   in Loop: Header=BB6_16313 Depth=2
	v_add_u32_e32 v3, v3, v0
	s_trap 2
	ds_read_b64 v[0:1], v0
	v_ashrrev_i32_e32 v4, 31, v3
	s_mov_b64 s[44:45], 0
.LBB6_16406:                            ;   Parent Loop BB6_47 Depth=1
                                        ;     Parent Loop BB6_16313 Depth=2
                                        ; =>    This Inner Loop Header: Depth=3
	s_waitcnt lgkmcnt(0)
	v_add_co_u32_e32 v8, vcc, v0, v3
	v_addc_co_u32_e32 v9, vcc, v1, v4, vcc
	flat_load_ubyte v5, v[8:9] glc slc
	s_waitcnt vmcnt(0)
	v_add_co_u32_e32 v3, vcc, v3, v11
	v_sub_u32_e32 v2, v2, v11
	v_addc_co_u32_e32 v4, vcc, 0, v4, vcc
	v_cmp_gt_i32_e32 vcc, 1, v2
	s_or_b64 s[44:45], vcc, s[44:45]
	s_waitcnt lgkmcnt(0)
	flat_store_byte v[8:9], v5 glc slc
	s_andn2_b64 exec, exec, s[44:45]
	s_cbranch_execnz .LBB6_16406
.LBB6_16407:                            ;   in Loop: Header=BB6_16313 Depth=2
	s_or_b64 exec, exec, s[26:27]
	v_cmp_lt_i32_e64 s[26:27], 0, v15
	s_and_saveexec_b64 s[44:45], s[10:11]
	s_cbranch_execz .LBB6_16384
.LBB6_16408:                            ;   in Loop: Header=BB6_16313 Depth=2
	s_and_saveexec_b64 s[46:47], s[72:73]
	s_xor_b64 s[46:47], exec, s[46:47]
	s_cbranch_execz .LBB6_16423
; %bb.16409:                            ;   in Loop: Header=BB6_16313 Depth=2
	s_and_saveexec_b64 s[30:31], s[16:17]
	s_cbranch_execz .LBB6_16422
; %bb.16410:                            ;   in Loop: Header=BB6_16313 Depth=2
	s_mov_b64 s[36:37], exec
	v_mbcnt_lo_u32_b32 v0, s36, 0
	v_mbcnt_hi_u32_b32 v0, s37, v0
	v_cmp_eq_u32_e32 vcc, 0, v0
	s_waitcnt vmcnt(0) lgkmcnt(0)
	buffer_wbinvl1_vol
	s_and_saveexec_b64 s[34:35], vcc
	s_cbranch_execz .LBB6_16412
; %bb.16411:                            ;   in Loop: Header=BB6_16313 Depth=2
	s_bcnt1_i32_b64 s9, s[36:37]
	v_mov_b32_e32 v0, s9
	v_mov_b32_e32 v1, v53
	ds_add_u64 v0, v[0:1]
	s_trap 2
.LBB6_16412:                            ;   in Loop: Header=BB6_16313 Depth=2
	s_or_b64 exec, exec, s[34:35]
	s_trap 2
	ds_read_b64 v[0:1], v0
	s_waitcnt lgkmcnt(0)
	buffer_load_dword v2, off, s[0:3], s33 offset:76 ; 4-byte Folded Reload
	buffer_load_dword v3, off, s[0:3], s33 offset:80 ; 4-byte Folded Reload
	s_waitcnt vmcnt(1)
	v_add_co_u32_e32 v2, vcc, v2, v48
	s_waitcnt vmcnt(0)
	v_addc_co_u32_e32 v3, vcc, 0, v3, vcc
	buffer_store_dword v2, off, s[0:3], s33 offset:76 ; 4-byte Folded Spill
	s_nop 0
	buffer_store_dword v3, off, s[0:3], s33 offset:80 ; 4-byte Folded Spill
	v_cmp_lt_u64_e32 vcc, v[0:1], v[2:3]
	s_and_saveexec_b64 s[34:35], vcc
	s_cbranch_execz .LBB6_16421
; %bb.16413:                            ;   in Loop: Header=BB6_16313 Depth=2
	s_mov_b32 s9, 0
	s_mov_b64 s[36:37], 0
                                        ; implicit-def: $sgpr38_sgpr39
                                        ; implicit-def: $sgpr48_sgpr49
	s_branch .LBB6_16415
.LBB6_16414:                            ;   in Loop: Header=BB6_16415 Depth=3
	s_or_b64 exec, exec, s[52:53]
	s_and_b64 vcc, exec, vcc
	s_or_b64 s[36:37], vcc, s[36:37]
	s_andn2_b64 vcc, s[38:39], exec
	s_and_b64 s[38:39], s[48:49], exec
	s_or_b64 s[38:39], vcc, s[38:39]
	s_andn2_b64 exec, exec, s[36:37]
	s_cbranch_execz .LBB6_16419
.LBB6_16415:                            ;   Parent Loop BB6_47 Depth=1
                                        ;     Parent Loop BB6_16313 Depth=2
                                        ; =>    This Inner Loop Header: Depth=3
	s_add_i32 s9, s9, 1
	s_cmpk_lg_i32 s9, 0x2710
	s_cselect_b64 s[50:51], -1, 0
	s_and_b64 vcc, exec, s[50:51]
	s_cbranch_vccz .LBB6_16417
; %bb.16416:                            ;   in Loop: Header=BB6_16415 Depth=3
	s_mov_b64 vcc, -1
	s_or_b64 s[48:49], s[48:49], exec
	s_and_saveexec_b64 s[52:53], s[50:51]
	s_cbranch_execz .LBB6_16414
	s_branch .LBB6_16418
.LBB6_16417:                            ;   in Loop: Header=BB6_16415 Depth=3
	s_trap 2
	ds_read_b64 v[0:1], v0
	s_andn2_b64 s[50:51], s[50:51], exec
	s_mov_b32 s9, 0
	s_waitcnt vmcnt(0) lgkmcnt(0)
	flat_load_dword v0, v[0:1] glc
	s_waitcnt vmcnt(0) lgkmcnt(0)
	buffer_wbinvl1_vol
	v_cmp_eq_u32_e32 vcc, 0, v0
	s_and_b64 vcc, vcc, exec
	s_or_b64 s[50:51], s[50:51], vcc
	s_mov_b64 vcc, -1
	s_or_b64 s[48:49], s[48:49], exec
	s_and_saveexec_b64 s[52:53], s[50:51]
	s_cbranch_execz .LBB6_16414
.LBB6_16418:                            ;   in Loop: Header=BB6_16415 Depth=3
	s_sleep 1
	s_trap 2
	ds_read_b64 v[0:1], v0
	s_waitcnt lgkmcnt(0)
	buffer_load_dword v2, off, s[0:3], s33 offset:76 ; 4-byte Folded Reload
	buffer_load_dword v3, off, s[0:3], s33 offset:80 ; 4-byte Folded Reload
	s_andn2_b64 s[48:49], s[48:49], exec
	s_waitcnt vmcnt(0)
	v_cmp_ge_u64_e32 vcc, v[0:1], v[2:3]
	s_orn2_b64 vcc, vcc, exec
	s_branch .LBB6_16414
.LBB6_16419:                            ;   in Loop: Header=BB6_16313 Depth=2
	s_or_b64 exec, exec, s[36:37]
	s_and_saveexec_b64 vcc, s[38:39]
	s_xor_b64 vcc, exec, vcc
	s_cbranch_execz .LBB6_16421
; %bb.16420:                            ;   in Loop: Header=BB6_16313 Depth=2
	v_mov_b32_e32 v0, 1
	ds_write_b32 v0, v0
	s_trap 2
.LBB6_16421:                            ;   in Loop: Header=BB6_16313 Depth=2
	s_or_b64 exec, exec, s[34:35]
	;;#ASMSTART
	s_wakeup
	;;#ASMEND
.LBB6_16422:                            ;   in Loop: Header=BB6_16313 Depth=2
	s_or_b64 exec, exec, s[30:31]
.LBB6_16423:                            ;   in Loop: Header=BB6_16313 Depth=2
	s_andn2_saveexec_b64 s[46:47], s[46:47]
	s_cbranch_execz .LBB6_16425
; %bb.16424:                            ;   in Loop: Header=BB6_16313 Depth=2
	s_waitcnt vmcnt(0) lgkmcnt(0)
	buffer_wbinvl1_vol
	s_barrier
.LBB6_16425:                            ;   in Loop: Header=BB6_16313 Depth=2
	s_or_b64 exec, exec, s[46:47]
	s_or_b64 exec, exec, s[44:45]
	s_and_saveexec_b64 s[44:45], s[24:25]
	s_xor_b64 s[44:45], exec, s[44:45]
	s_cbranch_execnz .LBB6_16385
.LBB6_16426:                            ;   in Loop: Header=BB6_16313 Depth=2
	s_andn2_saveexec_b64 s[26:27], s[44:45]
	s_cbranch_execz .LBB6_16445
.LBB6_16427:                            ;   in Loop: Header=BB6_16313 Depth=2
	s_and_saveexec_b64 s[44:45], s[72:73]
	s_xor_b64 s[44:45], exec, s[44:45]
	s_cbranch_execz .LBB6_16442
; %bb.16428:                            ;   in Loop: Header=BB6_16313 Depth=2
	s_and_saveexec_b64 s[46:47], s[16:17]
	s_cbranch_execz .LBB6_16441
; %bb.16429:                            ;   in Loop: Header=BB6_16313 Depth=2
	s_mov_b64 s[34:35], exec
	v_mbcnt_lo_u32_b32 v0, s34, 0
	v_mbcnt_hi_u32_b32 v0, s35, v0
	v_cmp_eq_u32_e32 vcc, 0, v0
	;;#ASMSTART
	s_waitcnt lgkmcnt(0) vmcnt(0)
	;;#ASMEND
	s_and_saveexec_b64 s[30:31], vcc
	s_cbranch_execz .LBB6_16431
; %bb.16430:                            ;   in Loop: Header=BB6_16313 Depth=2
	s_bcnt1_i32_b64 s9, s[34:35]
	v_mov_b32_e32 v0, s9
	v_mov_b32_e32 v1, v53
	s_waitcnt lgkmcnt(0)
	ds_add_u64 v0, v[0:1]
	s_trap 2
.LBB6_16431:                            ;   in Loop: Header=BB6_16313 Depth=2
	s_or_b64 exec, exec, s[30:31]
	s_trap 2
	ds_read_b64 v[0:1], v0
	s_waitcnt lgkmcnt(0)
	buffer_load_dword v2, off, s[0:3], s33 offset:76 ; 4-byte Folded Reload
	buffer_load_dword v3, off, s[0:3], s33 offset:80 ; 4-byte Folded Reload
	s_waitcnt vmcnt(0)
	v_add_co_u32_e32 v2, vcc, v2, v48
	v_addc_co_u32_e32 v3, vcc, 0, v3, vcc
	buffer_store_dword v2, off, s[0:3], s33 offset:76 ; 4-byte Folded Spill
	s_nop 0
	buffer_store_dword v3, off, s[0:3], s33 offset:80 ; 4-byte Folded Spill
	v_cmp_lt_u64_e32 vcc, v[0:1], v[2:3]
	s_and_saveexec_b64 s[30:31], vcc
	s_cbranch_execz .LBB6_16440
; %bb.16432:                            ;   in Loop: Header=BB6_16313 Depth=2
	s_mov_b32 s9, 0
	s_mov_b64 s[34:35], 0
                                        ; implicit-def: $sgpr36_sgpr37
                                        ; implicit-def: $sgpr38_sgpr39
	s_branch .LBB6_16434
.LBB6_16433:                            ;   in Loop: Header=BB6_16434 Depth=3
	s_or_b64 exec, exec, s[50:51]
	s_and_b64 vcc, exec, vcc
	s_or_b64 s[34:35], vcc, s[34:35]
	s_andn2_b64 vcc, s[36:37], exec
	s_and_b64 s[36:37], s[38:39], exec
	s_or_b64 s[36:37], vcc, s[36:37]
	s_andn2_b64 exec, exec, s[34:35]
	s_cbranch_execz .LBB6_16438
.LBB6_16434:                            ;   Parent Loop BB6_47 Depth=1
                                        ;     Parent Loop BB6_16313 Depth=2
                                        ; =>    This Inner Loop Header: Depth=3
	s_add_i32 s9, s9, 1
	s_cmpk_lg_i32 s9, 0x2710
	s_cselect_b64 s[48:49], -1, 0
	s_and_b64 vcc, exec, s[48:49]
	s_cbranch_vccz .LBB6_16436
; %bb.16435:                            ;   in Loop: Header=BB6_16434 Depth=3
	s_mov_b64 vcc, -1
	s_or_b64 s[38:39], s[38:39], exec
	s_and_saveexec_b64 s[50:51], s[48:49]
	s_cbranch_execz .LBB6_16433
	s_branch .LBB6_16437
.LBB6_16436:                            ;   in Loop: Header=BB6_16434 Depth=3
	s_trap 2
	ds_read_b64 v[0:1], v0
	s_andn2_b64 s[48:49], s[48:49], exec
	s_mov_b32 s9, 0
	s_waitcnt vmcnt(0) lgkmcnt(0)
	flat_load_dword v0, v[0:1] glc
	s_waitcnt vmcnt(0) lgkmcnt(0)
	buffer_wbinvl1_vol
	v_cmp_eq_u32_e32 vcc, 0, v0
	s_and_b64 vcc, vcc, exec
	s_or_b64 s[48:49], s[48:49], vcc
	s_mov_b64 vcc, -1
	s_or_b64 s[38:39], s[38:39], exec
	s_and_saveexec_b64 s[50:51], s[48:49]
	s_cbranch_execz .LBB6_16433
.LBB6_16437:                            ;   in Loop: Header=BB6_16434 Depth=3
	s_sleep 1
	s_trap 2
	ds_read_b64 v[0:1], v0
	s_waitcnt lgkmcnt(0)
	buffer_load_dword v2, off, s[0:3], s33 offset:76 ; 4-byte Folded Reload
	buffer_load_dword v3, off, s[0:3], s33 offset:80 ; 4-byte Folded Reload
	s_andn2_b64 s[38:39], s[38:39], exec
	s_waitcnt vmcnt(0)
	v_cmp_ge_u64_e32 vcc, v[0:1], v[2:3]
	s_orn2_b64 vcc, vcc, exec
	s_branch .LBB6_16433
.LBB6_16438:                            ;   in Loop: Header=BB6_16313 Depth=2
	s_or_b64 exec, exec, s[34:35]
	s_and_saveexec_b64 vcc, s[36:37]
	s_xor_b64 vcc, exec, vcc
	s_cbranch_execz .LBB6_16440
; %bb.16439:                            ;   in Loop: Header=BB6_16313 Depth=2
	v_mov_b32_e32 v0, 1
	ds_write_b32 v0, v0
	s_trap 2
.LBB6_16440:                            ;   in Loop: Header=BB6_16313 Depth=2
	s_or_b64 exec, exec, s[30:31]
	;;#ASMSTART
	s_wakeup
	;;#ASMEND
.LBB6_16441:                            ;   in Loop: Header=BB6_16313 Depth=2
	s_or_b64 exec, exec, s[46:47]
.LBB6_16442:                            ;   in Loop: Header=BB6_16313 Depth=2
	s_andn2_saveexec_b64 s[44:45], s[44:45]
	s_cbranch_execz .LBB6_16444
; %bb.16443:                            ;   in Loop: Header=BB6_16313 Depth=2
	;;#ASMSTART
	s_waitcnt lgkmcnt(0) vmcnt(0)
	;;#ASMEND
	s_waitcnt vmcnt(0) lgkmcnt(0)
	s_barrier
.LBB6_16444:                            ;   in Loop: Header=BB6_16313 Depth=2
	s_or_b64 exec, exec, s[44:45]
.LBB6_16445:                            ;   in Loop: Header=BB6_16313 Depth=2
	s_or_b64 exec, exec, s[26:27]
	buffer_load_dword v0, off, s[0:3], s33 offset:72 ; 4-byte Folded Reload
	s_waitcnt vmcnt(0)
	v_and_b32_e32 v0, 32, v0
	v_cmp_ne_u32_e32 vcc, 0, v0
	s_and_saveexec_b64 s[26:27], vcc
	s_cbranch_execz .LBB6_16312
; %bb.16446:                            ;   in Loop: Header=BB6_16313 Depth=2
	buffer_load_dword v2, off, s[0:3], s33 offset:84 ; 4-byte Folded Reload
	buffer_load_dword v3, off, s[0:3], s33 offset:88 ; 4-byte Folded Reload
	;; [unrolled: 1-line block ×4, first 2 shown]
	s_waitcnt vmcnt(0)
	v_add_co_u32_e32 v2, vcc, 2, v2
	v_addc_co_u32_e32 v3, vcc, 0, v3, vcc
	buffer_store_dword v2, off, s[0:3], s33 offset:84 ; 4-byte Folded Spill
	s_nop 0
	buffer_store_dword v3, off, s[0:3], s33 offset:88 ; 4-byte Folded Spill
	flat_store_dwordx2 v[0:1], v[2:3]
	s_branch .LBB6_16312
.LBB6_16447:                            ;   in Loop: Header=BB6_47 Depth=1
	s_or_b64 exec, exec, s[40:41]
.LBB6_16448:                            ;   in Loop: Header=BB6_47 Depth=1
	s_or_b64 exec, exec, s[28:29]
	v_cmp_gt_i32_e32 vcc, 2, v2
	s_and_saveexec_b64 s[28:29], vcc
	s_cbranch_execnz .LBB6_16449
; %bb.16621:                            ;   in Loop: Header=BB6_47 Depth=1
	s_getpc_b64 s[98:99]
.Lpost_getpc47:
	s_add_u32 s98, s98, (.LBB6_46-.Lpost_getpc47)&4294967295
	s_addc_u32 s99, s99, (.LBB6_46-.Lpost_getpc47)>>32
	s_setpc_b64 s[98:99]
.LBB6_16449:                            ;   in Loop: Header=BB6_47 Depth=1
	v_cmp_eq_u32_e64 s[42:43], 0, v2
	s_mov_b64 s[40:41], 0
	s_branch .LBB6_16451
.LBB6_16450:                            ;   in Loop: Header=BB6_16451 Depth=2
	s_or_b64 exec, exec, s[26:27]
	v_add_u32_e32 v12, v7, v12
	s_mov_b64 s[42:43], 0
	s_andn2_b64 exec, exec, s[40:41]
	s_cbranch_execnz .LBB6_16451
; %bb.16623:                            ;   in Loop: Header=BB6_47 Depth=1
	s_getpc_b64 s[98:99]
.Lpost_getpc48:
	s_add_u32 s98, s98, (.LBB6_45-.Lpost_getpc48)&4294967295
	s_addc_u32 s99, s99, (.LBB6_45-.Lpost_getpc48)>>32
	s_setpc_b64 s[98:99]
.LBB6_16451:                            ;   Parent Loop BB6_47 Depth=1
                                        ; =>  This Loop Header: Depth=2
                                        ;       Child Loop BB6_16457 Depth 3
                                        ;       Child Loop BB6_16481 Depth 3
	;; [unrolled: 1-line block ×3, first 2 shown]
	buffer_load_dword v0, off, s[0:3], s33 offset:72 ; 4-byte Folded Reload
	s_waitcnt vmcnt(0)
	v_and_b32_e32 v0, 4, v0
	v_cmp_ne_u32_e32 vcc, 0, v0
	s_and_saveexec_b64 s[44:45], vcc
	s_cbranch_execz .LBB6_16473
; %bb.16452:                            ;   in Loop: Header=BB6_16451 Depth=2
	buffer_load_dword v0, off, s[0:3], s33 offset:84 ; 4-byte Folded Reload
	buffer_load_dword v1, off, s[0:3], s33 offset:88 ; 4-byte Folded Reload
	s_waitcnt vmcnt(0)
	v_add_co_u32_e32 v2, vcc, 2, v0
	v_addc_co_u32_e32 v3, vcc, 0, v1, vcc
	buffer_load_dword v0, off, s[0:3], s33 offset:56 ; 4-byte Folded Reload
	buffer_load_dword v1, off, s[0:3], s33 offset:60 ; 4-byte Folded Reload
	s_waitcnt vmcnt(0)
	v_cmp_lt_u64_e32 vcc, v[0:1], v[2:3]
	s_and_saveexec_b64 s[46:47], vcc
	s_cbranch_execz .LBB6_16464
; %bb.16453:                            ;   in Loop: Header=BB6_16451 Depth=2
	buffer_load_dword v0, off, s[0:3], s33 offset:72 ; 4-byte Folded Reload
	s_mov_b32 s8, 0
	s_mov_b64 s[30:31], 0
                                        ; implicit-def: $sgpr34_sgpr35
                                        ; implicit-def: $sgpr36_sgpr37
                                        ; implicit-def: $sgpr38_sgpr39
	s_waitcnt vmcnt(0)
	v_and_b32_e32 v0, 64, v0
	v_cmp_eq_u32_e32 vcc, 0, v0
	s_branch .LBB6_16457
.LBB6_16454:                            ;   in Loop: Header=BB6_16457 Depth=3
	buffer_load_dword v4, off, s[0:3], s33 offset:56 ; 4-byte Folded Reload
	buffer_load_dword v5, off, s[0:3], s33 offset:60 ; 4-byte Folded Reload
	s_or_b64 s[52:53], s[52:53], exec
	s_waitcnt vmcnt(0)
	v_cmp_ge_u64_e64 s[26:27], v[4:5], v[2:3]
	s_orn2_b64 s[50:51], s[26:27], exec
.LBB6_16455:                            ;   in Loop: Header=BB6_16457 Depth=3
	s_or_b64 exec, exec, s[64:65]
	s_andn2_b64 s[26:27], s[38:39], exec
	s_and_b64 s[38:39], s[52:53], exec
	s_or_b64 s[38:39], s[26:27], s[38:39]
	s_andn2_b64 s[26:27], s[36:37], exec
	s_and_b64 s[36:37], s[50:51], exec
	s_or_b64 s[36:37], s[26:27], s[36:37]
.LBB6_16456:                            ;   in Loop: Header=BB6_16457 Depth=3
	s_or_b64 exec, exec, s[48:49]
	s_and_b64 s[26:27], exec, s[36:37]
	s_or_b64 s[30:31], s[26:27], s[30:31]
	s_andn2_b64 s[26:27], s[34:35], exec
	s_and_b64 s[34:35], s[38:39], exec
	s_or_b64 s[34:35], s[26:27], s[34:35]
	s_andn2_b64 exec, exec, s[30:31]
	s_cbranch_execz .LBB6_16461
.LBB6_16457:                            ;   Parent Loop BB6_47 Depth=1
                                        ;     Parent Loop BB6_16451 Depth=2
                                        ; =>    This Inner Loop Header: Depth=3
	s_sleep 1
	buffer_load_dword v0, off, s[0:3], s33 offset:64 ; 4-byte Folded Reload
	buffer_load_dword v1, off, s[0:3], s33 offset:68 ; 4-byte Folded Reload
	s_or_b64 s[38:39], s[38:39], exec
	s_or_b64 s[36:37], s[36:37], exec
	s_waitcnt vmcnt(0)
	flat_load_dwordx2 v[0:1], v[0:1] glc
	s_waitcnt vmcnt(0) lgkmcnt(0)
	buffer_store_dword v0, off, s[0:3], s33 offset:56 ; 4-byte Folded Spill
	s_nop 0
	buffer_store_dword v1, off, s[0:3], s33 offset:60 ; 4-byte Folded Spill
                                        ; implicit-def: $vgpr0
	s_and_saveexec_b64 s[48:49], vcc
	s_cbranch_execz .LBB6_16456
; %bb.16458:                            ;   in Loop: Header=BB6_16457 Depth=3
	s_cmpk_lt_i32 s8, 0x270f
	s_cselect_b64 s[54:55], -1, 0
	s_cmpk_gt_i32 s8, 0x270e
	s_mov_b64 s[50:51], -1
	s_cbranch_scc0 .LBB6_16460
; %bb.16459:                            ;   in Loop: Header=BB6_16457 Depth=3
	s_trap 2
	ds_read_b64 v[0:1], v0
	s_andn2_b64 s[54:55], s[54:55], exec
	s_mov_b32 s8, 0
	s_mov_b64 s[52:53], 0
	s_waitcnt vmcnt(0) lgkmcnt(0)
	flat_load_dword v0, v[0:1] glc
	s_waitcnt vmcnt(0) lgkmcnt(0)
	buffer_wbinvl1_vol
	v_cmp_eq_u32_e64 s[26:27], 0, v0
	s_and_b64 s[26:27], s[26:27], exec
	s_or_b64 s[54:55], s[54:55], s[26:27]
	s_and_saveexec_b64 s[64:65], s[54:55]
	s_cbranch_execz .LBB6_16455
	s_branch .LBB6_16454
.LBB6_16460:                            ;   in Loop: Header=BB6_16457 Depth=3
	s_add_i32 s8, s8, 1
	s_mov_b64 s[52:53], -1
                                        ; implicit-def: $vgpr0
	s_and_saveexec_b64 s[64:65], s[54:55]
	s_cbranch_execz .LBB6_16455
	s_branch .LBB6_16454
.LBB6_16461:                            ;   in Loop: Header=BB6_16451 Depth=2
	s_or_b64 exec, exec, s[30:31]
	s_xor_b64 s[8:9], s[34:35], -1
	s_and_saveexec_b64 s[26:27], s[8:9]
	s_xor_b64 s[26:27], exec, s[26:27]
	s_cbranch_execz .LBB6_16463
; %bb.16462:                            ;   in Loop: Header=BB6_16451 Depth=2
	ds_write_b32 v0, v0
	s_trap 2
	buffer_load_dword v0, off, s[0:3], s33 offset:72 ; 4-byte Folded Reload
	s_waitcnt vmcnt(0)
	v_or_b32_e32 v0, 64, v0
	buffer_store_dword v0, off, s[0:3], s33 offset:72 ; 4-byte Folded Spill
.LBB6_16463:                            ;   in Loop: Header=BB6_16451 Depth=2
	s_or_b64 exec, exec, s[26:27]
.LBB6_16464:                            ;   in Loop: Header=BB6_16451 Depth=2
	s_or_b64 exec, exec, s[46:47]
	;;#ASMSTART
	s_wakeup
	;;#ASMEND
	buffer_load_dword v0, off, s[0:3], s33 offset:72 ; 4-byte Folded Reload
	s_mov_b64 s[26:27], -1
	s_waitcnt vmcnt(0)
	v_and_b32_e32 v0, 0x100, v0
	v_cmp_ne_u32_e32 vcc, 0, v0
	buffer_load_dword v0, off, s[0:3], s33 offset:84 ; 4-byte Folded Reload
	buffer_load_dword v1, off, s[0:3], s33 offset:88 ; 4-byte Folded Reload
	s_waitcnt vmcnt(0)
	v_and_b32_e32 v8, 7, v0
                                        ; implicit-def: $vgpr0_vgpr1
	s_and_saveexec_b64 s[46:47], vcc
	s_cbranch_execz .LBB6_16468
; %bb.16465:                            ;   in Loop: Header=BB6_16451 Depth=2
	buffer_load_dword v13, off, s[0:3], s33 offset:204 ; 4-byte Folded Reload
	buffer_load_dword v14, off, s[0:3], s33 offset:208 ; 4-byte Folded Reload
	;; [unrolled: 1-line block ×4, first 2 shown]
	s_waitcnt vmcnt(0)
	v_mad_u64_u32 v[4:5], s[8:9], v8, 24, v[13:14]
	flat_load_dword v0, v[4:5]
	s_waitcnt vmcnt(0) lgkmcnt(0)
	v_cmp_ne_u32_e32 vcc, 1, v0
	v_cmp_eq_u32_e64 s[26:27], 1, v0
                                        ; implicit-def: $vgpr0_vgpr1
	s_and_saveexec_b64 s[30:31], s[26:27]
	s_cbranch_execz .LBB6_16467
; %bb.16466:                            ;   in Loop: Header=BB6_16451 Depth=2
	flat_load_dword v0, v[4:5] offset:4 glc
	s_waitcnt vmcnt(0) lgkmcnt(0)
	v_ashrrev_i32_e32 v1, 31, v0
.LBB6_16467:                            ;   in Loop: Header=BB6_16451 Depth=2
	s_or_b64 exec, exec, s[30:31]
	s_orn2_b64 s[26:27], vcc, exec
.LBB6_16468:                            ;   in Loop: Header=BB6_16451 Depth=2
	s_or_b64 exec, exec, s[46:47]
	s_and_saveexec_b64 s[46:47], s[26:27]
	s_cbranch_execz .LBB6_16470
; %bb.16469:                            ;   in Loop: Header=BB6_16451 Depth=2
	buffer_load_dword v0, off, s[0:3], s33 offset:232 ; 4-byte Folded Reload
	s_waitcnt vmcnt(0)
	v_mad_i64_i32 v[0:1], s[8:9], v8, v0, 0
.LBB6_16470:                            ;   in Loop: Header=BB6_16451 Depth=2
	s_or_b64 exec, exec, s[46:47]
	buffer_load_dword v4, off, s[0:3], s33 offset:196 ; 4-byte Folded Reload
	buffer_load_dword v5, off, s[0:3], s33 offset:200 ; 4-byte Folded Reload
	s_waitcnt vmcnt(0)
	v_add_co_u32_e32 v0, vcc, v4, v0
	v_addc_co_u32_e32 v1, vcc, v5, v1, vcc
	ds_write_b64 v0, v[0:1] offset:720
	buffer_load_dword v0, off, s[0:3], s33 offset:72 ; 4-byte Folded Reload
	s_waitcnt vmcnt(0)
	v_and_b32_e32 v0, 0x2000, v0
	v_cmp_ne_u32_e32 vcc, 0, v0
	s_and_saveexec_b64 s[26:27], vcc
	s_cbranch_execz .LBB6_16472
; %bb.16471:                            ;   in Loop: Header=BB6_16451 Depth=2
	ds_read_b64 v[0:1], v0 offset:872
	s_waitcnt lgkmcnt(0)
	v_add_co_u32_e32 v0, vcc, 1, v0
	v_addc_co_u32_e32 v1, vcc, 0, v1, vcc
	ds_write_b64 v0, v[0:1] offset:872
.LBB6_16472:                            ;   in Loop: Header=BB6_16451 Depth=2
	s_or_b64 exec, exec, s[26:27]
	buffer_store_dword v2, off, s[0:3], s33 offset:84 ; 4-byte Folded Spill
	s_nop 0
	buffer_store_dword v3, off, s[0:3], s33 offset:88 ; 4-byte Folded Spill
.LBB6_16473:                            ;   in Loop: Header=BB6_16451 Depth=2
	s_or_b64 exec, exec, s[44:45]
	s_xor_b64 s[8:9], s[42:43], -1
	s_and_b64 s[8:9], exec, s[8:9]
	s_or_b64 s[40:41], s[8:9], s[40:41]
	s_and_saveexec_b64 s[26:27], s[10:11]
	s_cbranch_execz .LBB6_16492
; %bb.16474:                            ;   in Loop: Header=BB6_16451 Depth=2
	s_and_saveexec_b64 s[8:9], s[72:73]
	s_xor_b64 s[42:43], exec, s[8:9]
	s_cbranch_execz .LBB6_16489
; %bb.16475:                            ;   in Loop: Header=BB6_16451 Depth=2
	s_and_saveexec_b64 s[44:45], s[16:17]
	s_cbranch_execz .LBB6_16488
; %bb.16476:                            ;   in Loop: Header=BB6_16451 Depth=2
	s_mov_b64 s[30:31], exec
	v_mbcnt_lo_u32_b32 v0, s30, 0
	v_mbcnt_hi_u32_b32 v0, s31, v0
	v_cmp_eq_u32_e32 vcc, 0, v0
	s_waitcnt vmcnt(0) lgkmcnt(0)
	buffer_wbinvl1_vol
	s_and_saveexec_b64 s[46:47], vcc
	s_cbranch_execz .LBB6_16478
; %bb.16477:                            ;   in Loop: Header=BB6_16451 Depth=2
	s_bcnt1_i32_b64 s8, s[30:31]
	v_mov_b32_e32 v0, s8
	v_mov_b32_e32 v1, v53
	ds_add_u64 v0, v[0:1]
	s_trap 2
.LBB6_16478:                            ;   in Loop: Header=BB6_16451 Depth=2
	s_or_b64 exec, exec, s[46:47]
	s_trap 2
	ds_read_b64 v[0:1], v0
	s_waitcnt lgkmcnt(0)
	buffer_load_dword v2, off, s[0:3], s33 offset:76 ; 4-byte Folded Reload
	buffer_load_dword v3, off, s[0:3], s33 offset:80 ; 4-byte Folded Reload
	s_waitcnt vmcnt(1)
	v_add_co_u32_e32 v2, vcc, v2, v48
	s_waitcnt vmcnt(0)
	v_addc_co_u32_e32 v3, vcc, 0, v3, vcc
	buffer_store_dword v2, off, s[0:3], s33 offset:76 ; 4-byte Folded Spill
	s_nop 0
	buffer_store_dword v3, off, s[0:3], s33 offset:80 ; 4-byte Folded Spill
	v_cmp_lt_u64_e32 vcc, v[0:1], v[2:3]
	s_and_saveexec_b64 s[46:47], vcc
	s_cbranch_execz .LBB6_16487
; %bb.16479:                            ;   in Loop: Header=BB6_16451 Depth=2
	s_mov_b32 s8, 0
	s_mov_b64 s[30:31], 0
                                        ; implicit-def: $sgpr34_sgpr35
                                        ; implicit-def: $sgpr36_sgpr37
	s_branch .LBB6_16481
.LBB6_16480:                            ;   in Loop: Header=BB6_16481 Depth=3
	s_or_b64 exec, exec, s[48:49]
	s_and_b64 vcc, exec, vcc
	s_or_b64 s[30:31], vcc, s[30:31]
	s_andn2_b64 vcc, s[34:35], exec
	s_and_b64 s[34:35], s[36:37], exec
	s_or_b64 s[34:35], vcc, s[34:35]
	s_andn2_b64 exec, exec, s[30:31]
	s_cbranch_execz .LBB6_16485
.LBB6_16481:                            ;   Parent Loop BB6_47 Depth=1
                                        ;     Parent Loop BB6_16451 Depth=2
                                        ; =>    This Inner Loop Header: Depth=3
	s_add_i32 s8, s8, 1
	s_cmpk_lg_i32 s8, 0x2710
	s_cselect_b64 s[38:39], -1, 0
	s_and_b64 vcc, exec, s[38:39]
	s_cbranch_vccz .LBB6_16483
; %bb.16482:                            ;   in Loop: Header=BB6_16481 Depth=3
	s_mov_b64 vcc, -1
	s_or_b64 s[36:37], s[36:37], exec
	s_and_saveexec_b64 s[48:49], s[38:39]
	s_cbranch_execz .LBB6_16480
	s_branch .LBB6_16484
.LBB6_16483:                            ;   in Loop: Header=BB6_16481 Depth=3
	s_trap 2
	ds_read_b64 v[0:1], v0
	s_andn2_b64 s[38:39], s[38:39], exec
	s_mov_b32 s8, 0
	s_waitcnt vmcnt(0) lgkmcnt(0)
	flat_load_dword v0, v[0:1] glc
	s_waitcnt vmcnt(0) lgkmcnt(0)
	buffer_wbinvl1_vol
	v_cmp_eq_u32_e32 vcc, 0, v0
	s_and_b64 vcc, vcc, exec
	s_or_b64 s[38:39], s[38:39], vcc
	s_mov_b64 vcc, -1
	s_or_b64 s[36:37], s[36:37], exec
	s_and_saveexec_b64 s[48:49], s[38:39]
	s_cbranch_execz .LBB6_16480
.LBB6_16484:                            ;   in Loop: Header=BB6_16481 Depth=3
	s_sleep 1
	s_trap 2
	ds_read_b64 v[0:1], v0
	s_waitcnt lgkmcnt(0)
	buffer_load_dword v2, off, s[0:3], s33 offset:76 ; 4-byte Folded Reload
	buffer_load_dword v3, off, s[0:3], s33 offset:80 ; 4-byte Folded Reload
	s_andn2_b64 s[36:37], s[36:37], exec
	s_waitcnt vmcnt(0)
	v_cmp_ge_u64_e32 vcc, v[0:1], v[2:3]
	s_orn2_b64 vcc, vcc, exec
	s_branch .LBB6_16480
.LBB6_16485:                            ;   in Loop: Header=BB6_16451 Depth=2
	s_or_b64 exec, exec, s[30:31]
	s_and_saveexec_b64 s[8:9], s[34:35]
	s_xor_b64 s[8:9], exec, s[8:9]
	s_cbranch_execz .LBB6_16487
; %bb.16486:                            ;   in Loop: Header=BB6_16451 Depth=2
	v_mov_b32_e32 v0, 1
	ds_write_b32 v0, v0
	s_trap 2
.LBB6_16487:                            ;   in Loop: Header=BB6_16451 Depth=2
	s_or_b64 exec, exec, s[46:47]
	;;#ASMSTART
	s_wakeup
	;;#ASMEND
.LBB6_16488:                            ;   in Loop: Header=BB6_16451 Depth=2
	s_or_b64 exec, exec, s[44:45]
.LBB6_16489:                            ;   in Loop: Header=BB6_16451 Depth=2
	s_andn2_saveexec_b64 s[42:43], s[42:43]
	s_cbranch_execz .LBB6_16491
; %bb.16490:                            ;   in Loop: Header=BB6_16451 Depth=2
	s_waitcnt vmcnt(0) lgkmcnt(0)
	buffer_wbinvl1_vol
	s_barrier
.LBB6_16491:                            ;   in Loop: Header=BB6_16451 Depth=2
	s_or_b64 exec, exec, s[42:43]
.LBB6_16492:                            ;   in Loop: Header=BB6_16451 Depth=2
	s_or_b64 exec, exec, s[26:27]
	v_sub_u32_e32 v0, v6, v12
	v_min_i32_e32 v7, v7, v0
	s_and_saveexec_b64 s[8:9], s[24:25]
	s_xor_b64 s[26:27], exec, s[8:9]
	s_cbranch_execz .LBB6_16496
; %bb.16493:                            ;   in Loop: Header=BB6_16451 Depth=2
	s_trap 2
	ds_read_b32 v0, v0
	v_cmp_lt_i32_e32 vcc, 0, v7
	s_waitcnt lgkmcnt(0)
	v_readfirstlane_b32 s8, v0
	buffer_load_dword v0, off, s[0:3], s33 offset:72 ; 4-byte Folded Reload
	s_cmp_eq_u32 s8, 0
	s_cselect_b64 s[8:9], -1, 0
	s_and_b64 s[8:9], vcc, s[8:9]
	s_waitcnt vmcnt(0)
	v_and_b32_e32 v0, 16, v0
	v_cmp_ne_u32_e32 vcc, 0, v0
	s_and_b64 s[8:9], vcc, s[8:9]
	s_and_saveexec_b64 s[42:43], s[8:9]
	s_cbranch_execz .LBB6_16495
; %bb.16494:                            ;   in Loop: Header=BB6_16451 Depth=2
	buffer_wbinvl1_vol
.LBB6_16495:                            ;   in Loop: Header=BB6_16451 Depth=2
	s_or_b64 exec, exec, s[42:43]
.LBB6_16496:                            ;   in Loop: Header=BB6_16451 Depth=2
	s_andn2_saveexec_b64 s[26:27], s[26:27]
	s_cbranch_execz .LBB6_16515
; %bb.16497:                            ;   in Loop: Header=BB6_16451 Depth=2
	s_and_saveexec_b64 s[8:9], s[72:73]
	s_xor_b64 s[42:43], exec, s[8:9]
	s_cbranch_execz .LBB6_16512
; %bb.16498:                            ;   in Loop: Header=BB6_16451 Depth=2
	s_and_saveexec_b64 s[44:45], s[16:17]
	s_cbranch_execz .LBB6_16511
; %bb.16499:                            ;   in Loop: Header=BB6_16451 Depth=2
	s_mov_b64 s[30:31], exec
	v_mbcnt_lo_u32_b32 v0, s30, 0
	v_mbcnt_hi_u32_b32 v0, s31, v0
	v_cmp_eq_u32_e32 vcc, 0, v0
	;;#ASMSTART
	s_waitcnt lgkmcnt(0) vmcnt(0)
	;;#ASMEND
	s_and_saveexec_b64 s[46:47], vcc
	s_cbranch_execz .LBB6_16501
; %bb.16500:                            ;   in Loop: Header=BB6_16451 Depth=2
	s_bcnt1_i32_b64 s8, s[30:31]
	v_mov_b32_e32 v0, s8
	v_mov_b32_e32 v1, v53
	s_waitcnt lgkmcnt(0)
	ds_add_u64 v0, v[0:1]
	s_trap 2
.LBB6_16501:                            ;   in Loop: Header=BB6_16451 Depth=2
	s_or_b64 exec, exec, s[46:47]
	s_trap 2
	ds_read_b64 v[0:1], v0
	s_waitcnt lgkmcnt(0)
	buffer_load_dword v2, off, s[0:3], s33 offset:76 ; 4-byte Folded Reload
	buffer_load_dword v3, off, s[0:3], s33 offset:80 ; 4-byte Folded Reload
	s_waitcnt vmcnt(1)
	v_add_co_u32_e32 v2, vcc, v2, v48
	s_waitcnt vmcnt(0)
	v_addc_co_u32_e32 v3, vcc, 0, v3, vcc
	buffer_store_dword v2, off, s[0:3], s33 offset:76 ; 4-byte Folded Spill
	s_nop 0
	buffer_store_dword v3, off, s[0:3], s33 offset:80 ; 4-byte Folded Spill
	v_cmp_lt_u64_e32 vcc, v[0:1], v[2:3]
	s_and_saveexec_b64 s[46:47], vcc
	s_cbranch_execz .LBB6_16510
; %bb.16502:                            ;   in Loop: Header=BB6_16451 Depth=2
	s_mov_b32 s8, 0
	s_mov_b64 s[30:31], 0
                                        ; implicit-def: $sgpr34_sgpr35
                                        ; implicit-def: $sgpr36_sgpr37
	s_branch .LBB6_16504
.LBB6_16503:                            ;   in Loop: Header=BB6_16504 Depth=3
	s_or_b64 exec, exec, s[48:49]
	s_and_b64 vcc, exec, vcc
	s_or_b64 s[30:31], vcc, s[30:31]
	s_andn2_b64 vcc, s[34:35], exec
	s_and_b64 s[34:35], s[36:37], exec
	s_or_b64 s[34:35], vcc, s[34:35]
	s_andn2_b64 exec, exec, s[30:31]
	s_cbranch_execz .LBB6_16508
.LBB6_16504:                            ;   Parent Loop BB6_47 Depth=1
                                        ;     Parent Loop BB6_16451 Depth=2
                                        ; =>    This Inner Loop Header: Depth=3
	s_add_i32 s8, s8, 1
	s_cmpk_lg_i32 s8, 0x2710
	s_cselect_b64 s[38:39], -1, 0
	s_and_b64 vcc, exec, s[38:39]
	s_cbranch_vccz .LBB6_16506
; %bb.16505:                            ;   in Loop: Header=BB6_16504 Depth=3
	s_mov_b64 vcc, -1
	s_or_b64 s[36:37], s[36:37], exec
	s_and_saveexec_b64 s[48:49], s[38:39]
	s_cbranch_execz .LBB6_16503
	s_branch .LBB6_16507
.LBB6_16506:                            ;   in Loop: Header=BB6_16504 Depth=3
	s_trap 2
	ds_read_b64 v[0:1], v0
	s_andn2_b64 s[38:39], s[38:39], exec
	s_mov_b32 s8, 0
	s_waitcnt vmcnt(0) lgkmcnt(0)
	flat_load_dword v0, v[0:1] glc
	s_waitcnt vmcnt(0) lgkmcnt(0)
	buffer_wbinvl1_vol
	v_cmp_eq_u32_e32 vcc, 0, v0
	s_and_b64 vcc, vcc, exec
	s_or_b64 s[38:39], s[38:39], vcc
	s_mov_b64 vcc, -1
	s_or_b64 s[36:37], s[36:37], exec
	s_and_saveexec_b64 s[48:49], s[38:39]
	s_cbranch_execz .LBB6_16503
.LBB6_16507:                            ;   in Loop: Header=BB6_16504 Depth=3
	s_sleep 1
	s_trap 2
	ds_read_b64 v[0:1], v0
	s_waitcnt lgkmcnt(0)
	buffer_load_dword v2, off, s[0:3], s33 offset:76 ; 4-byte Folded Reload
	buffer_load_dword v3, off, s[0:3], s33 offset:80 ; 4-byte Folded Reload
	s_andn2_b64 s[36:37], s[36:37], exec
	s_waitcnt vmcnt(0)
	v_cmp_ge_u64_e32 vcc, v[0:1], v[2:3]
	s_orn2_b64 vcc, vcc, exec
	s_branch .LBB6_16503
.LBB6_16508:                            ;   in Loop: Header=BB6_16451 Depth=2
	s_or_b64 exec, exec, s[30:31]
	s_and_saveexec_b64 s[8:9], s[34:35]
	s_xor_b64 s[8:9], exec, s[8:9]
	s_cbranch_execz .LBB6_16510
; %bb.16509:                            ;   in Loop: Header=BB6_16451 Depth=2
	v_mov_b32_e32 v0, 1
	ds_write_b32 v0, v0
	s_trap 2
.LBB6_16510:                            ;   in Loop: Header=BB6_16451 Depth=2
	s_or_b64 exec, exec, s[46:47]
	;;#ASMSTART
	s_wakeup
	;;#ASMEND
.LBB6_16511:                            ;   in Loop: Header=BB6_16451 Depth=2
	s_or_b64 exec, exec, s[44:45]
.LBB6_16512:                            ;   in Loop: Header=BB6_16451 Depth=2
	s_andn2_saveexec_b64 s[42:43], s[42:43]
	s_cbranch_execz .LBB6_16514
; %bb.16513:                            ;   in Loop: Header=BB6_16451 Depth=2
	;;#ASMSTART
	s_waitcnt lgkmcnt(0) vmcnt(0)
	;;#ASMEND
	s_waitcnt vmcnt(0) lgkmcnt(0)
	s_barrier
.LBB6_16514:                            ;   in Loop: Header=BB6_16451 Depth=2
	s_or_b64 exec, exec, s[42:43]
.LBB6_16515:                            ;   in Loop: Header=BB6_16451 Depth=2
	s_or_b64 exec, exec, s[26:27]
	buffer_load_dword v0, off, s[0:3], s33 offset:72 ; 4-byte Folded Reload
	s_waitcnt vmcnt(0)
	v_and_b32_e32 v0, 32, v0
	v_cmp_ne_u32_e32 vcc, 0, v0
	s_and_saveexec_b64 s[26:27], vcc
	s_cbranch_execz .LBB6_16450
; %bb.16516:                            ;   in Loop: Header=BB6_16451 Depth=2
	buffer_load_dword v2, off, s[0:3], s33 offset:84 ; 4-byte Folded Reload
	buffer_load_dword v3, off, s[0:3], s33 offset:88 ; 4-byte Folded Reload
	;; [unrolled: 1-line block ×4, first 2 shown]
	s_waitcnt vmcnt(0)
	v_add_co_u32_e32 v2, vcc, 2, v2
	v_addc_co_u32_e32 v3, vcc, 0, v3, vcc
	buffer_store_dword v2, off, s[0:3], s33 offset:84 ; 4-byte Folded Spill
	s_nop 0
	buffer_store_dword v3, off, s[0:3], s33 offset:88 ; 4-byte Folded Spill
	flat_store_dwordx2 v[0:1], v[2:3]
	s_branch .LBB6_16450
.LBB6_16517:
	s_or_b64 exec, exec, s[74:75]
	buffer_load_dword v1, off, s[0:3], s33 offset:444 ; 4-byte Folded Reload
	buffer_load_dword v31, off, s[0:3], s33 offset:448 ; 4-byte Folded Reload
	v_readlane_b32 s28, v62, 4
	v_readlane_b32 s29, v62, 5
.LBB6_16518:
	v_readlane_b32 s4, v62, 2
	v_readlane_b32 s5, v62, 3
	s_or_b64 exec, exec, s[4:5]
	buffer_load_dword v2, off, s[0:3], s33 offset:72 ; 4-byte Folded Reload
	s_waitcnt vmcnt(0)
	v_and_b32_e32 v0, 0x800, v2
	v_cmp_eq_u32_e32 vcc, 0, v0
	s_and_saveexec_b64 s[6:7], vcc
	s_cbranch_execz .LBB6_16551
; %bb.16519:
	v_and_b32_e32 v0, 48, v2
	v_cmp_ne_u32_e32 vcc, 0, v0
	s_and_saveexec_b64 s[4:5], vcc
	s_cbranch_execz .LBB6_16521
; %bb.16520:
	buffer_load_dword v2, off, s[0:3], s33 offset:432 ; 4-byte Folded Reload
	buffer_load_dword v3, off, s[0:3], s33 offset:436 ; 4-byte Folded Reload
	;; [unrolled: 1-line block ×4, first 2 shown]
	s_waitcnt vmcnt(0)
	flat_store_dwordx2 v[2:3], v[4:5] offset:104
.LBB6_16521:
	s_or_b64 exec, exec, s[4:5]
	buffer_load_dword v7, off, s[0:3], s33 offset:72 ; 4-byte Folded Reload
	s_movk_i32 s4, 0x88
	s_waitcnt vmcnt(0)
	v_and_b32_e32 v0, 0x88, v7
	v_cmp_eq_u32_e32 vcc, s4, v0
	s_and_saveexec_b64 s[10:11], vcc
	s_cbranch_execz .LBB6_16531
; %bb.16522:
	buffer_load_dword v2, off, s[0:3], s33 offset:84 ; 4-byte Folded Reload
	buffer_load_dword v3, off, s[0:3], s33 offset:88 ; 4-byte Folded Reload
	s_mov_b32 s8, 0
	s_waitcnt vmcnt(0)
	v_add_u32_e32 v0, 6, v2
	buffer_load_dword v2, off, s[0:3], s33 offset:204 ; 4-byte Folded Reload
	buffer_load_dword v3, off, s[0:3], s33 offset:208 ; 4-byte Folded Reload
	;; [unrolled: 1-line block ×4, first 2 shown]
	v_and_b32_e32 v0, 7, v0
	s_waitcnt vmcnt(0)
	v_and_b32_e32 v4, 64, v7
	v_mad_u64_u32 v[5:6], s[4:5], v0, 24, v[2:3]
	v_cmp_eq_u32_e64 s[4:5], 0, v4
	flat_load_dwordx2 v[2:3], v[5:6] offset:8 glc
	s_waitcnt vmcnt(0) lgkmcnt(0)
	v_cmp_ne_u64_e32 vcc, -1, v[2:3]
	s_and_b64 s[4:5], vcc, s[4:5]
	s_and_b64 exec, exec, s[4:5]
	s_cbranch_execz .LBB6_16531
; %bb.16523:
	s_mov_b64 s[4:5], 0
                                        ; implicit-def: $sgpr12_sgpr13
                                        ; implicit-def: $sgpr14_sgpr15
	s_branch .LBB6_16526
.LBB6_16524:                            ;   in Loop: Header=BB6_16526 Depth=1
	flat_load_dwordx2 v[3:4], v[5:6] offset:8 glc
	s_waitcnt vmcnt(0)
	s_andn2_b64 s[14:15], s[14:15], exec
	s_waitcnt lgkmcnt(0)
	v_cmp_eq_u64_e32 vcc, -1, v[3:4]
	s_orn2_b64 s[18:19], vcc, exec
.LBB6_16525:                            ;   in Loop: Header=BB6_16526 Depth=1
	s_or_b64 exec, exec, s[20:21]
	s_and_b64 s[16:17], exec, s[18:19]
	s_or_b64 s[4:5], s[16:17], s[4:5]
	s_andn2_b64 s[12:13], s[12:13], exec
	s_and_b64 s[16:17], s[14:15], exec
	s_or_b64 s[12:13], s[12:13], s[16:17]
	s_andn2_b64 exec, exec, s[4:5]
	s_cbranch_execz .LBB6_16529
.LBB6_16526:                            ; =>This Inner Loop Header: Depth=1
	s_cmpk_lt_i32 s8, 0x270f
	s_cselect_b64 s[16:17], -1, 0
	s_and_b64 vcc, exec, s[16:17]
	s_cbranch_vccnz .LBB6_16528
; %bb.16527:                            ;   in Loop: Header=BB6_16526 Depth=1
	s_trap 2
	ds_read_b64 v[2:3], v0
	s_andn2_b64 s[16:17], s[16:17], exec
	s_mov_b32 s8, 0
	s_waitcnt lgkmcnt(0)
	flat_load_dword v2, v[2:3] glc
	s_waitcnt vmcnt(0) lgkmcnt(0)
	buffer_wbinvl1_vol
	v_cmp_eq_u32_e32 vcc, 0, v2
	s_and_b64 s[18:19], vcc, exec
	s_or_b64 s[16:17], s[16:17], s[18:19]
	s_mov_b64 s[18:19], -1
	s_or_b64 s[14:15], s[14:15], exec
	s_and_saveexec_b64 s[20:21], s[16:17]
	s_cbranch_execz .LBB6_16525
	s_branch .LBB6_16524
.LBB6_16528:                            ;   in Loop: Header=BB6_16526 Depth=1
	s_add_i32 s8, s8, 1
                                        ; implicit-def: $vgpr2
	s_mov_b64 s[18:19], -1
	s_or_b64 s[14:15], s[14:15], exec
	s_and_saveexec_b64 s[20:21], s[16:17]
	s_cbranch_execz .LBB6_16525
	s_branch .LBB6_16524
.LBB6_16529:
	s_or_b64 exec, exec, s[4:5]
	s_mov_b64 s[4:5], exec
	buffer_load_dword v7, off, s[0:3], s33 offset:72 ; 4-byte Folded Reload
	s_and_b64 s[8:9], s[4:5], s[12:13]
	s_xor_b64 s[4:5], s[8:9], s[4:5]
	s_mov_b64 exec, s[8:9]
	s_cbranch_execz .LBB6_16531
; %bb.16530:
	ds_write_b32 v0, v2
	s_trap 2
.LBB6_16531:
	s_or_b64 exec, exec, s[10:11]
	s_waitcnt vmcnt(0)
	v_and_b32_e32 v0, 0x2000, v7
	v_cmp_ne_u32_e32 vcc, 0, v0
	s_and_saveexec_b64 s[4:5], vcc
	s_cbranch_execz .LBB6_16533
; %bb.16532:
	s_trap 2
	ds_read_b64 v[2:3], v0
	buffer_load_dword v4, off, s[0:3], s33 offset:452 ; 4-byte Folded Reload
	buffer_load_dword v5, off, s[0:3], s33 offset:456 ; 4-byte Folded Reload
	s_waitcnt vmcnt(0) lgkmcnt(0)
	flat_store_dwordx2 v[4:5], v[2:3] offset:16
.LBB6_16533:
	s_or_b64 exec, exec, s[4:5]
	v_cmp_ne_u32_e32 vcc, 64, v1
	s_and_b64 exec, exec, vcc
	s_cbranch_execz .LBB6_16551
; %bb.16534:
	buffer_load_dword v0, off, s[0:3], s33 offset:440 ; 4-byte Folded Reload
	s_waitcnt vmcnt(0)
	v_cmp_ne_u32_sdwa s[4:5], v1, v0 src0_sel:DWORD src1_sel:WORD_0
	s_and_saveexec_b64 s[8:9], s[4:5]
	s_xor_b64 s[4:5], exec, s[8:9]
	s_cbranch_execz .LBB6_16549
; %bb.16535:
	v_and_b32_e32 v0, 63, v31
	v_cmp_eq_u32_e32 vcc, 0, v0
	s_and_saveexec_b64 s[10:11], vcc
	s_cbranch_execz .LBB6_16548
; %bb.16536:
	s_mov_b64 s[14:15], exec
	v_mbcnt_lo_u32_b32 v0, s14, 0
	v_mbcnt_hi_u32_b32 v0, s15, v0
	v_cmp_eq_u32_e32 vcc, 0, v0
	s_waitcnt lgkmcnt(0)
	buffer_wbinvl1_vol
	s_and_saveexec_b64 s[12:13], vcc
	s_cbranch_execz .LBB6_16538
; %bb.16537:
	s_bcnt1_i32_b64 s8, s[14:15]
	v_mov_b32_e32 v2, s8
	v_mov_b32_e32 v3, 0
	ds_add_u64 v0, v[2:3]
	s_trap 2
.LBB6_16538:
	s_or_b64 exec, exec, s[12:13]
	v_lshrrev_b32_e32 v0, 6, v1
	s_trap 2
	ds_read_b64 v[2:3], v0
	s_waitcnt lgkmcnt(0)
	buffer_load_dword v4, off, s[0:3], s33 offset:76 ; 4-byte Folded Reload
	buffer_load_dword v5, off, s[0:3], s33 offset:80 ; 4-byte Folded Reload
	s_waitcnt vmcnt(1)
	v_add_co_u32_e32 v0, vcc, v4, v0
	s_waitcnt vmcnt(0)
	v_addc_co_u32_e32 v1, vcc, 0, v5, vcc
	v_cmp_lt_u64_e32 vcc, v[2:3], v[0:1]
	s_and_saveexec_b64 s[12:13], vcc
	s_cbranch_execz .LBB6_16547
; %bb.16539:
	s_mov_b32 s8, 0
	s_mov_b64 s[14:15], 0
                                        ; implicit-def: $sgpr16_sgpr17
                                        ; implicit-def: $sgpr18_sgpr19
	s_branch .LBB6_16541
.LBB6_16540:                            ;   in Loop: Header=BB6_16541 Depth=1
	s_or_b64 exec, exec, s[22:23]
	s_and_b64 s[20:21], exec, s[24:25]
	s_or_b64 s[14:15], s[20:21], s[14:15]
	s_andn2_b64 s[16:17], s[16:17], exec
	s_and_b64 s[20:21], s[18:19], exec
	s_or_b64 s[16:17], s[16:17], s[20:21]
	s_andn2_b64 exec, exec, s[14:15]
	s_cbranch_execz .LBB6_16545
.LBB6_16541:                            ; =>This Inner Loop Header: Depth=1
	s_add_i32 s8, s8, 1
	s_cmpk_lg_i32 s8, 0x2710
	s_cselect_b64 s[20:21], -1, 0
	s_and_b64 vcc, exec, s[20:21]
	s_cbranch_vccz .LBB6_16543
; %bb.16542:                            ;   in Loop: Header=BB6_16541 Depth=1
	s_mov_b64 s[24:25], -1
	s_or_b64 s[18:19], s[18:19], exec
	s_and_saveexec_b64 s[22:23], s[20:21]
	s_cbranch_execz .LBB6_16540
	s_branch .LBB6_16544
.LBB6_16543:                            ;   in Loop: Header=BB6_16541 Depth=1
	s_trap 2
	ds_read_b64 v[2:3], v0
	s_andn2_b64 s[20:21], s[20:21], exec
	s_mov_b32 s8, 0
	s_waitcnt lgkmcnt(0)
	flat_load_dword v2, v[2:3] glc
	s_waitcnt vmcnt(0) lgkmcnt(0)
	buffer_wbinvl1_vol
	v_cmp_eq_u32_e32 vcc, 0, v2
	s_and_b64 s[22:23], vcc, exec
	s_or_b64 s[20:21], s[20:21], s[22:23]
	s_mov_b64 s[24:25], -1
	s_or_b64 s[18:19], s[18:19], exec
	s_and_saveexec_b64 s[22:23], s[20:21]
	s_cbranch_execz .LBB6_16540
.LBB6_16544:                            ;   in Loop: Header=BB6_16541 Depth=1
	s_sleep 1
	s_trap 2
	ds_read_b64 v[2:3], v0
	s_waitcnt lgkmcnt(0)
	s_andn2_b64 s[18:19], s[18:19], exec
	v_cmp_ge_u64_e32 vcc, v[2:3], v[0:1]
	s_orn2_b64 s[24:25], vcc, exec
	s_branch .LBB6_16540
.LBB6_16545:
	s_or_b64 exec, exec, s[14:15]
	s_and_saveexec_b64 s[8:9], s[16:17]
	s_xor_b64 s[8:9], exec, s[8:9]
	s_cbranch_execz .LBB6_16547
; %bb.16546:
	v_mov_b32_e32 v0, 1
	ds_write_b32 v0, v0
	s_trap 2
.LBB6_16547:
	s_or_b64 exec, exec, s[12:13]
	;;#ASMSTART
	s_wakeup
	;;#ASMEND
.LBB6_16548:
	s_or_b64 exec, exec, s[10:11]
.LBB6_16549:
	s_andn2_saveexec_b64 s[4:5], s[4:5]
	s_cbranch_execz .LBB6_16551
; %bb.16550:
	s_waitcnt lgkmcnt(0)
	buffer_wbinvl1_vol
	s_barrier
.LBB6_16551:
	s_or_b64 exec, exec, s[6:7]
.LBB6_16552:
	v_readlane_b32 s4, v62, 0
	v_readlane_b32 s5, v62, 1
	s_andn2_saveexec_b64 s[26:27], s[4:5]
	s_cbranch_execz .LBB6_16554
; %bb.16553:
	s_getpc_b64 s[4:5]
	s_add_u32 s4, s4, __PRETTY_FUNCTION__._ZN10PrimitivesI14__hip_fp8_e4m310FuncMinMaxIS0_E12FanSymmetricILi1EELi0E11ProtoSimpleILi2ELi2ELi0ELi4ELi0ELi0EELi0ELb0ELi0ELi0ELi0EEC2EiiPKiS9_PKvPvmhhhP15ncclDevWorkCollP14ncclDevWorkP2pii@rel32@lo+4
	s_addc_u32 s5, s5, __PRETTY_FUNCTION__._ZN10PrimitivesI14__hip_fp8_e4m310FuncMinMaxIS0_E12FanSymmetricILi1EELi0E11ProtoSimpleILi2ELi2ELi0ELi4ELi0ELi0EELi0ELb0ELi0ELi0ELi0EEC2EiiPKiS9_PKvPvmhhhP15ncclDevWorkCollP14ncclDevWorkP2pii@rel32@hi+12
	s_getpc_b64 s[6:7]
	s_add_u32 s6, s6, __assert_fail@rel32@lo+4
	s_addc_u32 s7, s7, __assert_fail@rel32@hi+12
	s_mov_b64 s[8:9], s[28:29]
	v_mov_b32_e32 v0, s4
	v_mov_b32_e32 v1, s5
	s_swappc_b64 s[30:31], s[6:7]
	; divergent unreachable
.LBB6_16554:
	s_or_b64 exec, exec, s[26:27]
	buffer_load_dword v61, off, s[0:3], s33 ; 4-byte Folded Reload
	buffer_load_dword v60, off, s[0:3], s33 offset:4 ; 4-byte Folded Reload
	buffer_load_dword v59, off, s[0:3], s33 offset:8 ; 4-byte Folded Reload
	;; [unrolled: 1-line block ×13, first 2 shown]
	v_readlane_b32 s30, v63, 32
	v_readlane_b32 s31, v63, 33
	;; [unrolled: 1-line block ×34, first 2 shown]
	s_mov_b32 s32, s33
	v_readlane_b32 s4, v63, 34
	s_or_saveexec_b64 s[6:7], -1
	buffer_load_dword v63, off, s[0:3], s33 offset:460 ; 4-byte Folded Reload
	buffer_load_dword v62, off, s[0:3], s33 offset:464 ; 4-byte Folded Reload
	s_mov_b64 exec, s[6:7]
	s_mov_b32 s33, s4
	s_waitcnt vmcnt(0) lgkmcnt(0)
	s_setpc_b64 s[30:31]
.Lfunc_end6:
	.size	_ZN12_GLOBAL__N_17runRingI14__hip_fp8_e4m310FuncMinMaxIS1_E11ProtoSimpleILi2ELi2ELi0ELi4ELi0ELi0EELi0ELi0ELi4ELi0EEEviiP15ncclDevWorkColl, .Lfunc_end6-_ZN12_GLOBAL__N_17runRingI14__hip_fp8_e4m310FuncMinMaxIS1_E11ProtoSimpleILi2ELi2ELi0ELi4ELi0ELi0EELi0ELi0ELi4ELi0EEEviiP15ncclDevWorkColl
                                        ; -- End function
	.set .L_ZN12_GLOBAL__N_17runRingI14__hip_fp8_e4m310FuncMinMaxIS1_E11ProtoSimpleILi2ELi2ELi0ELi4ELi0ELi0EELi0ELi0ELi4ELi0EEEviiP15ncclDevWorkColl.num_vgpr, max(64, .L__assert_fail.num_vgpr)
	.set .L_ZN12_GLOBAL__N_17runRingI14__hip_fp8_e4m310FuncMinMaxIS1_E11ProtoSimpleILi2ELi2ELi0ELi4ELi0ELi0EELi0ELi0ELi4ELi0EEEviiP15ncclDevWorkColl.num_agpr, max(0, .L__assert_fail.num_agpr)
	.set .L_ZN12_GLOBAL__N_17runRingI14__hip_fp8_e4m310FuncMinMaxIS1_E11ProtoSimpleILi2ELi2ELi0ELi4ELi0ELi0EELi0ELi0ELi4ELi0EEEviiP15ncclDevWorkColl.numbered_sgpr, max(100, .L__assert_fail.numbered_sgpr)
	.set .L_ZN12_GLOBAL__N_17runRingI14__hip_fp8_e4m310FuncMinMaxIS1_E11ProtoSimpleILi2ELi2ELi0ELi4ELi0ELi0EELi0ELi0ELi4ELi0EEEviiP15ncclDevWorkColl.num_named_barrier, max(0, .L__assert_fail.num_named_barrier)
	.set .L_ZN12_GLOBAL__N_17runRingI14__hip_fp8_e4m310FuncMinMaxIS1_E11ProtoSimpleILi2ELi2ELi0ELi4ELi0ELi0EELi0ELi0ELi4ELi0EEEviiP15ncclDevWorkColl.private_seg_size, 480+max(.L__assert_fail.private_seg_size)
	.set .L_ZN12_GLOBAL__N_17runRingI14__hip_fp8_e4m310FuncMinMaxIS1_E11ProtoSimpleILi2ELi2ELi0ELi4ELi0ELi0EELi0ELi0ELi4ELi0EEEviiP15ncclDevWorkColl.uses_vcc, or(1, .L__assert_fail.uses_vcc)
	.set .L_ZN12_GLOBAL__N_17runRingI14__hip_fp8_e4m310FuncMinMaxIS1_E11ProtoSimpleILi2ELi2ELi0ELi4ELi0ELi0EELi0ELi0ELi4ELi0EEEviiP15ncclDevWorkColl.uses_flat_scratch, or(0, .L__assert_fail.uses_flat_scratch)
	.set .L_ZN12_GLOBAL__N_17runRingI14__hip_fp8_e4m310FuncMinMaxIS1_E11ProtoSimpleILi2ELi2ELi0ELi4ELi0ELi0EELi0ELi0ELi4ELi0EEEviiP15ncclDevWorkColl.has_dyn_sized_stack, or(0, .L__assert_fail.has_dyn_sized_stack)
	.set .L_ZN12_GLOBAL__N_17runRingI14__hip_fp8_e4m310FuncMinMaxIS1_E11ProtoSimpleILi2ELi2ELi0ELi4ELi0ELi0EELi0ELi0ELi4ELi0EEEviiP15ncclDevWorkColl.has_recursion, or(1, .L__assert_fail.has_recursion)
	.set .L_ZN12_GLOBAL__N_17runRingI14__hip_fp8_e4m310FuncMinMaxIS1_E11ProtoSimpleILi2ELi2ELi0ELi4ELi0ELi0EELi0ELi0ELi4ELi0EEEviiP15ncclDevWorkColl.has_indirect_call, or(0, .L__assert_fail.has_indirect_call)
	.section	.AMDGPU.csdata,"",@progbits
; Function info:
; codeLenInByte = 449992
; TotalNumSgprs: 104
; NumVgprs: 64
; ScratchSize: 544
; MemoryBound: 1
	.text
	.p2align	2                               ; -- Begin function _Z53ncclDevFunc_AllReduce_RING_SIMPLE_MinMax_f8e4m3_0_0_4v
	.type	_Z53ncclDevFunc_AllReduce_RING_SIMPLE_MinMax_f8e4m3_0_0_4v,@function
_Z53ncclDevFunc_AllReduce_RING_SIMPLE_MinMax_f8e4m3_0_0_4v: ; @_Z53ncclDevFunc_AllReduce_RING_SIMPLE_MinMax_f8e4m3_0_0_4v
; %bb.0:
	s_waitcnt vmcnt(0) expcnt(0) lgkmcnt(0)
	s_mov_b32 s4, s33
	s_mov_b32 s33, s32
	s_or_saveexec_b64 s[6:7], -1
	buffer_store_dword v43, off, s[0:3], s33 offset:20 ; 4-byte Folded Spill
	buffer_store_dword v44, off, s[0:3], s33 offset:24 ; 4-byte Folded Spill
	s_mov_b64 exec, s[6:7]
	v_writelane_b32 v44, s4, 38
	v_writelane_b32 v44, s100, 36
	;; [unrolled: 1-line block ×3, first 2 shown]
	s_addk_i32 s32, 0x800
	buffer_store_dword v40, off, s[0:3], s33 offset:12 ; 4-byte Folded Spill
	buffer_store_dword v41, off, s[0:3], s33 offset:8 ; 4-byte Folded Spill
	;; [unrolled: 1-line block ×3, first 2 shown]
	buffer_store_dword v62, off, s[0:3], s33 ; 4-byte Folded Spill
	v_writelane_b32 v44, s34, 0
	v_writelane_b32 v44, s35, 1
	;; [unrolled: 1-line block ×36, first 2 shown]
	s_trap 2
	ds_read_b32 v0, v0
	v_mov_b32_e32 v40, v31
                                        ; implicit-def: $vgpr43 : SGPR spill to VGPR lane
	v_and_b32_e32 v41, 0x3ff, v40
	v_writelane_b32 v43, s12, 0
	v_writelane_b32 v43, s8, 1
	s_waitcnt lgkmcnt(0)
	v_cmp_lt_i32_e32 vcc, v41, v0
	v_writelane_b32 v43, s9, 2
	s_and_saveexec_b64 s[4:5], vcc
	s_cbranch_execz .LBB7_5
; %bb.1:
	v_readlane_b32 s8, v43, 1
	v_readlane_b32 s9, v43, 2
	s_load_dword s6, s[8:9], 0x0
	v_readlane_b32 s7, v43, 0
	v_mov_b32_e32 v1, 0
	s_mov_b32 s10, 0
	v_mov_b32_e32 v4, v41
	s_waitcnt lgkmcnt(0)
	s_cmp_lt_u32 s7, s6
	s_cselect_b32 s6, 12, 18
	s_add_u32 s6, s8, s6
	s_addc_u32 s7, s9, 0
	global_load_ushort v1, v1, s[6:7]
	s_trap 2
	ds_read_b32 v2, v0
	s_mov_b64 s[6:7], 0
                                        ; implicit-def: $vgpr3
	s_waitcnt vmcnt(0) lgkmcnt(0)
	v_mul_lo_u32 v2, v2, v1
	s_branch .LBB7_3
.LBB7_2:                                ;   in Loop: Header=BB7_3 Depth=1
	s_or_b64 exec, exec, s[8:9]
	v_add_u32_e32 v4, v4, v1
	v_cmp_ge_i32_e32 vcc, v4, v0
	s_or_b64 s[6:7], vcc, s[6:7]
	v_add_u32_e32 v3, v3, v2
	s_andn2_b64 exec, exec, s[6:7]
	s_cbranch_execz .LBB7_5
.LBB7_3:                                ; =>This Inner Loop Header: Depth=1
	ds_read_b32 v5, v3
	s_waitcnt lgkmcnt(0)
	v_and_b32_e32 v5, 0x1000000, v5
	v_cmp_ne_u32_e32 vcc, 0, v5
	s_and_saveexec_b64 s[8:9], vcc
	s_cbranch_execz .LBB7_2
; %bb.4:                                ;   in Loop: Header=BB7_3 Depth=1
	ds_read_b64 v[5:6], v3 offset:104
	s_waitcnt lgkmcnt(0)
	flat_load_ubyte v5, v[5:6]
	v_mov_b32_e32 v6, s10
	s_waitcnt vmcnt(0) lgkmcnt(0)
	v_and_b32_e32 v5, 0xffff, v5
	ds_write_b64 v3, v[5:6] offset:104
	s_branch .LBB7_2
.LBB7_5:
	s_or_b64 exec, exec, s[4:5]
	s_waitcnt vmcnt(0) lgkmcnt(0)
	s_barrier
	s_trap 2
	ds_read_b32 v0, v0
	s_waitcnt lgkmcnt(0)
	v_cmp_gt_i32_e32 vcc, 1, v0
	s_cbranch_vccnz .LBB7_13
; %bb.6:
	s_mov_b32 s6, 0
	v_mov_b32_e32 v42, 6
	s_branch .LBB7_8
.LBB7_7:                                ;   in Loop: Header=BB7_8 Depth=1
	s_or_b64 exec, exec, s[8:9]
	s_trap 2
	ds_read_b32 v0, v0
	s_add_i32 s6, s6, 1
	s_waitcnt lgkmcnt(0)
	v_cmp_lt_i32_e32 vcc, s6, v0
	s_cbranch_vccz .LBB7_13
.LBB7_8:                                ; =>This Inner Loop Header: Depth=1
	s_trap 2
	ds_read_b32 v0, v0
	s_cmp_eq_u32 s6, 0
	s_cbranch_scc1 .LBB7_11
; %bb.9:                                ;   in Loop: Header=BB7_8 Depth=1
	s_trap 2
	s_waitcnt lgkmcnt(0)
	ds_read_b32 v1, v0
	s_waitcnt lgkmcnt(0)
	v_xor_b32_e32 v1, v1, v0
	v_and_b32_e32 v1, 0xff0000, v1
	v_cmp_eq_u32_e32 vcc, 0, v1
	s_cbranch_vccnz .LBB7_11
; %bb.10:                               ;   in Loop: Header=BB7_8 Depth=1
	s_barrier
	ds_read_b32 v0, v0
.LBB7_11:                               ;   in Loop: Header=BB7_8 Depth=1
	s_waitcnt lgkmcnt(0)
	v_lshlrev_b32_sdwa v1, v42, v0 dst_sel:DWORD dst_unused:UNUSED_PAD src0_sel:DWORD src1_sel:BYTE_2
	v_cmp_lt_u32_e32 vcc, v41, v1
	s_and_saveexec_b64 s[8:9], vcc
	s_cbranch_execz .LBB7_7
; %bb.12:                               ;   in Loop: Header=BB7_8 Depth=1
	v_writelane_b32 v43, s6, 3
	v_writelane_b32 v43, s8, 4
	s_mov_b64 s[4:5], src_shared_base
	s_getpc_b64 s[6:7]
	s_add_u32 s6, s6, _ZN12_GLOBAL__N_17runRingI14__hip_fp8_e4m310FuncMinMaxIS1_E11ProtoSimpleILi2ELi2ELi0ELi4ELi0ELi0EELi0ELi0ELi4ELi0EEEviiP15ncclDevWorkColl@rel32@lo+4
	s_addc_u32 s7, s7, _ZN12_GLOBAL__N_17runRingI14__hip_fp8_e4m310FuncMinMaxIS1_E11ProtoSimpleILi2ELi2ELi0ELi4ELi0ELi0EELi0ELi0ELi4ELi0EEEviiP15ncclDevWorkColl@rel32@hi+12
	v_writelane_b32 v43, s9, 5
	s_or_saveexec_b64 s[100:101], -1
	buffer_store_dword v43, off, s[0:3], s33 offset:16 ; 4-byte Folded Spill
	s_mov_b64 exec, s[100:101]
	v_readlane_b32 s8, v43, 1
	v_readlane_b32 s9, v43, 2
	;; [unrolled: 1-line block ×3, first 2 shown]
	v_mov_b32_e32 v31, v40
	v_mov_b32_e32 v0, v41
	;; [unrolled: 1-line block ×3, first 2 shown]
	s_swappc_b64 s[30:31], s[6:7]
	s_or_saveexec_b64 s[100:101], -1
	buffer_load_dword v43, off, s[0:3], s33 offset:16 ; 4-byte Folded Reload
	s_mov_b64 exec, s[100:101]
	s_waitcnt vmcnt(0)
	v_readlane_b32 s8, v43, 4
	v_readlane_b32 s9, v43, 5
	;; [unrolled: 1-line block ×3, first 2 shown]
	s_branch .LBB7_7
.LBB7_13:
	buffer_load_dword v62, off, s[0:3], s33 ; 4-byte Folded Reload
	buffer_load_dword v42, off, s[0:3], s33 offset:4 ; 4-byte Folded Reload
	buffer_load_dword v41, off, s[0:3], s33 offset:8 ; 4-byte Folded Reload
	;; [unrolled: 1-line block ×3, first 2 shown]
	v_readlane_b32 s30, v44, 34
	v_readlane_b32 s31, v44, 35
	;; [unrolled: 1-line block ×36, first 2 shown]
	s_mov_b32 s32, s33
	v_readlane_b32 s4, v44, 38
	v_readlane_b32 s100, v44, 36
	;; [unrolled: 1-line block ×3, first 2 shown]
	s_or_saveexec_b64 s[6:7], -1
	buffer_load_dword v43, off, s[0:3], s33 offset:20 ; 4-byte Folded Reload
	buffer_load_dword v44, off, s[0:3], s33 offset:24 ; 4-byte Folded Reload
	s_mov_b64 exec, s[6:7]
	s_mov_b32 s33, s4
	s_waitcnt vmcnt(0)
	s_setpc_b64 s[30:31]
.Lfunc_end7:
	.size	_Z53ncclDevFunc_AllReduce_RING_SIMPLE_MinMax_f8e4m3_0_0_4v, .Lfunc_end7-_Z53ncclDevFunc_AllReduce_RING_SIMPLE_MinMax_f8e4m3_0_0_4v
                                        ; -- End function
	.set .L_Z53ncclDevFunc_AllReduce_RING_SIMPLE_MinMax_f8e4m3_0_0_4v.num_vgpr, max(63, .L_ZN12_GLOBAL__N_17runRingI14__hip_fp8_e4m310FuncMinMaxIS1_E11ProtoSimpleILi2ELi2ELi0ELi4ELi0ELi0EELi0ELi0ELi4ELi0EEEviiP15ncclDevWorkColl.num_vgpr)
	.set .L_Z53ncclDevFunc_AllReduce_RING_SIMPLE_MinMax_f8e4m3_0_0_4v.num_agpr, max(0, .L_ZN12_GLOBAL__N_17runRingI14__hip_fp8_e4m310FuncMinMaxIS1_E11ProtoSimpleILi2ELi2ELi0ELi4ELi0ELi0EELi0ELi0ELi4ELi0EEEviiP15ncclDevWorkColl.num_agpr)
	.set .L_Z53ncclDevFunc_AllReduce_RING_SIMPLE_MinMax_f8e4m3_0_0_4v.numbered_sgpr, max(102, .L_ZN12_GLOBAL__N_17runRingI14__hip_fp8_e4m310FuncMinMaxIS1_E11ProtoSimpleILi2ELi2ELi0ELi4ELi0ELi0EELi0ELi0ELi4ELi0EEEviiP15ncclDevWorkColl.numbered_sgpr)
	.set .L_Z53ncclDevFunc_AllReduce_RING_SIMPLE_MinMax_f8e4m3_0_0_4v.num_named_barrier, max(0, .L_ZN12_GLOBAL__N_17runRingI14__hip_fp8_e4m310FuncMinMaxIS1_E11ProtoSimpleILi2ELi2ELi0ELi4ELi0ELi0EELi0ELi0ELi4ELi0EEEviiP15ncclDevWorkColl.num_named_barrier)
	.set .L_Z53ncclDevFunc_AllReduce_RING_SIMPLE_MinMax_f8e4m3_0_0_4v.private_seg_size, 32+max(.L_ZN12_GLOBAL__N_17runRingI14__hip_fp8_e4m310FuncMinMaxIS1_E11ProtoSimpleILi2ELi2ELi0ELi4ELi0ELi0EELi0ELi0ELi4ELi0EEEviiP15ncclDevWorkColl.private_seg_size)
	.set .L_Z53ncclDevFunc_AllReduce_RING_SIMPLE_MinMax_f8e4m3_0_0_4v.uses_vcc, or(1, .L_ZN12_GLOBAL__N_17runRingI14__hip_fp8_e4m310FuncMinMaxIS1_E11ProtoSimpleILi2ELi2ELi0ELi4ELi0ELi0EELi0ELi0ELi4ELi0EEEviiP15ncclDevWorkColl.uses_vcc)
	.set .L_Z53ncclDevFunc_AllReduce_RING_SIMPLE_MinMax_f8e4m3_0_0_4v.uses_flat_scratch, or(0, .L_ZN12_GLOBAL__N_17runRingI14__hip_fp8_e4m310FuncMinMaxIS1_E11ProtoSimpleILi2ELi2ELi0ELi4ELi0ELi0EELi0ELi0ELi4ELi0EEEviiP15ncclDevWorkColl.uses_flat_scratch)
	.set .L_Z53ncclDevFunc_AllReduce_RING_SIMPLE_MinMax_f8e4m3_0_0_4v.has_dyn_sized_stack, or(0, .L_ZN12_GLOBAL__N_17runRingI14__hip_fp8_e4m310FuncMinMaxIS1_E11ProtoSimpleILi2ELi2ELi0ELi4ELi0ELi0EELi0ELi0ELi4ELi0EEEviiP15ncclDevWorkColl.has_dyn_sized_stack)
	.set .L_Z53ncclDevFunc_AllReduce_RING_SIMPLE_MinMax_f8e4m3_0_0_4v.has_recursion, or(1, .L_ZN12_GLOBAL__N_17runRingI14__hip_fp8_e4m310FuncMinMaxIS1_E11ProtoSimpleILi2ELi2ELi0ELi4ELi0ELi0EELi0ELi0ELi4ELi0EEEviiP15ncclDevWorkColl.has_recursion)
	.set .L_Z53ncclDevFunc_AllReduce_RING_SIMPLE_MinMax_f8e4m3_0_0_4v.has_indirect_call, or(0, .L_ZN12_GLOBAL__N_17runRingI14__hip_fp8_e4m310FuncMinMaxIS1_E11ProtoSimpleILi2ELi2ELi0ELi4ELi0ELi0EELi0ELi0ELi4ELi0EEEviiP15ncclDevWorkColl.has_indirect_call)
	.section	.AMDGPU.csdata,"",@progbits
; Function info:
; codeLenInByte = 1372
; TotalNumSgprs: 106
; NumVgprs: 64
; ScratchSize: 576
; MemoryBound: 0
	.section	.AMDGPU.gpr_maximums,"",@progbits
	.set amdgpu.max_num_vgpr, 64
	.set amdgpu.max_num_agpr, 0
	.set amdgpu.max_num_sgpr, 102
	.section	.AMDGPU.csdata,"",@progbits
	.type	__const.__assert_fail.fmt,@object ; @__const.__assert_fail.fmt
	.section	.rodata.str1.16,"aMS",@progbits,1
	.p2align	4, 0x0
__const.__assert_fail.fmt:
	.asciz	"%s:%u: %s: Device-side assertion `%s' failed.\n"
	.size	__const.__assert_fail.fmt, 47

	.type	.str.3,@object                  ; @.str.3
	.section	.rodata.str1.1,"aMS",@progbits,1
.str.3:
	.asciz	"2*(nrecv+nsend) <= nthreads"
	.size	.str.3, 28

	.type	.str.4,@object                  ; @.str.4
.str.4:
	.asciz	"/root/src/amdgpu-assembly/repos/ROCm__rccl/hipify/src/device/prims_simple.h"
	.size	.str.4, 76

	.type	__PRETTY_FUNCTION__._ZN10PrimitivesI14__hip_fp8_e4m310FuncMinMaxIS0_E12FanSymmetricILi1EELi0E11ProtoSimpleILi2ELi2ELi0ELi1ELi0ELi0EELi0ELb0ELi0ELi0ELi0EEC2EiiPKiS9_PKvPvmhhhP15ncclDevWorkCollP14ncclDevWorkP2pii,@object ; @__PRETTY_FUNCTION__._ZN10PrimitivesI14__hip_fp8_e4m310FuncMinMaxIS0_E12FanSymmetricILi1EELi0E11ProtoSimpleILi2ELi2ELi0ELi1ELi0ELi0EELi0ELb0ELi0ELi0ELi0EEC2EiiPKiS9_PKvPvmhhhP15ncclDevWorkCollP14ncclDevWorkP2pii
__PRETTY_FUNCTION__._ZN10PrimitivesI14__hip_fp8_e4m310FuncMinMaxIS0_E12FanSymmetricILi1EELi0E11ProtoSimpleILi2ELi2ELi0ELi1ELi0ELi0EELi0ELb0ELi0ELi0ELi0EEC2EiiPKiS9_PKvPvmhhhP15ncclDevWorkCollP14ncclDevWorkP2pii:
	.asciz	"Primitives<__hip_fp8_e4m3, FuncMinMax<__hip_fp8_e4m3>, FanSymmetric<1>, 0, ProtoSimple<2, 2, 0, 1>, 0>::Primitives(int, int, const int *, const int *, const void *, void *, uint64_t, uint8_t, uint8_t, uint8_t, struct ncclDevWorkColl *, struct ncclDevWorkP2p *, int, int) [T = __hip_fp8_e4m3, RedOp = FuncMinMax<__hip_fp8_e4m3>, Fan = FanSymmetric<1>, Direct = 0, Proto = ProtoSimple<2, 2, 0, 1>, P2p = 0, isNetOffload = false, Metadata = 0, Pipeline = 0, useAcc = 0]"
	.size	__PRETTY_FUNCTION__._ZN10PrimitivesI14__hip_fp8_e4m310FuncMinMaxIS0_E12FanSymmetricILi1EELi0E11ProtoSimpleILi2ELi2ELi0ELi1ELi0ELi0EELi0ELb0ELi0ELi0ELi0EEC2EiiPKiS9_PKvPvmhhhP15ncclDevWorkCollP14ncclDevWorkP2pii, 467

	.type	__PRETTY_FUNCTION__._ZN10PrimitivesI14__hip_fp8_e4m310FuncMinMaxIS0_E12FanSymmetricILi1EELi0E11ProtoSimpleILi2ELi2ELi0ELi2ELi0ELi0EELi0ELb0ELi0ELi0ELi0EEC2EiiPKiS9_PKvPvmhhhP15ncclDevWorkCollP14ncclDevWorkP2pii,@object ; @__PRETTY_FUNCTION__._ZN10PrimitivesI14__hip_fp8_e4m310FuncMinMaxIS0_E12FanSymmetricILi1EELi0E11ProtoSimpleILi2ELi2ELi0ELi2ELi0ELi0EELi0ELb0ELi0ELi0ELi0EEC2EiiPKiS9_PKvPvmhhhP15ncclDevWorkCollP14ncclDevWorkP2pii
__PRETTY_FUNCTION__._ZN10PrimitivesI14__hip_fp8_e4m310FuncMinMaxIS0_E12FanSymmetricILi1EELi0E11ProtoSimpleILi2ELi2ELi0ELi2ELi0ELi0EELi0ELb0ELi0ELi0ELi0EEC2EiiPKiS9_PKvPvmhhhP15ncclDevWorkCollP14ncclDevWorkP2pii:
	.asciz	"Primitives<__hip_fp8_e4m3, FuncMinMax<__hip_fp8_e4m3>, FanSymmetric<1>, 0, ProtoSimple<2, 2, 0, 2>, 0>::Primitives(int, int, const int *, const int *, const void *, void *, uint64_t, uint8_t, uint8_t, uint8_t, struct ncclDevWorkColl *, struct ncclDevWorkP2p *, int, int) [T = __hip_fp8_e4m3, RedOp = FuncMinMax<__hip_fp8_e4m3>, Fan = FanSymmetric<1>, Direct = 0, Proto = ProtoSimple<2, 2, 0, 2>, P2p = 0, isNetOffload = false, Metadata = 0, Pipeline = 0, useAcc = 0]"
	.size	__PRETTY_FUNCTION__._ZN10PrimitivesI14__hip_fp8_e4m310FuncMinMaxIS0_E12FanSymmetricILi1EELi0E11ProtoSimpleILi2ELi2ELi0ELi2ELi0ELi0EELi0ELb0ELi0ELi0ELi0EEC2EiiPKiS9_PKvPvmhhhP15ncclDevWorkCollP14ncclDevWorkP2pii, 467

	.type	__PRETTY_FUNCTION__._ZN10PrimitivesI14__hip_fp8_e4m310FuncMinMaxIS0_E12FanSymmetricILi1EELi0E11ProtoSimpleILi2ELi2ELi0ELi4ELi0ELi0EELi0ELb0ELi0ELi0ELi0EEC2EiiPKiS9_PKvPvmhhhP15ncclDevWorkCollP14ncclDevWorkP2pii,@object ; @__PRETTY_FUNCTION__._ZN10PrimitivesI14__hip_fp8_e4m310FuncMinMaxIS0_E12FanSymmetricILi1EELi0E11ProtoSimpleILi2ELi2ELi0ELi4ELi0ELi0EELi0ELb0ELi0ELi0ELi0EEC2EiiPKiS9_PKvPvmhhhP15ncclDevWorkCollP14ncclDevWorkP2pii
__PRETTY_FUNCTION__._ZN10PrimitivesI14__hip_fp8_e4m310FuncMinMaxIS0_E12FanSymmetricILi1EELi0E11ProtoSimpleILi2ELi2ELi0ELi4ELi0ELi0EELi0ELb0ELi0ELi0ELi0EEC2EiiPKiS9_PKvPvmhhhP15ncclDevWorkCollP14ncclDevWorkP2pii:
	.asciz	"Primitives<__hip_fp8_e4m3, FuncMinMax<__hip_fp8_e4m3>, FanSymmetric<1>, 0, ProtoSimple<2, 2, 0, 4>, 0>::Primitives(int, int, const int *, const int *, const void *, void *, uint64_t, uint8_t, uint8_t, uint8_t, struct ncclDevWorkColl *, struct ncclDevWorkP2p *, int, int) [T = __hip_fp8_e4m3, RedOp = FuncMinMax<__hip_fp8_e4m3>, Fan = FanSymmetric<1>, Direct = 0, Proto = ProtoSimple<2, 2, 0, 4>, P2p = 0, isNetOffload = false, Metadata = 0, Pipeline = 0, useAcc = 0]"
	.size	__PRETTY_FUNCTION__._ZN10PrimitivesI14__hip_fp8_e4m310FuncMinMaxIS0_E12FanSymmetricILi1EELi0E11ProtoSimpleILi2ELi2ELi0ELi4ELi0ELi0EELi0ELb0ELi0ELi0ELi0EEC2EiiPKiS9_PKvPvmhhhP15ncclDevWorkCollP14ncclDevWorkP2pii, 467

	.type	__hip_cuid_64aa76d258f4d5fa,@object ; @__hip_cuid_64aa76d258f4d5fa
	.section	.bss,"aw",@nobits
	.globl	__hip_cuid_64aa76d258f4d5fa
__hip_cuid_64aa76d258f4d5fa:
	.byte	0                               ; 0x0
	.size	__hip_cuid_64aa76d258f4d5fa, 1

	.ident	"AMD clang version 22.0.0git (https://github.com/RadeonOpenCompute/llvm-project roc-7.2.4 26084 f58b06dce1f9c15707c5f808fd002e18c2accf7e)"
	.section	".note.GNU-stack","",@progbits
	.addrsig
	.addrsig_sym _Z53ncclDevFunc_AllReduce_RING_SIMPLE_MinMax_f8e4m3_0_0_1v
	.addrsig_sym _Z53ncclDevFunc_AllReduce_RING_SIMPLE_MinMax_f8e4m3_0_0_2v
	.addrsig_sym _Z53ncclDevFunc_AllReduce_RING_SIMPLE_MinMax_f8e4m3_0_0_4v
	.addrsig_sym ncclShmem
	.addrsig_sym __hip_cuid_64aa76d258f4d5fa
	.amdgpu_metadata
---
amdhsa.kernels:  []
amdhsa.target:   amdgcn-amd-amdhsa--gfx906
amdhsa.version:
  - 1
  - 2
...

	.end_amdgpu_metadata
